;; amdgpu-corpus repo=ROCm/rocSPARSE kind=compiled arch=gfx90a opt=O3
	.text
	.amdgcn_target "amdgcn-amd-amdhsa--gfx90a"
	.amdhsa_code_object_version 6
	.section	.text._ZN9rocsparseL14kernel_freerunILi1024ELi1EfiiEEvT3_S1_T2_PKS2_S4_PKS1_PKT1_21rocsparse_index_base_S4_S4_S6_PS7_SB_SA_S4_S4_S6_SB_SB_SA_SB_SB_,"axG",@progbits,_ZN9rocsparseL14kernel_freerunILi1024ELi1EfiiEEvT3_S1_T2_PKS2_S4_PKS1_PKT1_21rocsparse_index_base_S4_S4_S6_PS7_SB_SA_S4_S4_S6_SB_SB_SA_SB_SB_,comdat
	.globl	_ZN9rocsparseL14kernel_freerunILi1024ELi1EfiiEEvT3_S1_T2_PKS2_S4_PKS1_PKT1_21rocsparse_index_base_S4_S4_S6_PS7_SB_SA_S4_S4_S6_SB_SB_SA_SB_SB_ ; -- Begin function _ZN9rocsparseL14kernel_freerunILi1024ELi1EfiiEEvT3_S1_T2_PKS2_S4_PKS1_PKT1_21rocsparse_index_base_S4_S4_S6_PS7_SB_SA_S4_S4_S6_SB_SB_SA_SB_SB_
	.p2align	8
	.type	_ZN9rocsparseL14kernel_freerunILi1024ELi1EfiiEEvT3_S1_T2_PKS2_S4_PKS1_PKT1_21rocsparse_index_base_S4_S4_S6_PS7_SB_SA_S4_S4_S6_SB_SB_SA_SB_SB_,@function
_ZN9rocsparseL14kernel_freerunILi1024ELi1EfiiEEvT3_S1_T2_PKS2_S4_PKS1_PKT1_21rocsparse_index_base_S4_S4_S6_PS7_SB_SA_S4_S4_S6_SB_SB_SA_SB_SB_: ; @_ZN9rocsparseL14kernel_freerunILi1024ELi1EfiiEEvT3_S1_T2_PKS2_S4_PKS1_PKT1_21rocsparse_index_base_S4_S4_S6_PS7_SB_SA_S4_S4_S6_SB_SB_SA_SB_SB_
; %bb.0:
	s_load_dwordx2 s[34:35], s[4:5], 0x0
	s_lshl_b32 s65, s6, 10
	v_or_b32_e32 v0, s65, v0
	s_mov_b32 s33, 0
	s_waitcnt lgkmcnt(0)
	s_cmp_gt_i32 s34, 0
	v_cmp_gt_i32_e32 vcc, s35, v0
	s_cselect_b64 s[0:1], -1, 0
	s_and_b64 s[0:1], vcc, s[0:1]
	s_and_saveexec_b64 s[2:3], s[0:1]
	s_cbranch_execz .LBB0_66
; %bb.1:
	s_load_dwordx8 s[8:15], s[4:5], 0x38
	s_load_dwordx8 s[16:23], s[4:5], 0x10
	v_ashrrev_i32_e32 v1, 31, v0
	v_lshlrev_b64 v[2:3], 2, v[0:1]
	s_addk_i32 s65, 0x400
	s_waitcnt lgkmcnt(0)
	v_mov_b32_e32 v1, s11
	v_add_co_u32_e32 v4, vcc, s10, v2
	v_addc_co_u32_e32 v5, vcc, v1, v3, vcc
	global_load_dword v1, v[4:5], off
	v_mov_b32_e32 v5, s9
	v_add_co_u32_e32 v4, vcc, s8, v2
	v_addc_co_u32_e32 v5, vcc, v5, v3, vcc
	global_load_dword v6, v[4:5], off
	;; [unrolled: 4-line block ×4, first 2 shown]
	s_load_dwordx4 s[16:19], s[4:5], 0x98
	s_load_dwordx8 s[24:31], s[4:5], 0x68
	s_load_dword s62, s[4:5], 0x30
	s_load_dwordx2 s[36:37], s[4:5], 0x58
	s_load_dword s63, s[4:5], 0x60
	s_load_dwordx2 s[38:39], s[4:5], 0x88
	s_load_dword s64, s[4:5], 0x90
	v_mov_b32_e32 v7, s13
	v_mov_b32_e32 v8, s15
	s_movk_i32 s66, 0x1f8
	v_cmp_gt_u32_e64 s[0:1], s65, v0
	s_waitcnt lgkmcnt(0)
	s_sub_i32 s67, 0, s63
	s_sub_i32 s68, 0, s64
	s_waitcnt vmcnt(2)
	v_subrev_u32_e32 v2, s63, v6
	v_sub_u32_e32 v1, v1, v6
	v_cmp_lt_i32_e64 s[4:5], 0, v1
	s_waitcnt vmcnt(1)
	v_subrev_u32_e32 v22, s62, v4
	s_waitcnt vmcnt(0)
	v_subrev_u32_e32 v23, s62, v3
	v_cmp_lt_i32_e64 s[2:3], v4, v3
	v_ashrrev_i32_e32 v3, 31, v2
	v_lshlrev_b64 v[4:5], 2, v[2:3]
	v_add_co_u32_e32 v3, vcc, s12, v4
	v_addc_co_u32_e32 v24, vcc, v7, v5, vcc
	v_add_co_u32_e32 v25, vcc, s14, v4
	v_addc_co_u32_e32 v26, vcc, v8, v5, vcc
	v_mov_b32_e32 v5, 0
	s_branch .LBB0_3
.LBB0_2:                                ;   in Loop: Header=BB0_3 Depth=1
	s_or_b64 exec, exec, s[40:41]
	s_add_i32 s33, s33, 1
	s_cmp_eq_u32 s33, s34
	s_cbranch_scc1 .LBB0_66
.LBB0_3:                                ; =>This Loop Header: Depth=1
                                        ;     Child Loop BB0_6 Depth 2
                                        ;       Child Loop BB0_10 Depth 3
                                        ;       Child Loop BB0_28 Depth 3
	;; [unrolled: 1-line block ×3, first 2 shown]
                                        ;     Child Loop BB0_49 Depth 2
                                        ;       Child Loop BB0_53 Depth 3
                                        ;       Child Loop BB0_57 Depth 3
	;; [unrolled: 1-line block ×4, first 2 shown]
	s_and_saveexec_b64 s[40:41], s[2:3]
	s_cbranch_execz .LBB0_45
; %bb.4:                                ;   in Loop: Header=BB0_3 Depth=1
	s_mov_b64 s[42:43], 0
	v_mov_b32_e32 v6, v22
	s_branch .LBB0_6
.LBB0_5:                                ;   in Loop: Header=BB0_6 Depth=2
	s_or_b64 exec, exec, s[44:45]
	v_add_u32_e32 v6, 1, v6
	v_cmp_ge_i32_e32 vcc, v6, v23
	s_or_b64 s[42:43], vcc, s[42:43]
	s_andn2_b64 exec, exec, s[42:43]
	s_cbranch_execz .LBB0_45
.LBB0_6:                                ;   Parent Loop BB0_3 Depth=1
                                        ; =>  This Loop Header: Depth=2
                                        ;       Child Loop BB0_10 Depth 3
                                        ;       Child Loop BB0_28 Depth 3
	;; [unrolled: 1-line block ×3, first 2 shown]
	v_ashrrev_i32_e32 v7, 31, v6
	v_lshlrev_b64 v[16:17], 2, v[6:7]
	v_mov_b32_e32 v4, s21
	v_add_co_u32_e32 v8, vcc, s20, v16
	v_addc_co_u32_e32 v9, vcc, v4, v17, vcc
	global_load_dword v4, v[8:9], off
	v_mov_b32_e32 v7, s25
	v_mov_b32_e32 v13, s27
	s_waitcnt vmcnt(0)
	v_subrev_u32_e32 v8, s62, v4
	v_ashrrev_i32_e32 v9, 31, v8
	v_lshlrev_b64 v[14:15], 2, v[8:9]
	v_add_co_u32_e32 v10, vcc, s24, v14
	v_addc_co_u32_e32 v11, vcc, v7, v15, vcc
	v_add_co_u32_e32 v12, vcc, s26, v14
	v_addc_co_u32_e32 v13, vcc, v13, v15, vcc
	global_load_dword v4, v[10:11], off
	global_load_dword v9, v[12:13], off
	v_mov_b32_e32 v7, 0
	v_mov_b32_e32 v12, 0
	s_waitcnt vmcnt(1)
	v_subrev_u32_e32 v10, s64, v4
	s_waitcnt vmcnt(0)
	v_sub_u32_e32 v27, v9, v4
	v_mov_b32_e32 v4, 0
	s_and_saveexec_b64 s[6:7], s[4:5]
	s_cbranch_execz .LBB0_14
; %bb.7:                                ;   in Loop: Header=BB0_6 Depth=2
	v_ashrrev_i32_e32 v11, 31, v10
	v_lshlrev_b64 v[12:13], 2, v[10:11]
	v_mov_b32_e32 v4, s29
	v_add_co_u32_e32 v9, vcc, s28, v12
	v_addc_co_u32_e32 v11, vcc, v4, v13, vcc
	v_mov_b32_e32 v4, s31
	v_add_co_u32_e32 v28, vcc, s30, v12
	v_addc_co_u32_e32 v29, vcc, v4, v13, vcc
	v_mov_b32_e32 v4, 0
	s_mov_b64 s[44:45], 0
	v_mov_b32_e32 v7, 0
	v_mov_b32_e32 v12, v4
                                        ; implicit-def: $sgpr46_sgpr47
	s_branch .LBB0_10
.LBB0_8:                                ;   in Loop: Header=BB0_10 Depth=3
	s_or_b64 exec, exec, s[50:51]
	v_cmp_le_i32_e32 vcc, v13, v30
	v_addc_co_u32_e32 v4, vcc, 0, v4, vcc
	v_cmp_ge_i32_e32 vcc, v13, v30
	v_addc_co_u32_e32 v12, vcc, 0, v12, vcc
	v_cmp_ge_i32_e32 vcc, v4, v1
	s_andn2_b64 s[46:47], s[46:47], exec
	s_and_b64 s[50:51], vcc, exec
	s_or_b64 s[46:47], s[46:47], s[50:51]
.LBB0_9:                                ;   in Loop: Header=BB0_10 Depth=3
	s_or_b64 exec, exec, s[48:49]
	s_and_b64 s[48:49], exec, s[46:47]
	s_or_b64 s[44:45], s[48:49], s[44:45]
	s_andn2_b64 exec, exec, s[44:45]
	s_cbranch_execz .LBB0_13
.LBB0_10:                               ;   Parent Loop BB0_3 Depth=1
                                        ;     Parent Loop BB0_6 Depth=2
                                        ; =>    This Inner Loop Header: Depth=3
	v_cmp_lt_i32_e32 vcc, v12, v27
	s_or_b64 s[46:47], s[46:47], exec
	s_and_saveexec_b64 s[48:49], vcc
	s_cbranch_execz .LBB0_9
; %bb.11:                               ;   in Loop: Header=BB0_10 Depth=3
	v_lshlrev_b64 v[18:19], 2, v[4:5]
	v_add_co_u32_e32 v20, vcc, v3, v18
	v_addc_co_u32_e32 v21, vcc, v24, v19, vcc
	v_mov_b32_e32 v13, v5
	global_load_dword v32, v[20:21], off
	v_lshlrev_b64 v[20:21], 2, v[12:13]
	v_add_co_u32_e32 v30, vcc, v9, v20
	v_addc_co_u32_e32 v31, vcc, v11, v21, vcc
	global_load_dword v30, v[30:31], off
	s_waitcnt vmcnt(1)
	v_subrev_u32_e32 v13, s63, v32
	s_waitcnt vmcnt(0)
	v_subrev_u32_e32 v30, s64, v30
	v_cmp_eq_u32_e32 vcc, v13, v30
	s_and_saveexec_b64 s[50:51], vcc
	s_cbranch_execz .LBB0_8
; %bb.12:                               ;   in Loop: Header=BB0_10 Depth=3
	v_add_co_u32_e32 v18, vcc, v25, v18
	v_addc_co_u32_e32 v19, vcc, v26, v19, vcc
	v_add_co_u32_e32 v20, vcc, v28, v20
	v_addc_co_u32_e32 v21, vcc, v29, v21, vcc
	global_load_dword v18, v[18:19], off
	s_nop 0
	global_load_dword v19, v[20:21], off
	s_waitcnt vmcnt(0)
	v_fmac_f32_e32 v7, v18, v19
	s_branch .LBB0_8
.LBB0_13:                               ;   in Loop: Header=BB0_6 Depth=2
	s_or_b64 exec, exec, s[44:45]
.LBB0_14:                               ;   in Loop: Header=BB0_6 Depth=2
	s_or_b64 exec, exec, s[6:7]
	v_mov_b32_e32 v9, s23
	v_add_co_u32_e32 v16, vcc, s22, v16
	v_addc_co_u32_e32 v17, vcc, v9, v17, vcc
	global_load_dword v9, v[16:17], off
	v_cmp_le_i32_e64 s[6:7], v0, v8
	v_cmp_gt_i32_e32 vcc, v0, v8
	s_waitcnt vmcnt(0)
	v_sub_f32_e32 v7, v9, v7
	s_and_saveexec_b64 s[44:45], vcc
	s_cbranch_execz .LBB0_18
; %bb.15:                               ;   in Loop: Header=BB0_6 Depth=2
	v_mov_b32_e32 v9, s17
	v_add_co_u32_e32 v16, vcc, s16, v14
	v_addc_co_u32_e32 v17, vcc, v9, v15, vcc
	global_load_dword v9, v[16:17], off
	v_mov_b32_e32 v11, 0
	s_waitcnt vmcnt(0)
	v_cmp_lg_f32_e32 vcc, 0, v9
	s_and_saveexec_b64 s[46:47], vcc
; %bb.16:                               ;   in Loop: Header=BB0_6 Depth=2
	v_div_scale_f32 v11, s[48:49], v9, v9, v7
	v_rcp_f32_e32 v13, v11
	v_div_scale_f32 v16, vcc, v7, v9, v7
	v_fma_f32 v17, -v11, v13, 1.0
	v_fmac_f32_e32 v13, v17, v13
	v_mul_f32_e32 v17, v16, v13
	v_fma_f32 v18, -v11, v17, v16
	v_fmac_f32_e32 v17, v18, v13
	v_fma_f32 v11, -v11, v17, v16
	v_div_fmas_f32 v11, v11, v13, v17
	v_div_fixup_f32 v11, v11, v9, v7
; %bb.17:                               ;   in Loop: Header=BB0_6 Depth=2
	s_or_b64 exec, exec, s[46:47]
	v_mov_b32_e32 v7, v11
.LBB0_18:                               ;   in Loop: Header=BB0_6 Depth=2
	s_or_b64 exec, exec, s[44:45]
	v_cmp_class_f32_e64 s[46:47], v7, s66
	s_and_saveexec_b64 s[44:45], s[46:47]
	s_cbranch_execz .LBB0_5
; %bb.19:                               ;   in Loop: Header=BB0_6 Depth=2
	s_mov_b64 s[46:47], 0
                                        ; implicit-def: $vgpr16_vgpr17
	s_and_saveexec_b64 s[48:49], s[6:7]
	s_xor_b64 s[6:7], exec, s[48:49]
	s_cbranch_execnz .LBB0_22
; %bb.20:                               ;   in Loop: Header=BB0_6 Depth=2
	s_andn2_saveexec_b64 s[6:7], s[6:7]
	s_cbranch_execnz .LBB0_35
.LBB0_21:                               ;   in Loop: Header=BB0_6 Depth=2
	s_or_b64 exec, exec, s[6:7]
	s_and_b64 exec, exec, s[46:47]
	s_cbranch_execz .LBB0_5
	s_branch .LBB0_44
.LBB0_22:                               ;   in Loop: Header=BB0_6 Depth=2
	v_cmp_ge_i32_e32 vcc, v0, v8
                                        ; implicit-def: $vgpr16_vgpr17
	s_and_saveexec_b64 s[48:49], vcc
	s_xor_b64 s[48:49], exec, s[48:49]
; %bb.23:                               ;   in Loop: Header=BB0_6 Depth=2
	v_mov_b32_e32 v4, s19
	v_add_co_u32_e32 v16, vcc, s18, v14
	s_mov_b64 s[46:47], exec
	v_addc_co_u32_e32 v17, vcc, v4, v15, vcc
                                        ; implicit-def: $vgpr12
                                        ; implicit-def: $vgpr27
                                        ; implicit-def: $vgpr10
; %bb.24:                               ;   in Loop: Header=BB0_6 Depth=2
	s_andn2_saveexec_b64 s[48:49], s[48:49]
	s_cbranch_execz .LBB0_34
; %bb.25:                               ;   in Loop: Header=BB0_6 Depth=2
	v_cmp_lt_i32_e32 vcc, v12, v27
	s_mov_b64 s[52:53], s[46:47]
                                        ; implicit-def: $vgpr16_vgpr17
	s_and_saveexec_b64 s[50:51], vcc
	s_cbranch_execz .LBB0_33
; %bb.26:                               ;   in Loop: Header=BB0_6 Depth=2
	s_mov_b64 s[54:55], 0
                                        ; implicit-def: $sgpr52_sgpr53
                                        ; implicit-def: $sgpr58_sgpr59
                                        ; implicit-def: $sgpr56_sgpr57
	s_branch .LBB0_28
.LBB0_27:                               ;   in Loop: Header=BB0_28 Depth=3
	s_or_b64 exec, exec, s[60:61]
	s_and_b64 s[60:61], exec, s[58:59]
	s_or_b64 s[54:55], s[60:61], s[54:55]
	s_andn2_b64 s[52:53], s[52:53], exec
	s_and_b64 s[60:61], s[56:57], exec
	s_or_b64 s[52:53], s[52:53], s[60:61]
	s_andn2_b64 exec, exec, s[54:55]
	s_cbranch_execz .LBB0_30
.LBB0_28:                               ;   Parent Loop BB0_3 Depth=1
                                        ;     Parent Loop BB0_6 Depth=2
                                        ; =>    This Inner Loop Header: Depth=3
	v_add_u32_e32 v8, v10, v12
	v_ashrrev_i32_e32 v9, 31, v8
	v_lshlrev_b64 v[8:9], 2, v[8:9]
	v_mov_b32_e32 v4, s29
	v_add_co_u32_e32 v14, vcc, s28, v8
	v_addc_co_u32_e32 v15, vcc, v4, v9, vcc
	global_load_dword v4, v[14:15], off
	s_or_b64 s[56:57], s[56:57], exec
	s_or_b64 s[58:59], s[58:59], exec
	s_waitcnt vmcnt(0)
	v_subrev_u32_e32 v4, s64, v4
	v_cmp_ne_u32_e32 vcc, v4, v0
	s_and_saveexec_b64 s[60:61], vcc
	s_cbranch_execz .LBB0_27
; %bb.29:                               ;   in Loop: Header=BB0_28 Depth=3
	v_add_u32_e32 v12, 1, v12
	v_cmp_ge_i32_e32 vcc, v12, v27
	s_andn2_b64 s[58:59], s[58:59], exec
	s_and_b64 s[70:71], vcc, exec
	s_andn2_b64 s[56:57], s[56:57], exec
	s_or_b64 s[58:59], s[58:59], s[70:71]
	s_branch .LBB0_27
.LBB0_30:                               ;   in Loop: Header=BB0_6 Depth=2
	s_or_b64 exec, exec, s[54:55]
	s_mov_b64 s[54:55], s[46:47]
                                        ; implicit-def: $vgpr16_vgpr17
	s_and_saveexec_b64 s[56:57], s[52:53]
	s_xor_b64 s[52:53], exec, s[56:57]
; %bb.31:                               ;   in Loop: Header=BB0_6 Depth=2
	v_mov_b32_e32 v4, s39
	v_add_co_u32_e32 v16, vcc, s38, v8
	v_addc_co_u32_e32 v17, vcc, v4, v9, vcc
	s_or_b64 s[54:55], s[46:47], exec
; %bb.32:                               ;   in Loop: Header=BB0_6 Depth=2
	s_or_b64 exec, exec, s[52:53]
	s_andn2_b64 s[52:53], s[46:47], exec
	s_and_b64 s[54:55], s[54:55], exec
	s_or_b64 s[52:53], s[52:53], s[54:55]
.LBB0_33:                               ;   in Loop: Header=BB0_6 Depth=2
	s_or_b64 exec, exec, s[50:51]
	s_andn2_b64 s[46:47], s[46:47], exec
	s_and_b64 s[50:51], s[52:53], exec
	s_or_b64 s[46:47], s[46:47], s[50:51]
.LBB0_34:                               ;   in Loop: Header=BB0_6 Depth=2
	s_or_b64 exec, exec, s[48:49]
	s_and_b64 s[46:47], s[46:47], exec
                                        ; implicit-def: $vgpr8_vgpr9
	s_andn2_saveexec_b64 s[6:7], s[6:7]
	s_cbranch_execz .LBB0_21
.LBB0_35:                               ;   in Loop: Header=BB0_6 Depth=2
	v_cmp_lt_i32_e32 vcc, v4, v1
	s_mov_b64 s[50:51], s[46:47]
                                        ; implicit-def: $vgpr16_vgpr17
	s_and_saveexec_b64 s[48:49], vcc
	s_cbranch_execz .LBB0_43
; %bb.36:                               ;   in Loop: Header=BB0_6 Depth=2
	s_mov_b64 s[52:53], 0
                                        ; implicit-def: $sgpr50_sgpr51
                                        ; implicit-def: $sgpr56_sgpr57
                                        ; implicit-def: $sgpr54_sgpr55
	s_branch .LBB0_38
.LBB0_37:                               ;   in Loop: Header=BB0_38 Depth=3
	s_or_b64 exec, exec, s[58:59]
	s_and_b64 s[58:59], exec, s[56:57]
	s_or_b64 s[52:53], s[58:59], s[52:53]
	s_andn2_b64 s[50:51], s[50:51], exec
	s_and_b64 s[58:59], s[54:55], exec
	s_or_b64 s[50:51], s[50:51], s[58:59]
	s_andn2_b64 exec, exec, s[52:53]
	s_cbranch_execz .LBB0_40
.LBB0_38:                               ;   Parent Loop BB0_3 Depth=1
                                        ;     Parent Loop BB0_6 Depth=2
                                        ; =>    This Inner Loop Header: Depth=3
	v_add_u32_e32 v10, v2, v4
	v_ashrrev_i32_e32 v11, 31, v10
	v_lshlrev_b64 v[10:11], 2, v[10:11]
	v_mov_b32_e32 v9, s13
	v_add_co_u32_e32 v12, vcc, s12, v10
	v_addc_co_u32_e32 v13, vcc, v9, v11, vcc
	global_load_dword v9, v[12:13], off
	s_or_b64 s[54:55], s[54:55], exec
	s_or_b64 s[56:57], s[56:57], exec
	s_waitcnt vmcnt(0)
	v_subrev_u32_e32 v9, s63, v9
	v_cmp_ne_u32_e32 vcc, v9, v8
	s_and_saveexec_b64 s[58:59], vcc
	s_cbranch_execz .LBB0_37
; %bb.39:                               ;   in Loop: Header=BB0_38 Depth=3
	v_add_u32_e32 v4, 1, v4
	v_cmp_ge_i32_e32 vcc, v4, v1
	s_andn2_b64 s[56:57], s[56:57], exec
	s_and_b64 s[60:61], vcc, exec
	s_andn2_b64 s[54:55], s[54:55], exec
	s_or_b64 s[56:57], s[56:57], s[60:61]
	s_branch .LBB0_37
.LBB0_40:                               ;   in Loop: Header=BB0_6 Depth=2
	s_or_b64 exec, exec, s[52:53]
	s_mov_b64 s[52:53], s[46:47]
                                        ; implicit-def: $vgpr16_vgpr17
	s_and_saveexec_b64 s[54:55], s[50:51]
	s_xor_b64 s[50:51], exec, s[54:55]
; %bb.41:                               ;   in Loop: Header=BB0_6 Depth=2
	v_mov_b32_e32 v4, s37
	v_add_co_u32_e32 v16, vcc, s36, v10
	v_addc_co_u32_e32 v17, vcc, v4, v11, vcc
	s_or_b64 s[52:53], s[46:47], exec
; %bb.42:                               ;   in Loop: Header=BB0_6 Depth=2
	s_or_b64 exec, exec, s[50:51]
	s_andn2_b64 s[50:51], s[46:47], exec
	s_and_b64 s[52:53], s[52:53], exec
	s_or_b64 s[50:51], s[50:51], s[52:53]
.LBB0_43:                               ;   in Loop: Header=BB0_6 Depth=2
	s_or_b64 exec, exec, s[48:49]
	s_andn2_b64 s[46:47], s[46:47], exec
	s_and_b64 s[48:49], s[50:51], exec
	s_or_b64 s[46:47], s[46:47], s[48:49]
	s_or_b64 exec, exec, s[6:7]
	s_and_b64 exec, exec, s[46:47]
	s_cbranch_execz .LBB0_5
.LBB0_44:                               ;   in Loop: Header=BB0_6 Depth=2
	global_store_dword v[16:17], v7, off
	s_branch .LBB0_5
.LBB0_45:                               ;   in Loop: Header=BB0_3 Depth=1
	s_or_b64 exec, exec, s[40:41]
	s_and_saveexec_b64 s[40:41], s[0:1]
	s_cbranch_execz .LBB0_2
; %bb.46:                               ;   in Loop: Header=BB0_3 Depth=1
	s_mov_b64 s[42:43], 0
	v_mov_b32_e32 v6, v0
	s_branch .LBB0_49
.LBB0_47:                               ;   in Loop: Header=BB0_49 Depth=2
	s_or_b64 exec, exec, s[46:47]
	v_mov_b32_e32 v4, s19
	v_add_co_u32_e32 v10, vcc, s18, v8
	v_addc_co_u32_e32 v11, vcc, v4, v9, vcc
	global_load_dword v4, v[10:11], off
	v_mov_b32_e32 v7, s17
	v_add_co_u32_e32 v8, vcc, s16, v8
	v_addc_co_u32_e32 v9, vcc, v7, v9, vcc
	s_waitcnt vmcnt(0)
	global_store_dword v[8:9], v4, off
.LBB0_48:                               ;   in Loop: Header=BB0_49 Depth=2
	s_or_b64 exec, exec, s[44:45]
	v_add_u32_e32 v6, 0x400, v6
	v_cmp_le_u32_e32 vcc, s65, v6
	s_or_b64 s[42:43], vcc, s[42:43]
	s_andn2_b64 exec, exec, s[42:43]
	s_cbranch_execz .LBB0_2
.LBB0_49:                               ;   Parent Loop BB0_3 Depth=1
                                        ; =>  This Loop Header: Depth=2
                                        ;       Child Loop BB0_53 Depth 3
                                        ;       Child Loop BB0_57 Depth 3
	;; [unrolled: 1-line block ×4, first 2 shown]
	v_cmp_gt_i32_e32 vcc, s35, v6
	s_and_saveexec_b64 s[44:45], vcc
	s_cbranch_execz .LBB0_48
; %bb.50:                               ;   in Loop: Header=BB0_49 Depth=2
	v_ashrrev_i32_e32 v7, 31, v6
	v_lshlrev_b64 v[8:9], 2, v[6:7]
	v_mov_b32_e32 v4, s9
	v_add_co_u32_e32 v10, vcc, s8, v8
	v_addc_co_u32_e32 v11, vcc, v4, v9, vcc
	global_load_dword v12, v[10:11], off
	v_mov_b32_e32 v4, s11
	v_add_co_u32_e32 v10, vcc, s10, v8
	v_addc_co_u32_e32 v11, vcc, v4, v9, vcc
	global_load_dword v4, v[10:11], off
	s_waitcnt vmcnt(0)
	v_cmp_lt_i32_e32 vcc, v12, v4
	s_and_saveexec_b64 s[46:47], vcc
	s_cbranch_execz .LBB0_58
; %bb.51:                               ;   in Loop: Header=BB0_49 Depth=2
	v_subrev_u32_e32 v10, s63, v12
	v_subrev_u32_e32 v4, s63, v4
	v_add_u32_e32 v7, 1, v10
	v_max_i32_e32 v7, v7, v4
	v_add_u32_e32 v7, s63, v7
	v_sub_u32_e32 v7, v7, v12
	v_cmp_lt_u32_e32 vcc, 1, v7
	s_mov_b64 s[6:7], -1
	s_and_saveexec_b64 s[48:49], vcc
	s_cbranch_execz .LBB0_55
; %bb.52:                               ;   in Loop: Header=BB0_49 Depth=2
	v_and_b32_e32 v11, -2, v7
	v_add_u32_e32 v12, s67, v12
	s_mov_b64 s[50:51], 0
	v_mov_b32_e32 v14, v11
.LBB0_53:                               ;   Parent Loop BB0_3 Depth=1
                                        ;     Parent Loop BB0_49 Depth=2
                                        ; =>    This Inner Loop Header: Depth=3
	v_ashrrev_i32_e32 v13, 31, v12
	v_lshlrev_b64 v[16:17], 2, v[12:13]
	v_mov_b32_e32 v13, s37
	v_add_co_u32_e32 v18, vcc, s36, v16
	v_addc_co_u32_e32 v19, vcc, v13, v17, vcc
	global_load_dwordx2 v[18:19], v[18:19], off
	v_add_u32_e32 v14, -2, v14
	v_mov_b32_e32 v13, s15
	v_cmp_eq_u32_e32 vcc, 0, v14
	v_add_co_u32_e64 v16, s[6:7], s14, v16
	v_addc_co_u32_e64 v17, s[6:7], v13, v17, s[6:7]
	s_or_b64 s[50:51], vcc, s[50:51]
	v_add_u32_e32 v12, 2, v12
	s_waitcnt vmcnt(0)
	global_store_dwordx2 v[16:17], v[18:19], off
	s_andn2_b64 exec, exec, s[50:51]
	s_cbranch_execnz .LBB0_53
; %bb.54:                               ;   in Loop: Header=BB0_49 Depth=2
	s_or_b64 exec, exec, s[50:51]
	v_cmp_ne_u32_e32 vcc, v7, v11
	v_add_u32_e32 v10, v10, v11
	s_orn2_b64 s[6:7], vcc, exec
.LBB0_55:                               ;   in Loop: Header=BB0_49 Depth=2
	s_or_b64 exec, exec, s[48:49]
	s_and_b64 exec, exec, s[6:7]
	s_cbranch_execz .LBB0_58
; %bb.56:                               ;   in Loop: Header=BB0_49 Depth=2
	v_ashrrev_i32_e32 v11, 31, v10
	v_lshlrev_b64 v[14:15], 2, v[10:11]
	v_mov_b32_e32 v7, s37
	v_add_co_u32_e32 v12, vcc, s36, v14
	v_addc_co_u32_e32 v13, vcc, v7, v15, vcc
	v_mov_b32_e32 v7, s15
	v_add_co_u32_e32 v14, vcc, s14, v14
	v_addc_co_u32_e32 v15, vcc, v7, v15, vcc
	s_mov_b64 s[6:7], 0
.LBB0_57:                               ;   Parent Loop BB0_3 Depth=1
                                        ;     Parent Loop BB0_49 Depth=2
                                        ; =>    This Inner Loop Header: Depth=3
	global_load_dword v7, v[12:13], off
	v_add_co_u32_e32 v12, vcc, 4, v12
	v_add_u32_e32 v10, 1, v10
	v_addc_co_u32_e32 v13, vcc, 0, v13, vcc
	v_cmp_ge_i32_e32 vcc, v10, v4
	s_or_b64 s[6:7], vcc, s[6:7]
	s_waitcnt vmcnt(0)
	global_store_dword v[14:15], v7, off
	v_add_co_u32_e32 v14, vcc, 4, v14
	v_addc_co_u32_e32 v15, vcc, 0, v15, vcc
	s_andn2_b64 exec, exec, s[6:7]
	s_cbranch_execnz .LBB0_57
.LBB0_58:                               ;   in Loop: Header=BB0_49 Depth=2
	s_or_b64 exec, exec, s[46:47]
	v_mov_b32_e32 v4, s25
	v_add_co_u32_e32 v10, vcc, s24, v8
	v_addc_co_u32_e32 v11, vcc, v4, v9, vcc
	global_load_dword v12, v[10:11], off
	v_mov_b32_e32 v4, s27
	v_add_co_u32_e32 v10, vcc, s26, v8
	v_addc_co_u32_e32 v11, vcc, v4, v9, vcc
	global_load_dword v4, v[10:11], off
	s_waitcnt vmcnt(0)
	v_cmp_lt_i32_e32 vcc, v12, v4
	s_and_saveexec_b64 s[46:47], vcc
	s_cbranch_execz .LBB0_47
; %bb.59:                               ;   in Loop: Header=BB0_49 Depth=2
	v_subrev_u32_e32 v10, s64, v12
	v_subrev_u32_e32 v4, s64, v4
	v_add_u32_e32 v7, 1, v10
	v_max_i32_e32 v7, v7, v4
	v_add_u32_e32 v7, s64, v7
	v_sub_u32_e32 v7, v7, v12
	v_cmp_lt_u32_e32 vcc, 1, v7
	s_mov_b64 s[6:7], -1
	s_and_saveexec_b64 s[48:49], vcc
	s_cbranch_execz .LBB0_63
; %bb.60:                               ;   in Loop: Header=BB0_49 Depth=2
	v_and_b32_e32 v11, -2, v7
	v_add_u32_e32 v12, s68, v12
	s_mov_b64 s[50:51], 0
	v_mov_b32_e32 v14, v11
.LBB0_61:                               ;   Parent Loop BB0_3 Depth=1
                                        ;     Parent Loop BB0_49 Depth=2
                                        ; =>    This Inner Loop Header: Depth=3
	v_ashrrev_i32_e32 v13, 31, v12
	v_lshlrev_b64 v[16:17], 2, v[12:13]
	v_mov_b32_e32 v13, s39
	v_add_co_u32_e32 v18, vcc, s38, v16
	v_addc_co_u32_e32 v19, vcc, v13, v17, vcc
	global_load_dwordx2 v[18:19], v[18:19], off
	v_add_u32_e32 v14, -2, v14
	v_mov_b32_e32 v13, s31
	v_cmp_eq_u32_e32 vcc, 0, v14
	v_add_co_u32_e64 v16, s[6:7], s30, v16
	v_addc_co_u32_e64 v17, s[6:7], v13, v17, s[6:7]
	s_or_b64 s[50:51], vcc, s[50:51]
	v_add_u32_e32 v12, 2, v12
	s_waitcnt vmcnt(0)
	global_store_dwordx2 v[16:17], v[18:19], off
	s_andn2_b64 exec, exec, s[50:51]
	s_cbranch_execnz .LBB0_61
; %bb.62:                               ;   in Loop: Header=BB0_49 Depth=2
	s_or_b64 exec, exec, s[50:51]
	v_cmp_ne_u32_e32 vcc, v7, v11
	v_add_u32_e32 v10, v10, v11
	s_orn2_b64 s[6:7], vcc, exec
.LBB0_63:                               ;   in Loop: Header=BB0_49 Depth=2
	s_or_b64 exec, exec, s[48:49]
	s_and_b64 exec, exec, s[6:7]
	s_cbranch_execz .LBB0_47
; %bb.64:                               ;   in Loop: Header=BB0_49 Depth=2
	v_ashrrev_i32_e32 v11, 31, v10
	v_lshlrev_b64 v[14:15], 2, v[10:11]
	v_mov_b32_e32 v7, s39
	v_add_co_u32_e32 v12, vcc, s38, v14
	v_addc_co_u32_e32 v13, vcc, v7, v15, vcc
	v_mov_b32_e32 v7, s31
	v_add_co_u32_e32 v14, vcc, s30, v14
	v_addc_co_u32_e32 v15, vcc, v7, v15, vcc
	s_mov_b64 s[6:7], 0
.LBB0_65:                               ;   Parent Loop BB0_3 Depth=1
                                        ;     Parent Loop BB0_49 Depth=2
                                        ; =>    This Inner Loop Header: Depth=3
	global_load_dword v7, v[12:13], off
	v_add_co_u32_e32 v12, vcc, 4, v12
	v_add_u32_e32 v10, 1, v10
	v_addc_co_u32_e32 v13, vcc, 0, v13, vcc
	v_cmp_ge_i32_e32 vcc, v10, v4
	s_or_b64 s[6:7], vcc, s[6:7]
	s_waitcnt vmcnt(0)
	global_store_dword v[14:15], v7, off
	v_add_co_u32_e32 v14, vcc, 4, v14
	v_addc_co_u32_e32 v15, vcc, 0, v15, vcc
	s_andn2_b64 exec, exec, s[6:7]
	s_cbranch_execnz .LBB0_65
	s_branch .LBB0_47
.LBB0_66:
	s_endpgm
	.section	.rodata,"a",@progbits
	.p2align	6, 0x0
	.amdhsa_kernel _ZN9rocsparseL14kernel_freerunILi1024ELi1EfiiEEvT3_S1_T2_PKS2_S4_PKS1_PKT1_21rocsparse_index_base_S4_S4_S6_PS7_SB_SA_S4_S4_S6_SB_SB_SA_SB_SB_
		.amdhsa_group_segment_fixed_size 0
		.amdhsa_private_segment_fixed_size 0
		.amdhsa_kernarg_size 168
		.amdhsa_user_sgpr_count 6
		.amdhsa_user_sgpr_private_segment_buffer 1
		.amdhsa_user_sgpr_dispatch_ptr 0
		.amdhsa_user_sgpr_queue_ptr 0
		.amdhsa_user_sgpr_kernarg_segment_ptr 1
		.amdhsa_user_sgpr_dispatch_id 0
		.amdhsa_user_sgpr_flat_scratch_init 0
		.amdhsa_user_sgpr_kernarg_preload_length 0
		.amdhsa_user_sgpr_kernarg_preload_offset 0
		.amdhsa_user_sgpr_private_segment_size 0
		.amdhsa_uses_dynamic_stack 0
		.amdhsa_system_sgpr_private_segment_wavefront_offset 0
		.amdhsa_system_sgpr_workgroup_id_x 1
		.amdhsa_system_sgpr_workgroup_id_y 0
		.amdhsa_system_sgpr_workgroup_id_z 0
		.amdhsa_system_sgpr_workgroup_info 0
		.amdhsa_system_vgpr_workitem_id 0
		.amdhsa_next_free_vgpr 33
		.amdhsa_next_free_sgpr 72
		.amdhsa_accum_offset 36
		.amdhsa_reserve_vcc 1
		.amdhsa_reserve_flat_scratch 0
		.amdhsa_float_round_mode_32 0
		.amdhsa_float_round_mode_16_64 0
		.amdhsa_float_denorm_mode_32 3
		.amdhsa_float_denorm_mode_16_64 3
		.amdhsa_dx10_clamp 1
		.amdhsa_ieee_mode 1
		.amdhsa_fp16_overflow 0
		.amdhsa_tg_split 0
		.amdhsa_exception_fp_ieee_invalid_op 0
		.amdhsa_exception_fp_denorm_src 0
		.amdhsa_exception_fp_ieee_div_zero 0
		.amdhsa_exception_fp_ieee_overflow 0
		.amdhsa_exception_fp_ieee_underflow 0
		.amdhsa_exception_fp_ieee_inexact 0
		.amdhsa_exception_int_div_zero 0
	.end_amdhsa_kernel
	.section	.text._ZN9rocsparseL14kernel_freerunILi1024ELi1EfiiEEvT3_S1_T2_PKS2_S4_PKS1_PKT1_21rocsparse_index_base_S4_S4_S6_PS7_SB_SA_S4_S4_S6_SB_SB_SA_SB_SB_,"axG",@progbits,_ZN9rocsparseL14kernel_freerunILi1024ELi1EfiiEEvT3_S1_T2_PKS2_S4_PKS1_PKT1_21rocsparse_index_base_S4_S4_S6_PS7_SB_SA_S4_S4_S6_SB_SB_SA_SB_SB_,comdat
.Lfunc_end0:
	.size	_ZN9rocsparseL14kernel_freerunILi1024ELi1EfiiEEvT3_S1_T2_PKS2_S4_PKS1_PKT1_21rocsparse_index_base_S4_S4_S6_PS7_SB_SA_S4_S4_S6_SB_SB_SA_SB_SB_, .Lfunc_end0-_ZN9rocsparseL14kernel_freerunILi1024ELi1EfiiEEvT3_S1_T2_PKS2_S4_PKS1_PKT1_21rocsparse_index_base_S4_S4_S6_PS7_SB_SA_S4_S4_S6_SB_SB_SA_SB_SB_
                                        ; -- End function
	.section	.AMDGPU.csdata,"",@progbits
; Kernel info:
; codeLenInByte = 2292
; NumSgprs: 76
; NumVgprs: 33
; NumAgprs: 0
; TotalNumVgprs: 33
; ScratchSize: 0
; MemoryBound: 0
; FloatMode: 240
; IeeeMode: 1
; LDSByteSize: 0 bytes/workgroup (compile time only)
; SGPRBlocks: 9
; VGPRBlocks: 4
; NumSGPRsForWavesPerEU: 76
; NumVGPRsForWavesPerEU: 33
; AccumOffset: 36
; Occupancy: 8
; WaveLimiterHint : 1
; COMPUTE_PGM_RSRC2:SCRATCH_EN: 0
; COMPUTE_PGM_RSRC2:USER_SGPR: 6
; COMPUTE_PGM_RSRC2:TRAP_HANDLER: 0
; COMPUTE_PGM_RSRC2:TGID_X_EN: 1
; COMPUTE_PGM_RSRC2:TGID_Y_EN: 0
; COMPUTE_PGM_RSRC2:TGID_Z_EN: 0
; COMPUTE_PGM_RSRC2:TIDIG_COMP_CNT: 0
; COMPUTE_PGM_RSRC3_GFX90A:ACCUM_OFFSET: 8
; COMPUTE_PGM_RSRC3_GFX90A:TG_SPLIT: 0
	.section	.text._ZN9rocsparseL14kernel_freerunILi1024ELi2EfiiEEvT3_S1_T2_PKS2_S4_PKS1_PKT1_21rocsparse_index_base_S4_S4_S6_PS7_SB_SA_S4_S4_S6_SB_SB_SA_SB_SB_,"axG",@progbits,_ZN9rocsparseL14kernel_freerunILi1024ELi2EfiiEEvT3_S1_T2_PKS2_S4_PKS1_PKT1_21rocsparse_index_base_S4_S4_S6_PS7_SB_SA_S4_S4_S6_SB_SB_SA_SB_SB_,comdat
	.globl	_ZN9rocsparseL14kernel_freerunILi1024ELi2EfiiEEvT3_S1_T2_PKS2_S4_PKS1_PKT1_21rocsparse_index_base_S4_S4_S6_PS7_SB_SA_S4_S4_S6_SB_SB_SA_SB_SB_ ; -- Begin function _ZN9rocsparseL14kernel_freerunILi1024ELi2EfiiEEvT3_S1_T2_PKS2_S4_PKS1_PKT1_21rocsparse_index_base_S4_S4_S6_PS7_SB_SA_S4_S4_S6_SB_SB_SA_SB_SB_
	.p2align	8
	.type	_ZN9rocsparseL14kernel_freerunILi1024ELi2EfiiEEvT3_S1_T2_PKS2_S4_PKS1_PKT1_21rocsparse_index_base_S4_S4_S6_PS7_SB_SA_S4_S4_S6_SB_SB_SA_SB_SB_,@function
_ZN9rocsparseL14kernel_freerunILi1024ELi2EfiiEEvT3_S1_T2_PKS2_S4_PKS1_PKT1_21rocsparse_index_base_S4_S4_S6_PS7_SB_SA_S4_S4_S6_SB_SB_SA_SB_SB_: ; @_ZN9rocsparseL14kernel_freerunILi1024ELi2EfiiEEvT3_S1_T2_PKS2_S4_PKS1_PKT1_21rocsparse_index_base_S4_S4_S6_PS7_SB_SA_S4_S4_S6_SB_SB_SA_SB_SB_
; %bb.0:
	s_load_dwordx2 s[14:15], s[4:5], 0x0
	v_lshrrev_b32_e32 v1, 1, v0
	s_lshl_b32 s71, s6, 10
	v_or_b32_e32 v2, s71, v1
	s_mov_b32 s33, 0
	s_waitcnt lgkmcnt(0)
	s_cmp_gt_i32 s14, 0
	v_cmp_gt_i32_e32 vcc, s15, v2
	s_cselect_b64 s[0:1], -1, 0
	s_and_b64 s[0:1], vcc, s[0:1]
	s_and_saveexec_b64 s[2:3], s[0:1]
	s_cbranch_execz .LBB1_110
; %bb.1:
	s_load_dwordx8 s[16:23], s[4:5], 0x38
	s_load_dwordx8 s[24:31], s[4:5], 0x10
	v_ashrrev_i32_e32 v3, 31, v2
	v_lshlrev_b64 v[10:11], 2, v[2:3]
	v_and_b32_e32 v0, 1, v0
	s_waitcnt lgkmcnt(0)
	v_mov_b32_e32 v1, s19
	v_add_co_u32_e32 v4, vcc, s18, v10
	v_addc_co_u32_e32 v5, vcc, v1, v11, vcc
	v_mov_b32_e32 v3, s17
	v_add_co_u32_e32 v6, vcc, s16, v10
	v_addc_co_u32_e32 v7, vcc, v3, v11, vcc
	global_load_dword v12, v[6:7], off
	v_mov_b32_e32 v3, s25
	v_add_co_u32_e32 v8, vcc, s24, v10
	global_load_dword v1, v[4:5], off
	v_addc_co_u32_e32 v9, vcc, v3, v11, vcc
	global_load_dword v13, v[8:9], off
	v_mov_b32_e32 v3, s27
	v_add_co_u32_e32 v10, vcc, s26, v10
	v_addc_co_u32_e32 v11, vcc, v3, v11, vcc
	global_load_dword v14, v[10:11], off
	s_load_dwordx4 s[24:27], s[4:5], 0x98
	s_load_dwordx8 s[36:43], s[4:5], 0x68
	s_load_dword s68, s[4:5], 0x30
	s_load_dwordx2 s[34:35], s[4:5], 0x58
	s_load_dword s69, s[4:5], 0x60
	s_load_dwordx2 s[44:45], s[4:5], 0x88
	s_load_dword s70, s[4:5], 0x90
	v_cmp_eq_u32_e64 s[2:3], 0, v0
	v_not_b32_e32 v15, v0
	v_or_b32_e32 v16, 2, v0
	s_waitcnt lgkmcnt(0)
	v_subrev_u32_e32 v32, s68, v0
	v_subrev_u32_e32 v33, s69, v0
	;; [unrolled: 1-line block ×3, first 2 shown]
	v_mov_b32_e32 v17, s21
	s_addk_i32 s71, 0x400
	v_or_b32_e32 v3, 0x200, v2
	v_mov_b32_e32 v18, s23
	s_movk_i32 s72, 0x1f8
	v_cmp_gt_u32_e64 s[0:1], s71, v2
	v_cmp_gt_i32_e64 s[4:5], s15, v3
	v_add_u32_e32 v35, s70, v15
	v_subrev_u32_e32 v36, s70, v16
	v_add_u32_e32 v37, s69, v15
	v_subrev_u32_e32 v38, s69, v16
	s_waitcnt vmcnt(3)
	v_subrev_u32_e32 v0, s69, v12
	s_waitcnt vmcnt(2)
	v_sub_u32_e32 v39, v1, v12
	v_ashrrev_i32_e32 v1, 31, v0
	v_cmp_lt_i32_e64 s[8:9], 0, v39
	s_waitcnt vmcnt(1)
	v_add_u32_e32 v40, v32, v13
	v_lshlrev_b64 v[12:13], 2, v[0:1]
	v_add_co_u32_e32 v1, vcc, s20, v12
	v_addc_co_u32_e32 v42, vcc, v17, v13, vcc
	s_waitcnt vmcnt(0)
	v_subrev_u32_e32 v41, s68, v14
	v_add_co_u32_e32 v43, vcc, s22, v12
	v_cmp_lt_i32_e64 s[6:7], v40, v41
	v_addc_co_u32_e32 v44, vcc, v18, v13, vcc
	v_mov_b32_e32 v13, 0
	s_branch .LBB1_3
.LBB1_2:                                ;   in Loop: Header=BB1_3 Depth=1
	s_or_b64 exec, exec, s[12:13]
	s_add_i32 s33, s33, 1
	s_cmp_eq_u32 s33, s14
	s_cbranch_scc1 .LBB1_110
.LBB1_3:                                ; =>This Loop Header: Depth=1
                                        ;     Child Loop BB1_6 Depth 2
                                        ;       Child Loop BB1_10 Depth 3
                                        ;       Child Loop BB1_28 Depth 3
                                        ;       Child Loop BB1_38 Depth 3
                                        ;     Child Loop BB1_49 Depth 2
                                        ;       Child Loop BB1_53 Depth 3
                                        ;       Child Loop BB1_71 Depth 3
                                        ;       Child Loop BB1_81 Depth 3
	;; [unrolled: 4-line block ×3, first 2 shown]
                                        ;       Child Loop BB1_107 Depth 3
	s_and_saveexec_b64 s[12:13], s[6:7]
	s_cbranch_execz .LBB1_45
; %bb.4:                                ;   in Loop: Header=BB1_3 Depth=1
	s_mov_b64 s[46:47], 0
	v_mov_b32_e32 v14, v40
	s_branch .LBB1_6
.LBB1_5:                                ;   in Loop: Header=BB1_6 Depth=2
	s_or_b64 exec, exec, s[48:49]
	v_add_u32_e32 v14, 2, v14
	v_cmp_ge_i32_e32 vcc, v14, v41
	s_or_b64 s[46:47], vcc, s[46:47]
	s_andn2_b64 exec, exec, s[46:47]
	s_cbranch_execz .LBB1_45
.LBB1_6:                                ;   Parent Loop BB1_3 Depth=1
                                        ; =>  This Loop Header: Depth=2
                                        ;       Child Loop BB1_10 Depth 3
                                        ;       Child Loop BB1_28 Depth 3
	;; [unrolled: 1-line block ×3, first 2 shown]
	v_ashrrev_i32_e32 v15, 31, v14
	v_lshlrev_b64 v[24:25], 2, v[14:15]
	v_mov_b32_e32 v12, s29
	v_add_co_u32_e32 v16, vcc, s28, v24
	v_addc_co_u32_e32 v17, vcc, v12, v25, vcc
	global_load_dword v12, v[16:17], off
	v_mov_b32_e32 v15, s37
	v_mov_b32_e32 v21, s39
	s_waitcnt vmcnt(0)
	v_subrev_u32_e32 v16, s68, v12
	v_ashrrev_i32_e32 v17, 31, v16
	v_lshlrev_b64 v[22:23], 2, v[16:17]
	v_add_co_u32_e32 v18, vcc, s36, v22
	v_addc_co_u32_e32 v19, vcc, v15, v23, vcc
	v_add_co_u32_e32 v20, vcc, s38, v22
	v_addc_co_u32_e32 v21, vcc, v21, v23, vcc
	global_load_dword v12, v[18:19], off
	global_load_dword v17, v[20:21], off
	v_mov_b32_e32 v15, 0
	v_mov_b32_e32 v20, 0
	s_waitcnt vmcnt(1)
	v_subrev_u32_e32 v18, s70, v12
	s_waitcnt vmcnt(0)
	v_sub_u32_e32 v30, v17, v12
	v_mov_b32_e32 v12, 0
	s_and_saveexec_b64 s[10:11], s[8:9]
	s_cbranch_execz .LBB1_14
; %bb.7:                                ;   in Loop: Header=BB1_6 Depth=2
	v_ashrrev_i32_e32 v19, 31, v18
	v_lshlrev_b64 v[20:21], 2, v[18:19]
	v_mov_b32_e32 v12, s41
	v_add_co_u32_e32 v17, vcc, s40, v20
	v_addc_co_u32_e32 v19, vcc, v12, v21, vcc
	v_mov_b32_e32 v12, s43
	v_add_co_u32_e32 v31, vcc, s42, v20
	v_addc_co_u32_e32 v45, vcc, v12, v21, vcc
	v_mov_b32_e32 v12, 0
	s_mov_b64 s[48:49], 0
	v_mov_b32_e32 v15, 0
	v_mov_b32_e32 v20, v12
                                        ; implicit-def: $sgpr50_sgpr51
	s_branch .LBB1_10
.LBB1_8:                                ;   in Loop: Header=BB1_10 Depth=3
	s_or_b64 exec, exec, s[54:55]
	v_cmp_le_i32_e32 vcc, v21, v46
	v_addc_co_u32_e32 v12, vcc, 0, v12, vcc
	v_cmp_ge_i32_e32 vcc, v21, v46
	v_addc_co_u32_e32 v20, vcc, 0, v20, vcc
	v_cmp_ge_i32_e32 vcc, v12, v39
	s_andn2_b64 s[50:51], s[50:51], exec
	s_and_b64 s[54:55], vcc, exec
	s_or_b64 s[50:51], s[50:51], s[54:55]
.LBB1_9:                                ;   in Loop: Header=BB1_10 Depth=3
	s_or_b64 exec, exec, s[52:53]
	s_and_b64 s[52:53], exec, s[50:51]
	s_or_b64 s[48:49], s[52:53], s[48:49]
	s_andn2_b64 exec, exec, s[48:49]
	s_cbranch_execz .LBB1_13
.LBB1_10:                               ;   Parent Loop BB1_3 Depth=1
                                        ;     Parent Loop BB1_6 Depth=2
                                        ; =>    This Inner Loop Header: Depth=3
	v_cmp_lt_i32_e32 vcc, v20, v30
	s_or_b64 s[50:51], s[50:51], exec
	s_and_saveexec_b64 s[52:53], vcc
	s_cbranch_execz .LBB1_9
; %bb.11:                               ;   in Loop: Header=BB1_10 Depth=3
	v_lshlrev_b64 v[26:27], 2, v[12:13]
	v_add_co_u32_e32 v28, vcc, v1, v26
	v_addc_co_u32_e32 v29, vcc, v42, v27, vcc
	v_mov_b32_e32 v21, v13
	global_load_dword v48, v[28:29], off
	v_lshlrev_b64 v[28:29], 2, v[20:21]
	v_add_co_u32_e32 v46, vcc, v17, v28
	v_addc_co_u32_e32 v47, vcc, v19, v29, vcc
	global_load_dword v46, v[46:47], off
	s_waitcnt vmcnt(1)
	v_subrev_u32_e32 v21, s69, v48
	s_waitcnt vmcnt(0)
	v_subrev_u32_e32 v46, s70, v46
	v_cmp_eq_u32_e32 vcc, v21, v46
	s_and_saveexec_b64 s[54:55], vcc
	s_cbranch_execz .LBB1_8
; %bb.12:                               ;   in Loop: Header=BB1_10 Depth=3
	v_add_co_u32_e32 v26, vcc, v43, v26
	v_addc_co_u32_e32 v27, vcc, v44, v27, vcc
	v_add_co_u32_e32 v28, vcc, v31, v28
	v_addc_co_u32_e32 v29, vcc, v45, v29, vcc
	global_load_dword v26, v[26:27], off
	s_nop 0
	global_load_dword v27, v[28:29], off
	s_waitcnt vmcnt(0)
	v_fmac_f32_e32 v15, v26, v27
	s_branch .LBB1_8
.LBB1_13:                               ;   in Loop: Header=BB1_6 Depth=2
	s_or_b64 exec, exec, s[48:49]
.LBB1_14:                               ;   in Loop: Header=BB1_6 Depth=2
	s_or_b64 exec, exec, s[10:11]
	v_mov_b32_e32 v17, s31
	v_add_co_u32_e32 v24, vcc, s30, v24
	v_addc_co_u32_e32 v25, vcc, v17, v25, vcc
	global_load_dword v17, v[24:25], off
	v_cmp_le_i32_e64 s[10:11], v2, v16
	v_cmp_gt_i32_e32 vcc, v2, v16
	s_waitcnt vmcnt(0)
	v_sub_f32_e32 v15, v17, v15
	s_and_saveexec_b64 s[48:49], vcc
	s_cbranch_execz .LBB1_18
; %bb.15:                               ;   in Loop: Header=BB1_6 Depth=2
	v_mov_b32_e32 v17, s25
	v_add_co_u32_e32 v24, vcc, s24, v22
	v_addc_co_u32_e32 v25, vcc, v17, v23, vcc
	global_load_dword v17, v[24:25], off
	v_mov_b32_e32 v19, 0
	s_waitcnt vmcnt(0)
	v_cmp_lg_f32_e32 vcc, 0, v17
	s_and_saveexec_b64 s[50:51], vcc
; %bb.16:                               ;   in Loop: Header=BB1_6 Depth=2
	v_div_scale_f32 v19, s[52:53], v17, v17, v15
	v_rcp_f32_e32 v21, v19
	v_div_scale_f32 v24, vcc, v15, v17, v15
	v_fma_f32 v25, -v19, v21, 1.0
	v_fmac_f32_e32 v21, v25, v21
	v_mul_f32_e32 v25, v24, v21
	v_fma_f32 v26, -v19, v25, v24
	v_fmac_f32_e32 v25, v26, v21
	v_fma_f32 v19, -v19, v25, v24
	v_div_fmas_f32 v19, v19, v21, v25
	v_div_fixup_f32 v19, v19, v17, v15
; %bb.17:                               ;   in Loop: Header=BB1_6 Depth=2
	s_or_b64 exec, exec, s[50:51]
	v_mov_b32_e32 v15, v19
.LBB1_18:                               ;   in Loop: Header=BB1_6 Depth=2
	s_or_b64 exec, exec, s[48:49]
	v_cmp_class_f32_e64 s[50:51], v15, s72
	s_and_saveexec_b64 s[48:49], s[50:51]
	s_cbranch_execz .LBB1_5
; %bb.19:                               ;   in Loop: Header=BB1_6 Depth=2
	s_mov_b64 s[50:51], 0
                                        ; implicit-def: $vgpr24_vgpr25
	s_and_saveexec_b64 s[52:53], s[10:11]
	s_xor_b64 s[10:11], exec, s[52:53]
	s_cbranch_execnz .LBB1_22
; %bb.20:                               ;   in Loop: Header=BB1_6 Depth=2
	s_andn2_saveexec_b64 s[10:11], s[10:11]
	s_cbranch_execnz .LBB1_35
.LBB1_21:                               ;   in Loop: Header=BB1_6 Depth=2
	s_or_b64 exec, exec, s[10:11]
	s_and_b64 exec, exec, s[50:51]
	s_cbranch_execz .LBB1_5
	s_branch .LBB1_44
.LBB1_22:                               ;   in Loop: Header=BB1_6 Depth=2
	v_cmp_ge_i32_e32 vcc, v2, v16
                                        ; implicit-def: $vgpr24_vgpr25
	s_and_saveexec_b64 s[52:53], vcc
	s_xor_b64 s[52:53], exec, s[52:53]
; %bb.23:                               ;   in Loop: Header=BB1_6 Depth=2
	v_mov_b32_e32 v12, s27
	v_add_co_u32_e32 v24, vcc, s26, v22
	s_mov_b64 s[50:51], exec
	v_addc_co_u32_e32 v25, vcc, v12, v23, vcc
                                        ; implicit-def: $vgpr20
                                        ; implicit-def: $vgpr30
                                        ; implicit-def: $vgpr18
; %bb.24:                               ;   in Loop: Header=BB1_6 Depth=2
	s_andn2_saveexec_b64 s[52:53], s[52:53]
	s_cbranch_execz .LBB1_34
; %bb.25:                               ;   in Loop: Header=BB1_6 Depth=2
	v_cmp_lt_i32_e32 vcc, v20, v30
	s_mov_b64 s[56:57], s[50:51]
                                        ; implicit-def: $vgpr24_vgpr25
	s_and_saveexec_b64 s[54:55], vcc
	s_cbranch_execz .LBB1_33
; %bb.26:                               ;   in Loop: Header=BB1_6 Depth=2
	s_mov_b64 s[58:59], 0
                                        ; implicit-def: $sgpr56_sgpr57
                                        ; implicit-def: $sgpr62_sgpr63
                                        ; implicit-def: $sgpr60_sgpr61
	s_branch .LBB1_28
.LBB1_27:                               ;   in Loop: Header=BB1_28 Depth=3
	s_or_b64 exec, exec, s[64:65]
	s_and_b64 s[64:65], exec, s[62:63]
	s_or_b64 s[58:59], s[64:65], s[58:59]
	s_andn2_b64 s[56:57], s[56:57], exec
	s_and_b64 s[64:65], s[60:61], exec
	s_or_b64 s[56:57], s[56:57], s[64:65]
	s_andn2_b64 exec, exec, s[58:59]
	s_cbranch_execz .LBB1_30
.LBB1_28:                               ;   Parent Loop BB1_3 Depth=1
                                        ;     Parent Loop BB1_6 Depth=2
                                        ; =>    This Inner Loop Header: Depth=3
	v_add_u32_e32 v16, v18, v20
	v_ashrrev_i32_e32 v17, 31, v16
	v_lshlrev_b64 v[16:17], 2, v[16:17]
	v_mov_b32_e32 v12, s41
	v_add_co_u32_e32 v22, vcc, s40, v16
	v_addc_co_u32_e32 v23, vcc, v12, v17, vcc
	global_load_dword v12, v[22:23], off
	s_or_b64 s[60:61], s[60:61], exec
	s_or_b64 s[62:63], s[62:63], exec
	s_waitcnt vmcnt(0)
	v_subrev_u32_e32 v12, s70, v12
	v_cmp_ne_u32_e32 vcc, v12, v2
	s_and_saveexec_b64 s[64:65], vcc
	s_cbranch_execz .LBB1_27
; %bb.29:                               ;   in Loop: Header=BB1_28 Depth=3
	v_add_u32_e32 v20, 1, v20
	v_cmp_ge_i32_e32 vcc, v20, v30
	s_andn2_b64 s[62:63], s[62:63], exec
	s_and_b64 s[66:67], vcc, exec
	s_andn2_b64 s[60:61], s[60:61], exec
	s_or_b64 s[62:63], s[62:63], s[66:67]
	s_branch .LBB1_27
.LBB1_30:                               ;   in Loop: Header=BB1_6 Depth=2
	s_or_b64 exec, exec, s[58:59]
	s_mov_b64 s[58:59], s[50:51]
                                        ; implicit-def: $vgpr24_vgpr25
	s_and_saveexec_b64 s[60:61], s[56:57]
	s_xor_b64 s[56:57], exec, s[60:61]
; %bb.31:                               ;   in Loop: Header=BB1_6 Depth=2
	v_mov_b32_e32 v12, s45
	v_add_co_u32_e32 v24, vcc, s44, v16
	v_addc_co_u32_e32 v25, vcc, v12, v17, vcc
	s_or_b64 s[58:59], s[50:51], exec
; %bb.32:                               ;   in Loop: Header=BB1_6 Depth=2
	s_or_b64 exec, exec, s[56:57]
	s_andn2_b64 s[56:57], s[50:51], exec
	s_and_b64 s[58:59], s[58:59], exec
	s_or_b64 s[56:57], s[56:57], s[58:59]
.LBB1_33:                               ;   in Loop: Header=BB1_6 Depth=2
	s_or_b64 exec, exec, s[54:55]
	s_andn2_b64 s[50:51], s[50:51], exec
	s_and_b64 s[54:55], s[56:57], exec
	s_or_b64 s[50:51], s[50:51], s[54:55]
.LBB1_34:                               ;   in Loop: Header=BB1_6 Depth=2
	s_or_b64 exec, exec, s[52:53]
	s_and_b64 s[50:51], s[50:51], exec
                                        ; implicit-def: $vgpr16_vgpr17
	s_andn2_saveexec_b64 s[10:11], s[10:11]
	s_cbranch_execz .LBB1_21
.LBB1_35:                               ;   in Loop: Header=BB1_6 Depth=2
	v_cmp_lt_i32_e32 vcc, v12, v39
	s_mov_b64 s[54:55], s[50:51]
                                        ; implicit-def: $vgpr24_vgpr25
	s_and_saveexec_b64 s[52:53], vcc
	s_cbranch_execz .LBB1_43
; %bb.36:                               ;   in Loop: Header=BB1_6 Depth=2
	s_mov_b64 s[56:57], 0
                                        ; implicit-def: $sgpr54_sgpr55
                                        ; implicit-def: $sgpr60_sgpr61
                                        ; implicit-def: $sgpr58_sgpr59
	s_branch .LBB1_38
.LBB1_37:                               ;   in Loop: Header=BB1_38 Depth=3
	s_or_b64 exec, exec, s[62:63]
	s_and_b64 s[62:63], exec, s[60:61]
	s_or_b64 s[56:57], s[62:63], s[56:57]
	s_andn2_b64 s[54:55], s[54:55], exec
	s_and_b64 s[62:63], s[58:59], exec
	s_or_b64 s[54:55], s[54:55], s[62:63]
	s_andn2_b64 exec, exec, s[56:57]
	s_cbranch_execz .LBB1_40
.LBB1_38:                               ;   Parent Loop BB1_3 Depth=1
                                        ;     Parent Loop BB1_6 Depth=2
                                        ; =>    This Inner Loop Header: Depth=3
	v_add_u32_e32 v18, v0, v12
	v_ashrrev_i32_e32 v19, 31, v18
	v_lshlrev_b64 v[18:19], 2, v[18:19]
	v_mov_b32_e32 v17, s21
	v_add_co_u32_e32 v20, vcc, s20, v18
	v_addc_co_u32_e32 v21, vcc, v17, v19, vcc
	global_load_dword v17, v[20:21], off
	s_or_b64 s[58:59], s[58:59], exec
	s_or_b64 s[60:61], s[60:61], exec
	s_waitcnt vmcnt(0)
	v_subrev_u32_e32 v17, s69, v17
	v_cmp_ne_u32_e32 vcc, v17, v16
	s_and_saveexec_b64 s[62:63], vcc
	s_cbranch_execz .LBB1_37
; %bb.39:                               ;   in Loop: Header=BB1_38 Depth=3
	v_add_u32_e32 v12, 1, v12
	v_cmp_ge_i32_e32 vcc, v12, v39
	s_andn2_b64 s[60:61], s[60:61], exec
	s_and_b64 s[64:65], vcc, exec
	s_andn2_b64 s[58:59], s[58:59], exec
	s_or_b64 s[60:61], s[60:61], s[64:65]
	s_branch .LBB1_37
.LBB1_40:                               ;   in Loop: Header=BB1_6 Depth=2
	s_or_b64 exec, exec, s[56:57]
	s_mov_b64 s[56:57], s[50:51]
                                        ; implicit-def: $vgpr24_vgpr25
	s_and_saveexec_b64 s[58:59], s[54:55]
	s_xor_b64 s[54:55], exec, s[58:59]
; %bb.41:                               ;   in Loop: Header=BB1_6 Depth=2
	v_mov_b32_e32 v12, s35
	v_add_co_u32_e32 v24, vcc, s34, v18
	v_addc_co_u32_e32 v25, vcc, v12, v19, vcc
	s_or_b64 s[56:57], s[50:51], exec
; %bb.42:                               ;   in Loop: Header=BB1_6 Depth=2
	s_or_b64 exec, exec, s[54:55]
	s_andn2_b64 s[54:55], s[50:51], exec
	s_and_b64 s[56:57], s[56:57], exec
	s_or_b64 s[54:55], s[54:55], s[56:57]
.LBB1_43:                               ;   in Loop: Header=BB1_6 Depth=2
	s_or_b64 exec, exec, s[52:53]
	s_andn2_b64 s[50:51], s[50:51], exec
	s_and_b64 s[52:53], s[54:55], exec
	s_or_b64 s[50:51], s[50:51], s[52:53]
	s_or_b64 exec, exec, s[10:11]
	s_and_b64 exec, exec, s[50:51]
	s_cbranch_execz .LBB1_5
.LBB1_44:                               ;   in Loop: Header=BB1_6 Depth=2
	global_store_dword v[24:25], v15, off
	s_branch .LBB1_5
.LBB1_45:                               ;   in Loop: Header=BB1_3 Depth=1
	s_or_b64 exec, exec, s[12:13]
	s_and_saveexec_b64 s[46:47], s[4:5]
	s_cbranch_execz .LBB1_88
; %bb.46:                               ;   in Loop: Header=BB1_3 Depth=1
	global_load_dword v12, v[8:9], off offset:2048
	global_load_dword v15, v[10:11], off offset:2048
	s_waitcnt vmcnt(1)
	v_add_u32_e32 v14, v32, v12
	s_waitcnt vmcnt(0)
	v_subrev_u32_e32 v45, s68, v15
	v_cmp_lt_i32_e32 vcc, v14, v45
	s_and_b64 exec, exec, vcc
	s_cbranch_execz .LBB1_88
; %bb.47:                               ;   in Loop: Header=BB1_3 Depth=1
	global_load_dword v12, v[6:7], off offset:2048
	global_load_dword v15, v[4:5], off offset:2048
	v_mov_b32_e32 v20, s21
	v_mov_b32_e32 v21, s23
	s_mov_b64 s[48:49], 0
	s_waitcnt vmcnt(1)
	v_subrev_u32_e32 v16, s69, v12
	v_ashrrev_i32_e32 v17, 31, v16
	v_lshlrev_b64 v[18:19], 2, v[16:17]
	v_add_co_u32_e32 v17, vcc, s20, v18
	v_addc_co_u32_e32 v47, vcc, v20, v19, vcc
	s_waitcnt vmcnt(0)
	v_sub_u32_e32 v46, v15, v12
	v_add_co_u32_e32 v48, vcc, s22, v18
	v_cmp_lt_i32_e64 s[10:11], 0, v46
	v_addc_co_u32_e32 v49, vcc, v21, v19, vcc
	s_branch .LBB1_49
.LBB1_48:                               ;   in Loop: Header=BB1_49 Depth=2
	s_or_b64 exec, exec, s[50:51]
	v_add_u32_e32 v14, 2, v14
	v_cmp_ge_i32_e32 vcc, v14, v45
	s_or_b64 s[48:49], vcc, s[48:49]
	s_andn2_b64 exec, exec, s[48:49]
	s_cbranch_execz .LBB1_88
.LBB1_49:                               ;   Parent Loop BB1_3 Depth=1
                                        ; =>  This Loop Header: Depth=2
                                        ;       Child Loop BB1_53 Depth 3
                                        ;       Child Loop BB1_71 Depth 3
	;; [unrolled: 1-line block ×3, first 2 shown]
	v_ashrrev_i32_e32 v15, 31, v14
	v_lshlrev_b64 v[26:27], 2, v[14:15]
	v_mov_b32_e32 v12, s29
	v_add_co_u32_e32 v18, vcc, s28, v26
	v_addc_co_u32_e32 v19, vcc, v12, v27, vcc
	global_load_dword v12, v[18:19], off
	v_mov_b32_e32 v15, s37
	v_mov_b32_e32 v23, s39
	s_waitcnt vmcnt(0)
	v_subrev_u32_e32 v18, s68, v12
	v_ashrrev_i32_e32 v19, 31, v18
	v_lshlrev_b64 v[24:25], 2, v[18:19]
	v_add_co_u32_e32 v20, vcc, s36, v24
	v_addc_co_u32_e32 v21, vcc, v15, v25, vcc
	v_add_co_u32_e32 v22, vcc, s38, v24
	v_addc_co_u32_e32 v23, vcc, v23, v25, vcc
	global_load_dword v12, v[20:21], off
	global_load_dword v19, v[22:23], off
	v_mov_b32_e32 v15, 0
	v_mov_b32_e32 v22, 0
	s_waitcnt vmcnt(1)
	v_subrev_u32_e32 v20, s70, v12
	s_waitcnt vmcnt(0)
	v_sub_u32_e32 v50, v19, v12
	v_mov_b32_e32 v12, 0
	s_and_saveexec_b64 s[12:13], s[10:11]
	s_cbranch_execz .LBB1_57
; %bb.50:                               ;   in Loop: Header=BB1_49 Depth=2
	v_ashrrev_i32_e32 v21, 31, v20
	v_lshlrev_b64 v[22:23], 2, v[20:21]
	v_mov_b32_e32 v12, s41
	v_add_co_u32_e32 v19, vcc, s40, v22
	v_addc_co_u32_e32 v21, vcc, v12, v23, vcc
	v_mov_b32_e32 v12, s43
	v_add_co_u32_e32 v51, vcc, s42, v22
	v_addc_co_u32_e32 v52, vcc, v12, v23, vcc
	v_mov_b32_e32 v12, 0
	s_mov_b64 s[50:51], 0
	v_mov_b32_e32 v15, 0
	v_mov_b32_e32 v22, v12
                                        ; implicit-def: $sgpr52_sgpr53
	s_branch .LBB1_53
.LBB1_51:                               ;   in Loop: Header=BB1_53 Depth=3
	s_or_b64 exec, exec, s[56:57]
	v_cmp_le_i32_e32 vcc, v23, v53
	v_addc_co_u32_e32 v12, vcc, 0, v12, vcc
	v_cmp_ge_i32_e32 vcc, v23, v53
	v_addc_co_u32_e32 v22, vcc, 0, v22, vcc
	v_cmp_ge_i32_e32 vcc, v12, v46
	s_andn2_b64 s[52:53], s[52:53], exec
	s_and_b64 s[56:57], vcc, exec
	s_or_b64 s[52:53], s[52:53], s[56:57]
.LBB1_52:                               ;   in Loop: Header=BB1_53 Depth=3
	s_or_b64 exec, exec, s[54:55]
	s_and_b64 s[54:55], exec, s[52:53]
	s_or_b64 s[50:51], s[54:55], s[50:51]
	s_andn2_b64 exec, exec, s[50:51]
	s_cbranch_execz .LBB1_56
.LBB1_53:                               ;   Parent Loop BB1_3 Depth=1
                                        ;     Parent Loop BB1_49 Depth=2
                                        ; =>    This Inner Loop Header: Depth=3
	v_cmp_lt_i32_e32 vcc, v22, v50
	s_or_b64 s[52:53], s[52:53], exec
	s_and_saveexec_b64 s[54:55], vcc
	s_cbranch_execz .LBB1_52
; %bb.54:                               ;   in Loop: Header=BB1_53 Depth=3
	v_lshlrev_b64 v[28:29], 2, v[12:13]
	v_add_co_u32_e32 v30, vcc, v17, v28
	v_addc_co_u32_e32 v31, vcc, v47, v29, vcc
	v_mov_b32_e32 v23, v13
	global_load_dword v53, v[30:31], off
	v_lshlrev_b64 v[30:31], 2, v[22:23]
	v_add_co_u32_e32 v54, vcc, v19, v30
	v_addc_co_u32_e32 v55, vcc, v21, v31, vcc
	global_load_dword v54, v[54:55], off
	s_waitcnt vmcnt(1)
	v_subrev_u32_e32 v23, s69, v53
	s_waitcnt vmcnt(0)
	v_subrev_u32_e32 v53, s70, v54
	v_cmp_eq_u32_e32 vcc, v23, v53
	s_and_saveexec_b64 s[56:57], vcc
	s_cbranch_execz .LBB1_51
; %bb.55:                               ;   in Loop: Header=BB1_53 Depth=3
	v_add_co_u32_e32 v28, vcc, v48, v28
	v_addc_co_u32_e32 v29, vcc, v49, v29, vcc
	v_add_co_u32_e32 v30, vcc, v51, v30
	v_addc_co_u32_e32 v31, vcc, v52, v31, vcc
	global_load_dword v28, v[28:29], off
	s_nop 0
	global_load_dword v29, v[30:31], off
	s_waitcnt vmcnt(0)
	v_fmac_f32_e32 v15, v28, v29
	s_branch .LBB1_51
.LBB1_56:                               ;   in Loop: Header=BB1_49 Depth=2
	s_or_b64 exec, exec, s[50:51]
.LBB1_57:                               ;   in Loop: Header=BB1_49 Depth=2
	s_or_b64 exec, exec, s[12:13]
	v_mov_b32_e32 v19, s31
	v_add_co_u32_e32 v26, vcc, s30, v26
	v_addc_co_u32_e32 v27, vcc, v19, v27, vcc
	global_load_dword v19, v[26:27], off
	v_cmp_le_i32_e64 s[12:13], v3, v18
	v_cmp_gt_i32_e32 vcc, v3, v18
	s_waitcnt vmcnt(0)
	v_sub_f32_e32 v15, v19, v15
	s_and_saveexec_b64 s[50:51], vcc
	s_cbranch_execz .LBB1_61
; %bb.58:                               ;   in Loop: Header=BB1_49 Depth=2
	v_mov_b32_e32 v19, s25
	v_add_co_u32_e32 v26, vcc, s24, v24
	v_addc_co_u32_e32 v27, vcc, v19, v25, vcc
	global_load_dword v19, v[26:27], off
	v_mov_b32_e32 v21, 0
	s_waitcnt vmcnt(0)
	v_cmp_lg_f32_e32 vcc, 0, v19
	s_and_saveexec_b64 s[52:53], vcc
; %bb.59:                               ;   in Loop: Header=BB1_49 Depth=2
	v_div_scale_f32 v21, s[54:55], v19, v19, v15
	v_rcp_f32_e32 v23, v21
	v_div_scale_f32 v26, vcc, v15, v19, v15
	v_fma_f32 v27, -v21, v23, 1.0
	v_fmac_f32_e32 v23, v27, v23
	v_mul_f32_e32 v27, v26, v23
	v_fma_f32 v28, -v21, v27, v26
	v_fmac_f32_e32 v27, v28, v23
	v_fma_f32 v21, -v21, v27, v26
	v_div_fmas_f32 v21, v21, v23, v27
	v_div_fixup_f32 v21, v21, v19, v15
; %bb.60:                               ;   in Loop: Header=BB1_49 Depth=2
	s_or_b64 exec, exec, s[52:53]
	v_mov_b32_e32 v15, v21
.LBB1_61:                               ;   in Loop: Header=BB1_49 Depth=2
	s_or_b64 exec, exec, s[50:51]
	v_cmp_class_f32_e64 s[52:53], v15, s72
	s_and_saveexec_b64 s[50:51], s[52:53]
	s_cbranch_execz .LBB1_48
; %bb.62:                               ;   in Loop: Header=BB1_49 Depth=2
	s_mov_b64 s[52:53], 0
                                        ; implicit-def: $vgpr26_vgpr27
	s_and_saveexec_b64 s[54:55], s[12:13]
	s_xor_b64 s[12:13], exec, s[54:55]
	s_cbranch_execnz .LBB1_65
; %bb.63:                               ;   in Loop: Header=BB1_49 Depth=2
	s_andn2_saveexec_b64 s[12:13], s[12:13]
	s_cbranch_execnz .LBB1_78
.LBB1_64:                               ;   in Loop: Header=BB1_49 Depth=2
	s_or_b64 exec, exec, s[12:13]
	s_and_b64 exec, exec, s[52:53]
	s_cbranch_execz .LBB1_48
	s_branch .LBB1_87
.LBB1_65:                               ;   in Loop: Header=BB1_49 Depth=2
	v_cmp_ge_i32_e32 vcc, v3, v18
                                        ; implicit-def: $vgpr26_vgpr27
	s_and_saveexec_b64 s[54:55], vcc
	s_xor_b64 s[54:55], exec, s[54:55]
; %bb.66:                               ;   in Loop: Header=BB1_49 Depth=2
	v_mov_b32_e32 v12, s27
	v_add_co_u32_e32 v26, vcc, s26, v24
	s_mov_b64 s[52:53], exec
	v_addc_co_u32_e32 v27, vcc, v12, v25, vcc
                                        ; implicit-def: $vgpr22
                                        ; implicit-def: $vgpr50
                                        ; implicit-def: $vgpr20
; %bb.67:                               ;   in Loop: Header=BB1_49 Depth=2
	s_andn2_saveexec_b64 s[54:55], s[54:55]
	s_cbranch_execz .LBB1_77
; %bb.68:                               ;   in Loop: Header=BB1_49 Depth=2
	v_cmp_lt_i32_e32 vcc, v22, v50
	s_mov_b64 s[58:59], s[52:53]
                                        ; implicit-def: $vgpr26_vgpr27
	s_and_saveexec_b64 s[56:57], vcc
	s_cbranch_execz .LBB1_76
; %bb.69:                               ;   in Loop: Header=BB1_49 Depth=2
	s_mov_b64 s[60:61], 0
                                        ; implicit-def: $sgpr58_sgpr59
                                        ; implicit-def: $sgpr64_sgpr65
                                        ; implicit-def: $sgpr62_sgpr63
	s_branch .LBB1_71
.LBB1_70:                               ;   in Loop: Header=BB1_71 Depth=3
	s_or_b64 exec, exec, s[66:67]
	s_and_b64 s[66:67], exec, s[64:65]
	s_or_b64 s[60:61], s[66:67], s[60:61]
	s_andn2_b64 s[58:59], s[58:59], exec
	s_and_b64 s[66:67], s[62:63], exec
	s_or_b64 s[58:59], s[58:59], s[66:67]
	s_andn2_b64 exec, exec, s[60:61]
	s_cbranch_execz .LBB1_73
.LBB1_71:                               ;   Parent Loop BB1_3 Depth=1
                                        ;     Parent Loop BB1_49 Depth=2
                                        ; =>    This Inner Loop Header: Depth=3
	v_add_u32_e32 v18, v20, v22
	v_ashrrev_i32_e32 v19, 31, v18
	v_lshlrev_b64 v[18:19], 2, v[18:19]
	v_mov_b32_e32 v12, s41
	v_add_co_u32_e32 v24, vcc, s40, v18
	v_addc_co_u32_e32 v25, vcc, v12, v19, vcc
	global_load_dword v12, v[24:25], off
	s_or_b64 s[62:63], s[62:63], exec
	s_or_b64 s[64:65], s[64:65], exec
	s_waitcnt vmcnt(0)
	v_subrev_u32_e32 v12, s70, v12
	v_cmp_ne_u32_e32 vcc, v12, v3
	s_and_saveexec_b64 s[66:67], vcc
	s_cbranch_execz .LBB1_70
; %bb.72:                               ;   in Loop: Header=BB1_71 Depth=3
	v_add_u32_e32 v22, 1, v22
	v_cmp_ge_i32_e32 vcc, v22, v50
	s_andn2_b64 s[64:65], s[64:65], exec
	s_and_b64 s[74:75], vcc, exec
	s_andn2_b64 s[62:63], s[62:63], exec
	s_or_b64 s[64:65], s[64:65], s[74:75]
	s_branch .LBB1_70
.LBB1_73:                               ;   in Loop: Header=BB1_49 Depth=2
	s_or_b64 exec, exec, s[60:61]
	s_mov_b64 s[60:61], s[52:53]
                                        ; implicit-def: $vgpr26_vgpr27
	s_and_saveexec_b64 s[62:63], s[58:59]
	s_xor_b64 s[58:59], exec, s[62:63]
; %bb.74:                               ;   in Loop: Header=BB1_49 Depth=2
	v_mov_b32_e32 v12, s45
	v_add_co_u32_e32 v26, vcc, s44, v18
	v_addc_co_u32_e32 v27, vcc, v12, v19, vcc
	s_or_b64 s[60:61], s[52:53], exec
; %bb.75:                               ;   in Loop: Header=BB1_49 Depth=2
	s_or_b64 exec, exec, s[58:59]
	s_andn2_b64 s[58:59], s[52:53], exec
	s_and_b64 s[60:61], s[60:61], exec
	s_or_b64 s[58:59], s[58:59], s[60:61]
.LBB1_76:                               ;   in Loop: Header=BB1_49 Depth=2
	s_or_b64 exec, exec, s[56:57]
	s_andn2_b64 s[52:53], s[52:53], exec
	s_and_b64 s[56:57], s[58:59], exec
	s_or_b64 s[52:53], s[52:53], s[56:57]
.LBB1_77:                               ;   in Loop: Header=BB1_49 Depth=2
	s_or_b64 exec, exec, s[54:55]
	s_and_b64 s[52:53], s[52:53], exec
                                        ; implicit-def: $vgpr18_vgpr19
	s_andn2_saveexec_b64 s[12:13], s[12:13]
	s_cbranch_execz .LBB1_64
.LBB1_78:                               ;   in Loop: Header=BB1_49 Depth=2
	v_cmp_lt_i32_e32 vcc, v12, v46
	s_mov_b64 s[56:57], s[52:53]
                                        ; implicit-def: $vgpr26_vgpr27
	s_and_saveexec_b64 s[54:55], vcc
	s_cbranch_execz .LBB1_86
; %bb.79:                               ;   in Loop: Header=BB1_49 Depth=2
	s_mov_b64 s[58:59], 0
                                        ; implicit-def: $sgpr56_sgpr57
                                        ; implicit-def: $sgpr62_sgpr63
                                        ; implicit-def: $sgpr60_sgpr61
	s_branch .LBB1_81
.LBB1_80:                               ;   in Loop: Header=BB1_81 Depth=3
	s_or_b64 exec, exec, s[64:65]
	s_and_b64 s[64:65], exec, s[62:63]
	s_or_b64 s[58:59], s[64:65], s[58:59]
	s_andn2_b64 s[56:57], s[56:57], exec
	s_and_b64 s[64:65], s[60:61], exec
	s_or_b64 s[56:57], s[56:57], s[64:65]
	s_andn2_b64 exec, exec, s[58:59]
	s_cbranch_execz .LBB1_83
.LBB1_81:                               ;   Parent Loop BB1_3 Depth=1
                                        ;     Parent Loop BB1_49 Depth=2
                                        ; =>    This Inner Loop Header: Depth=3
	v_add_u32_e32 v20, v16, v12
	v_ashrrev_i32_e32 v21, 31, v20
	v_lshlrev_b64 v[20:21], 2, v[20:21]
	v_mov_b32_e32 v19, s21
	v_add_co_u32_e32 v22, vcc, s20, v20
	v_addc_co_u32_e32 v23, vcc, v19, v21, vcc
	global_load_dword v19, v[22:23], off
	s_or_b64 s[60:61], s[60:61], exec
	s_or_b64 s[62:63], s[62:63], exec
	s_waitcnt vmcnt(0)
	v_subrev_u32_e32 v19, s69, v19
	v_cmp_ne_u32_e32 vcc, v19, v18
	s_and_saveexec_b64 s[64:65], vcc
	s_cbranch_execz .LBB1_80
; %bb.82:                               ;   in Loop: Header=BB1_81 Depth=3
	v_add_u32_e32 v12, 1, v12
	v_cmp_ge_i32_e32 vcc, v12, v46
	s_andn2_b64 s[62:63], s[62:63], exec
	s_and_b64 s[66:67], vcc, exec
	s_andn2_b64 s[60:61], s[60:61], exec
	s_or_b64 s[62:63], s[62:63], s[66:67]
	s_branch .LBB1_80
.LBB1_83:                               ;   in Loop: Header=BB1_49 Depth=2
	s_or_b64 exec, exec, s[58:59]
	s_mov_b64 s[58:59], s[52:53]
                                        ; implicit-def: $vgpr26_vgpr27
	s_and_saveexec_b64 s[60:61], s[56:57]
	s_xor_b64 s[56:57], exec, s[60:61]
; %bb.84:                               ;   in Loop: Header=BB1_49 Depth=2
	v_mov_b32_e32 v12, s35
	v_add_co_u32_e32 v26, vcc, s34, v20
	v_addc_co_u32_e32 v27, vcc, v12, v21, vcc
	s_or_b64 s[58:59], s[52:53], exec
; %bb.85:                               ;   in Loop: Header=BB1_49 Depth=2
	s_or_b64 exec, exec, s[56:57]
	s_andn2_b64 s[56:57], s[52:53], exec
	s_and_b64 s[58:59], s[58:59], exec
	s_or_b64 s[56:57], s[56:57], s[58:59]
.LBB1_86:                               ;   in Loop: Header=BB1_49 Depth=2
	s_or_b64 exec, exec, s[54:55]
	s_andn2_b64 s[52:53], s[52:53], exec
	s_and_b64 s[54:55], s[56:57], exec
	s_or_b64 s[52:53], s[52:53], s[54:55]
	s_or_b64 exec, exec, s[12:13]
	s_and_b64 exec, exec, s[52:53]
	s_cbranch_execz .LBB1_48
.LBB1_87:                               ;   in Loop: Header=BB1_49 Depth=2
	global_store_dword v[26:27], v15, off
	s_branch .LBB1_48
.LBB1_88:                               ;   in Loop: Header=BB1_3 Depth=1
	s_or_b64 exec, exec, s[46:47]
	s_and_saveexec_b64 s[12:13], s[0:1]
	s_cbranch_execz .LBB1_2
; %bb.89:                               ;   in Loop: Header=BB1_3 Depth=1
	s_mov_b64 s[46:47], 0
	v_mov_b32_e32 v14, v2
	s_branch .LBB1_91
.LBB1_90:                               ;   in Loop: Header=BB1_91 Depth=2
	s_or_b64 exec, exec, s[48:49]
	v_add_u32_e32 v14, 0x200, v14
	v_cmp_le_u32_e32 vcc, s71, v14
	s_or_b64 s[46:47], vcc, s[46:47]
	s_andn2_b64 exec, exec, s[46:47]
	s_cbranch_execz .LBB1_2
.LBB1_91:                               ;   Parent Loop BB1_3 Depth=1
                                        ; =>  This Loop Header: Depth=2
                                        ;       Child Loop BB1_95 Depth 3
                                        ;       Child Loop BB1_99 Depth 3
	;; [unrolled: 1-line block ×4, first 2 shown]
	v_cmp_gt_i32_e32 vcc, s15, v14
	s_and_saveexec_b64 s[48:49], vcc
	s_cbranch_execz .LBB1_90
; %bb.92:                               ;   in Loop: Header=BB1_91 Depth=2
	v_ashrrev_i32_e32 v15, 31, v14
	v_lshlrev_b64 v[16:17], 2, v[14:15]
	v_mov_b32_e32 v12, s17
	v_add_co_u32_e32 v18, vcc, s16, v16
	v_addc_co_u32_e32 v19, vcc, v12, v17, vcc
	global_load_dword v15, v[18:19], off
	v_mov_b32_e32 v12, s19
	v_add_co_u32_e32 v18, vcc, s18, v16
	v_addc_co_u32_e32 v19, vcc, v12, v17, vcc
	global_load_dword v12, v[18:19], off
	s_waitcnt vmcnt(1)
	v_add_u32_e32 v18, v33, v15
	s_waitcnt vmcnt(0)
	v_subrev_u32_e32 v12, s69, v12
	v_cmp_lt_i32_e32 vcc, v18, v12
	s_and_saveexec_b64 s[50:51], vcc
	s_cbranch_execz .LBB1_100
; %bb.93:                               ;   in Loop: Header=BB1_91 Depth=2
	v_add_u32_e32 v19, v38, v15
	v_max_i32_e32 v19, v19, v12
	v_add_u32_e32 v19, v37, v19
	v_sub_u32_e32 v15, v19, v15
	v_cmp_lt_u32_e32 vcc, 1, v15
	s_mov_b64 s[10:11], -1
	s_and_saveexec_b64 s[52:53], vcc
	s_cbranch_execz .LBB1_97
; %bb.94:                               ;   in Loop: Header=BB1_91 Depth=2
	v_lshrrev_b32_e32 v15, 1, v15
	v_add_u32_e32 v15, 1, v15
	v_and_b32_e32 v22, -2, v15
	v_add_u32_e32 v19, 2, v18
	s_mov_b64 s[54:55], 0
	v_mov_b32_e32 v23, v22
	v_pk_mov_b32 v[20:21], v[18:19], v[18:19] op_sel:[0,1]
.LBB1_95:                               ;   Parent Loop BB1_3 Depth=1
                                        ;     Parent Loop BB1_91 Depth=2
                                        ; =>    This Inner Loop Header: Depth=3
	v_ashrrev_i32_e32 v27, 31, v20
	v_mov_b32_e32 v26, v20
	v_lshlrev_b64 v[26:27], 2, v[26:27]
	v_ashrrev_i32_e32 v25, 31, v21
	v_mov_b32_e32 v24, v21
	v_mov_b32_e32 v19, s35
	v_add_co_u32_e32 v28, vcc, s34, v26
	v_lshlrev_b64 v[24:25], 2, v[24:25]
	v_addc_co_u32_e32 v29, vcc, v19, v27, vcc
	v_add_co_u32_e32 v30, vcc, s34, v24
	v_addc_co_u32_e32 v31, vcc, v19, v25, vcc
	global_load_dword v19, v[28:29], off
	s_nop 0
	global_load_dword v28, v[30:31], off
	v_mov_b32_e32 v29, s23
	v_add_u32_e32 v23, -2, v23
	v_add_co_u32_e64 v26, s[10:11], s22, v26
	v_cmp_eq_u32_e32 vcc, 0, v23
	v_addc_co_u32_e64 v27, s[10:11], v29, v27, s[10:11]
	v_add_u32_e32 v21, 4, v21
	v_add_u32_e32 v20, 4, v20
	v_add_co_u32_e64 v24, s[10:11], s22, v24
	s_or_b64 s[54:55], vcc, s[54:55]
	v_addc_co_u32_e64 v25, s[10:11], v29, v25, s[10:11]
	s_waitcnt vmcnt(1)
	global_store_dword v[26:27], v19, off
	s_waitcnt vmcnt(1)
	global_store_dword v[24:25], v28, off
	s_andn2_b64 exec, exec, s[54:55]
	s_cbranch_execnz .LBB1_95
; %bb.96:                               ;   in Loop: Header=BB1_91 Depth=2
	s_or_b64 exec, exec, s[54:55]
	v_cmp_ne_u32_e32 vcc, v15, v22
	v_lshl_add_u32 v18, v22, 1, v18
	s_orn2_b64 s[10:11], vcc, exec
.LBB1_97:                               ;   in Loop: Header=BB1_91 Depth=2
	s_or_b64 exec, exec, s[52:53]
	s_and_b64 exec, exec, s[10:11]
	s_cbranch_execz .LBB1_100
; %bb.98:                               ;   in Loop: Header=BB1_91 Depth=2
	v_ashrrev_i32_e32 v19, 31, v18
	v_lshlrev_b64 v[22:23], 2, v[18:19]
	v_mov_b32_e32 v15, s35
	v_add_co_u32_e32 v20, vcc, s34, v22
	v_addc_co_u32_e32 v21, vcc, v15, v23, vcc
	v_mov_b32_e32 v15, s23
	v_add_co_u32_e32 v22, vcc, s22, v22
	v_addc_co_u32_e32 v23, vcc, v15, v23, vcc
	s_mov_b64 s[10:11], 0
.LBB1_99:                               ;   Parent Loop BB1_3 Depth=1
                                        ;     Parent Loop BB1_91 Depth=2
                                        ; =>    This Inner Loop Header: Depth=3
	global_load_dword v15, v[20:21], off
	v_add_co_u32_e32 v20, vcc, 8, v20
	v_add_u32_e32 v18, 2, v18
	v_addc_co_u32_e32 v21, vcc, 0, v21, vcc
	v_cmp_ge_i32_e32 vcc, v18, v12
	s_or_b64 s[10:11], vcc, s[10:11]
	s_waitcnt vmcnt(0)
	global_store_dword v[22:23], v15, off
	v_add_co_u32_e32 v22, vcc, 8, v22
	v_addc_co_u32_e32 v23, vcc, 0, v23, vcc
	s_andn2_b64 exec, exec, s[10:11]
	s_cbranch_execnz .LBB1_99
.LBB1_100:                              ;   in Loop: Header=BB1_91 Depth=2
	s_or_b64 exec, exec, s[50:51]
	v_mov_b32_e32 v12, s37
	v_add_co_u32_e32 v18, vcc, s36, v16
	v_addc_co_u32_e32 v19, vcc, v12, v17, vcc
	global_load_dword v15, v[18:19], off
	v_mov_b32_e32 v12, s39
	v_add_co_u32_e32 v18, vcc, s38, v16
	v_addc_co_u32_e32 v19, vcc, v12, v17, vcc
	global_load_dword v12, v[18:19], off
	s_waitcnt vmcnt(1)
	v_add_u32_e32 v18, v34, v15
	s_waitcnt vmcnt(0)
	v_subrev_u32_e32 v12, s70, v12
	v_cmp_lt_i32_e32 vcc, v18, v12
	s_and_saveexec_b64 s[50:51], vcc
	s_cbranch_execz .LBB1_108
; %bb.101:                              ;   in Loop: Header=BB1_91 Depth=2
	v_add_u32_e32 v19, v36, v15
	v_max_i32_e32 v19, v19, v12
	v_add_u32_e32 v19, v35, v19
	v_sub_u32_e32 v15, v19, v15
	v_cmp_lt_u32_e32 vcc, 1, v15
	s_mov_b64 s[10:11], -1
	s_and_saveexec_b64 s[52:53], vcc
	s_cbranch_execz .LBB1_105
; %bb.102:                              ;   in Loop: Header=BB1_91 Depth=2
	v_lshrrev_b32_e32 v15, 1, v15
	v_add_u32_e32 v15, 1, v15
	v_and_b32_e32 v22, -2, v15
	v_add_u32_e32 v19, 2, v18
	s_mov_b64 s[54:55], 0
	v_mov_b32_e32 v23, v22
	v_pk_mov_b32 v[20:21], v[18:19], v[18:19] op_sel:[0,1]
.LBB1_103:                              ;   Parent Loop BB1_3 Depth=1
                                        ;     Parent Loop BB1_91 Depth=2
                                        ; =>    This Inner Loop Header: Depth=3
	v_ashrrev_i32_e32 v27, 31, v20
	v_mov_b32_e32 v26, v20
	v_lshlrev_b64 v[26:27], 2, v[26:27]
	v_ashrrev_i32_e32 v25, 31, v21
	v_mov_b32_e32 v24, v21
	v_mov_b32_e32 v19, s45
	v_add_co_u32_e32 v28, vcc, s44, v26
	v_lshlrev_b64 v[24:25], 2, v[24:25]
	v_addc_co_u32_e32 v29, vcc, v19, v27, vcc
	v_add_co_u32_e32 v30, vcc, s44, v24
	v_addc_co_u32_e32 v31, vcc, v19, v25, vcc
	global_load_dword v19, v[28:29], off
	s_nop 0
	global_load_dword v28, v[30:31], off
	v_mov_b32_e32 v29, s43
	v_add_u32_e32 v23, -2, v23
	v_add_co_u32_e64 v26, s[10:11], s42, v26
	v_cmp_eq_u32_e32 vcc, 0, v23
	v_addc_co_u32_e64 v27, s[10:11], v29, v27, s[10:11]
	v_add_u32_e32 v21, 4, v21
	v_add_u32_e32 v20, 4, v20
	v_add_co_u32_e64 v24, s[10:11], s42, v24
	s_or_b64 s[54:55], vcc, s[54:55]
	v_addc_co_u32_e64 v25, s[10:11], v29, v25, s[10:11]
	s_waitcnt vmcnt(1)
	global_store_dword v[26:27], v19, off
	s_waitcnt vmcnt(1)
	global_store_dword v[24:25], v28, off
	s_andn2_b64 exec, exec, s[54:55]
	s_cbranch_execnz .LBB1_103
; %bb.104:                              ;   in Loop: Header=BB1_91 Depth=2
	s_or_b64 exec, exec, s[54:55]
	v_cmp_ne_u32_e32 vcc, v15, v22
	v_lshl_add_u32 v18, v22, 1, v18
	s_orn2_b64 s[10:11], vcc, exec
.LBB1_105:                              ;   in Loop: Header=BB1_91 Depth=2
	s_or_b64 exec, exec, s[52:53]
	s_and_b64 exec, exec, s[10:11]
	s_cbranch_execz .LBB1_108
; %bb.106:                              ;   in Loop: Header=BB1_91 Depth=2
	v_ashrrev_i32_e32 v19, 31, v18
	v_lshlrev_b64 v[22:23], 2, v[18:19]
	v_mov_b32_e32 v15, s45
	v_add_co_u32_e32 v20, vcc, s44, v22
	v_addc_co_u32_e32 v21, vcc, v15, v23, vcc
	v_mov_b32_e32 v15, s43
	v_add_co_u32_e32 v22, vcc, s42, v22
	v_addc_co_u32_e32 v23, vcc, v15, v23, vcc
	s_mov_b64 s[10:11], 0
.LBB1_107:                              ;   Parent Loop BB1_3 Depth=1
                                        ;     Parent Loop BB1_91 Depth=2
                                        ; =>    This Inner Loop Header: Depth=3
	global_load_dword v15, v[20:21], off
	v_add_co_u32_e32 v20, vcc, 8, v20
	v_add_u32_e32 v18, 2, v18
	v_addc_co_u32_e32 v21, vcc, 0, v21, vcc
	v_cmp_ge_i32_e32 vcc, v18, v12
	s_or_b64 s[10:11], vcc, s[10:11]
	s_waitcnt vmcnt(0)
	global_store_dword v[22:23], v15, off
	v_add_co_u32_e32 v22, vcc, 8, v22
	v_addc_co_u32_e32 v23, vcc, 0, v23, vcc
	s_andn2_b64 exec, exec, s[10:11]
	s_cbranch_execnz .LBB1_107
.LBB1_108:                              ;   in Loop: Header=BB1_91 Depth=2
	s_or_b64 exec, exec, s[50:51]
	s_and_b64 exec, exec, s[2:3]
	s_cbranch_execz .LBB1_90
; %bb.109:                              ;   in Loop: Header=BB1_91 Depth=2
	v_mov_b32_e32 v12, s27
	v_add_co_u32_e32 v18, vcc, s26, v16
	v_addc_co_u32_e32 v19, vcc, v12, v17, vcc
	global_load_dword v12, v[18:19], off
	v_mov_b32_e32 v15, s25
	v_add_co_u32_e32 v16, vcc, s24, v16
	v_addc_co_u32_e32 v17, vcc, v15, v17, vcc
	s_waitcnt vmcnt(0)
	global_store_dword v[16:17], v12, off
	s_branch .LBB1_90
.LBB1_110:
	s_endpgm
	.section	.rodata,"a",@progbits
	.p2align	6, 0x0
	.amdhsa_kernel _ZN9rocsparseL14kernel_freerunILi1024ELi2EfiiEEvT3_S1_T2_PKS2_S4_PKS1_PKT1_21rocsparse_index_base_S4_S4_S6_PS7_SB_SA_S4_S4_S6_SB_SB_SA_SB_SB_
		.amdhsa_group_segment_fixed_size 0
		.amdhsa_private_segment_fixed_size 0
		.amdhsa_kernarg_size 168
		.amdhsa_user_sgpr_count 6
		.amdhsa_user_sgpr_private_segment_buffer 1
		.amdhsa_user_sgpr_dispatch_ptr 0
		.amdhsa_user_sgpr_queue_ptr 0
		.amdhsa_user_sgpr_kernarg_segment_ptr 1
		.amdhsa_user_sgpr_dispatch_id 0
		.amdhsa_user_sgpr_flat_scratch_init 0
		.amdhsa_user_sgpr_kernarg_preload_length 0
		.amdhsa_user_sgpr_kernarg_preload_offset 0
		.amdhsa_user_sgpr_private_segment_size 0
		.amdhsa_uses_dynamic_stack 0
		.amdhsa_system_sgpr_private_segment_wavefront_offset 0
		.amdhsa_system_sgpr_workgroup_id_x 1
		.amdhsa_system_sgpr_workgroup_id_y 0
		.amdhsa_system_sgpr_workgroup_id_z 0
		.amdhsa_system_sgpr_workgroup_info 0
		.amdhsa_system_vgpr_workitem_id 0
		.amdhsa_next_free_vgpr 56
		.amdhsa_next_free_sgpr 76
		.amdhsa_accum_offset 56
		.amdhsa_reserve_vcc 1
		.amdhsa_reserve_flat_scratch 0
		.amdhsa_float_round_mode_32 0
		.amdhsa_float_round_mode_16_64 0
		.amdhsa_float_denorm_mode_32 3
		.amdhsa_float_denorm_mode_16_64 3
		.amdhsa_dx10_clamp 1
		.amdhsa_ieee_mode 1
		.amdhsa_fp16_overflow 0
		.amdhsa_tg_split 0
		.amdhsa_exception_fp_ieee_invalid_op 0
		.amdhsa_exception_fp_denorm_src 0
		.amdhsa_exception_fp_ieee_div_zero 0
		.amdhsa_exception_fp_ieee_overflow 0
		.amdhsa_exception_fp_ieee_underflow 0
		.amdhsa_exception_fp_ieee_inexact 0
		.amdhsa_exception_int_div_zero 0
	.end_amdhsa_kernel
	.section	.text._ZN9rocsparseL14kernel_freerunILi1024ELi2EfiiEEvT3_S1_T2_PKS2_S4_PKS1_PKT1_21rocsparse_index_base_S4_S4_S6_PS7_SB_SA_S4_S4_S6_SB_SB_SA_SB_SB_,"axG",@progbits,_ZN9rocsparseL14kernel_freerunILi1024ELi2EfiiEEvT3_S1_T2_PKS2_S4_PKS1_PKT1_21rocsparse_index_base_S4_S4_S6_PS7_SB_SA_S4_S4_S6_SB_SB_SA_SB_SB_,comdat
.Lfunc_end1:
	.size	_ZN9rocsparseL14kernel_freerunILi1024ELi2EfiiEEvT3_S1_T2_PKS2_S4_PKS1_PKT1_21rocsparse_index_base_S4_S4_S6_PS7_SB_SA_S4_S4_S6_SB_SB_SA_SB_SB_, .Lfunc_end1-_ZN9rocsparseL14kernel_freerunILi1024ELi2EfiiEEvT3_S1_T2_PKS2_S4_PKS1_PKT1_21rocsparse_index_base_S4_S4_S6_PS7_SB_SA_S4_S4_S6_SB_SB_SA_SB_SB_
                                        ; -- End function
	.section	.AMDGPU.csdata,"",@progbits
; Kernel info:
; codeLenInByte = 3836
; NumSgprs: 80
; NumVgprs: 56
; NumAgprs: 0
; TotalNumVgprs: 56
; ScratchSize: 0
; MemoryBound: 0
; FloatMode: 240
; IeeeMode: 1
; LDSByteSize: 0 bytes/workgroup (compile time only)
; SGPRBlocks: 9
; VGPRBlocks: 6
; NumSGPRsForWavesPerEU: 80
; NumVGPRsForWavesPerEU: 56
; AccumOffset: 56
; Occupancy: 8
; WaveLimiterHint : 1
; COMPUTE_PGM_RSRC2:SCRATCH_EN: 0
; COMPUTE_PGM_RSRC2:USER_SGPR: 6
; COMPUTE_PGM_RSRC2:TRAP_HANDLER: 0
; COMPUTE_PGM_RSRC2:TGID_X_EN: 1
; COMPUTE_PGM_RSRC2:TGID_Y_EN: 0
; COMPUTE_PGM_RSRC2:TGID_Z_EN: 0
; COMPUTE_PGM_RSRC2:TIDIG_COMP_CNT: 0
; COMPUTE_PGM_RSRC3_GFX90A:ACCUM_OFFSET: 13
; COMPUTE_PGM_RSRC3_GFX90A:TG_SPLIT: 0
	.section	.text._ZN9rocsparseL14kernel_freerunILi1024ELi4EfiiEEvT3_S1_T2_PKS2_S4_PKS1_PKT1_21rocsparse_index_base_S4_S4_S6_PS7_SB_SA_S4_S4_S6_SB_SB_SA_SB_SB_,"axG",@progbits,_ZN9rocsparseL14kernel_freerunILi1024ELi4EfiiEEvT3_S1_T2_PKS2_S4_PKS1_PKT1_21rocsparse_index_base_S4_S4_S6_PS7_SB_SA_S4_S4_S6_SB_SB_SA_SB_SB_,comdat
	.globl	_ZN9rocsparseL14kernel_freerunILi1024ELi4EfiiEEvT3_S1_T2_PKS2_S4_PKS1_PKT1_21rocsparse_index_base_S4_S4_S6_PS7_SB_SA_S4_S4_S6_SB_SB_SA_SB_SB_ ; -- Begin function _ZN9rocsparseL14kernel_freerunILi1024ELi4EfiiEEvT3_S1_T2_PKS2_S4_PKS1_PKT1_21rocsparse_index_base_S4_S4_S6_PS7_SB_SA_S4_S4_S6_SB_SB_SA_SB_SB_
	.p2align	8
	.type	_ZN9rocsparseL14kernel_freerunILi1024ELi4EfiiEEvT3_S1_T2_PKS2_S4_PKS1_PKT1_21rocsparse_index_base_S4_S4_S6_PS7_SB_SA_S4_S4_S6_SB_SB_SA_SB_SB_,@function
_ZN9rocsparseL14kernel_freerunILi1024ELi4EfiiEEvT3_S1_T2_PKS2_S4_PKS1_PKT1_21rocsparse_index_base_S4_S4_S6_PS7_SB_SA_S4_S4_S6_SB_SB_SA_SB_SB_: ; @_ZN9rocsparseL14kernel_freerunILi1024ELi4EfiiEEvT3_S1_T2_PKS2_S4_PKS1_PKT1_21rocsparse_index_base_S4_S4_S6_PS7_SB_SA_S4_S4_S6_SB_SB_SA_SB_SB_
; %bb.0:
	s_load_dwordx2 s[34:35], s[4:5], 0x0
	v_lshrrev_b32_e32 v1, 2, v0
	s_lshl_b32 s69, s6, 10
	v_or_b32_e32 v22, s69, v1
	s_mov_b32 s33, 0
	s_waitcnt lgkmcnt(0)
	s_cmp_gt_i32 s34, 0
	v_cmp_gt_i32_e32 vcc, s35, v22
	s_cselect_b64 s[0:1], -1, 0
	s_and_b64 s[0:1], vcc, s[0:1]
	s_and_saveexec_b64 s[2:3], s[0:1]
	s_cbranch_execz .LBB2_70
; %bb.1:
	s_load_dwordx4 s[36:39], s[4:5], 0x98
	s_load_dwordx8 s[8:15], s[4:5], 0x68
	s_load_dwordx8 s[16:23], s[4:5], 0x38
	;; [unrolled: 1-line block ×3, first 2 shown]
	s_load_dword s66, s[4:5], 0x30
	s_load_dwordx2 s[40:41], s[4:5], 0x58
	s_load_dword s67, s[4:5], 0x60
	s_load_dwordx2 s[42:43], s[4:5], 0x88
	s_load_dword s68, s[4:5], 0x90
	v_and_b32_e32 v0, 3, v0
	s_waitcnt lgkmcnt(0)
	v_subrev_u32_e32 v23, s66, v0
	s_addk_i32 s69, 0x400
	v_subrev_u32_e32 v24, s67, v0
	v_subrev_u32_e32 v25, s68, v0
	v_cmp_eq_u32_e64 s[2:3], 0, v0
	v_not_b32_e32 v1, v0
	v_or_b32_e32 v0, 4, v0
	v_cmp_gt_u32_e64 s[0:1], s69, v22
	v_add_u32_e32 v26, s68, v1
	v_subrev_u32_e32 v27, s68, v0
	v_add_u32_e32 v28, s67, v1
	v_subrev_u32_e32 v29, s67, v0
	s_movk_i32 s70, 0x1f8
	v_mov_b32_e32 v1, 0
	s_branch .LBB2_3
.LBB2_2:                                ;   in Loop: Header=BB2_3 Depth=1
	s_or_b64 exec, exec, s[6:7]
	s_add_i32 s33, s33, 1
	s_cmp_eq_u32 s33, s34
	s_cbranch_scc1 .LBB2_70
.LBB2_3:                                ; =>This Loop Header: Depth=1
                                        ;     Child Loop BB2_5 Depth 2
                                        ;       Child Loop BB2_9 Depth 3
                                        ;         Child Loop BB2_13 Depth 4
                                        ;         Child Loop BB2_31 Depth 4
	;; [unrolled: 1-line block ×3, first 2 shown]
                                        ;     Child Loop BB2_51 Depth 2
                                        ;       Child Loop BB2_55 Depth 3
                                        ;       Child Loop BB2_59 Depth 3
	;; [unrolled: 1-line block ×4, first 2 shown]
	s_mov_b32 s71, 0
	s_branch .LBB2_5
.LBB2_4:                                ;   in Loop: Header=BB2_5 Depth=2
	s_or_b64 exec, exec, s[44:45]
	s_add_i32 s71, s71, 1
	s_cmp_eq_u32 s71, 4
	s_cbranch_scc1 .LBB2_48
.LBB2_5:                                ;   Parent Loop BB2_3 Depth=1
                                        ; =>  This Loop Header: Depth=2
                                        ;       Child Loop BB2_9 Depth 3
                                        ;         Child Loop BB2_13 Depth 4
                                        ;         Child Loop BB2_31 Depth 4
                                        ;         Child Loop BB2_41 Depth 4
	v_lshl_add_u32 v2, s71, 8, v22
	v_cmp_gt_i32_e32 vcc, s35, v2
	s_and_saveexec_b64 s[44:45], vcc
	s_cbranch_execz .LBB2_4
; %bb.6:                                ;   in Loop: Header=BB2_5 Depth=2
	v_ashrrev_i32_e32 v3, 31, v2
	v_lshlrev_b64 v[6:7], 2, v[2:3]
	v_mov_b32_e32 v0, s25
	v_add_co_u32_e32 v4, vcc, s24, v6
	v_addc_co_u32_e32 v5, vcc, v0, v7, vcc
	global_load_dword v0, v[4:5], off
	v_mov_b32_e32 v3, s27
	v_add_co_u32_e32 v4, vcc, s26, v6
	v_addc_co_u32_e32 v5, vcc, v3, v7, vcc
	global_load_dword v3, v[4:5], off
	s_waitcnt vmcnt(1)
	v_add_u32_e32 v4, v23, v0
	s_waitcnt vmcnt(0)
	v_subrev_u32_e32 v3, s66, v3
	v_cmp_lt_i32_e32 vcc, v4, v3
	s_and_b64 exec, exec, vcc
	s_cbranch_execz .LBB2_4
; %bb.7:                                ;   in Loop: Header=BB2_5 Depth=2
	v_mov_b32_e32 v0, s19
	v_add_co_u32_e32 v8, vcc, s18, v6
	v_addc_co_u32_e32 v9, vcc, v0, v7, vcc
	v_mov_b32_e32 v0, s17
	v_add_co_u32_e32 v6, vcc, s16, v6
	v_addc_co_u32_e32 v7, vcc, v0, v7, vcc
	global_load_dword v0, v[6:7], off
	global_load_dword v5, v[8:9], off
	v_mov_b32_e32 v10, s21
	v_mov_b32_e32 v11, s23
	s_mov_b64 s[46:47], 0
	s_waitcnt vmcnt(1)
	v_subrev_u32_e32 v6, s67, v0
	v_ashrrev_i32_e32 v7, 31, v6
	v_lshlrev_b64 v[8:9], 2, v[6:7]
	v_add_co_u32_e32 v7, vcc, s20, v8
	v_addc_co_u32_e32 v31, vcc, v10, v9, vcc
	s_waitcnt vmcnt(0)
	v_sub_u32_e32 v30, v5, v0
	v_add_co_u32_e32 v32, vcc, s22, v8
	v_cmp_lt_i32_e64 s[4:5], 0, v30
	v_addc_co_u32_e32 v33, vcc, v11, v9, vcc
	s_branch .LBB2_9
.LBB2_8:                                ;   in Loop: Header=BB2_9 Depth=3
	s_or_b64 exec, exec, s[48:49]
	v_add_u32_e32 v4, 4, v4
	v_cmp_ge_i32_e32 vcc, v4, v3
	s_or_b64 s[46:47], vcc, s[46:47]
	s_andn2_b64 exec, exec, s[46:47]
	s_cbranch_execz .LBB2_4
.LBB2_9:                                ;   Parent Loop BB2_3 Depth=1
                                        ;     Parent Loop BB2_5 Depth=2
                                        ; =>    This Loop Header: Depth=3
                                        ;         Child Loop BB2_13 Depth 4
                                        ;         Child Loop BB2_31 Depth 4
	;; [unrolled: 1-line block ×3, first 2 shown]
	v_ashrrev_i32_e32 v5, 31, v4
	v_lshlrev_b64 v[16:17], 2, v[4:5]
	v_mov_b32_e32 v0, s29
	v_add_co_u32_e32 v8, vcc, s28, v16
	v_addc_co_u32_e32 v9, vcc, v0, v17, vcc
	global_load_dword v0, v[8:9], off
	v_mov_b32_e32 v5, s9
	v_mov_b32_e32 v13, s11
	s_waitcnt vmcnt(0)
	v_subrev_u32_e32 v8, s66, v0
	v_ashrrev_i32_e32 v9, 31, v8
	v_lshlrev_b64 v[14:15], 2, v[8:9]
	v_add_co_u32_e32 v10, vcc, s8, v14
	v_addc_co_u32_e32 v11, vcc, v5, v15, vcc
	v_add_co_u32_e32 v12, vcc, s10, v14
	v_addc_co_u32_e32 v13, vcc, v13, v15, vcc
	global_load_dword v0, v[10:11], off
	global_load_dword v9, v[12:13], off
	v_mov_b32_e32 v5, 0
	v_mov_b32_e32 v12, 0
	s_waitcnt vmcnt(1)
	v_subrev_u32_e32 v10, s68, v0
	s_waitcnt vmcnt(0)
	v_sub_u32_e32 v34, v9, v0
	v_mov_b32_e32 v0, 0
	s_and_saveexec_b64 s[6:7], s[4:5]
	s_cbranch_execz .LBB2_17
; %bb.10:                               ;   in Loop: Header=BB2_9 Depth=3
	v_ashrrev_i32_e32 v11, 31, v10
	v_lshlrev_b64 v[12:13], 2, v[10:11]
	v_mov_b32_e32 v0, s13
	v_add_co_u32_e32 v9, vcc, s12, v12
	v_addc_co_u32_e32 v11, vcc, v0, v13, vcc
	v_mov_b32_e32 v0, s15
	v_add_co_u32_e32 v35, vcc, s14, v12
	v_addc_co_u32_e32 v36, vcc, v0, v13, vcc
	v_mov_b32_e32 v0, 0
	s_mov_b64 s[48:49], 0
	v_mov_b32_e32 v5, 0
	v_mov_b32_e32 v12, v0
                                        ; implicit-def: $sgpr50_sgpr51
	s_branch .LBB2_13
.LBB2_11:                               ;   in Loop: Header=BB2_13 Depth=4
	s_or_b64 exec, exec, s[54:55]
	v_cmp_le_i32_e32 vcc, v13, v37
	v_addc_co_u32_e32 v0, vcc, 0, v0, vcc
	v_cmp_ge_i32_e32 vcc, v13, v37
	v_addc_co_u32_e32 v12, vcc, 0, v12, vcc
	v_cmp_ge_i32_e32 vcc, v0, v30
	s_andn2_b64 s[50:51], s[50:51], exec
	s_and_b64 s[54:55], vcc, exec
	s_or_b64 s[50:51], s[50:51], s[54:55]
.LBB2_12:                               ;   in Loop: Header=BB2_13 Depth=4
	s_or_b64 exec, exec, s[52:53]
	s_and_b64 s[52:53], exec, s[50:51]
	s_or_b64 s[48:49], s[52:53], s[48:49]
	s_andn2_b64 exec, exec, s[48:49]
	s_cbranch_execz .LBB2_16
.LBB2_13:                               ;   Parent Loop BB2_3 Depth=1
                                        ;     Parent Loop BB2_5 Depth=2
                                        ;       Parent Loop BB2_9 Depth=3
                                        ; =>      This Inner Loop Header: Depth=4
	v_cmp_lt_i32_e32 vcc, v12, v34
	s_or_b64 s[50:51], s[50:51], exec
	s_and_saveexec_b64 s[52:53], vcc
	s_cbranch_execz .LBB2_12
; %bb.14:                               ;   in Loop: Header=BB2_13 Depth=4
	v_lshlrev_b64 v[18:19], 2, v[0:1]
	v_add_co_u32_e32 v20, vcc, v7, v18
	v_addc_co_u32_e32 v21, vcc, v31, v19, vcc
	v_mov_b32_e32 v13, v1
	global_load_dword v37, v[20:21], off
	v_lshlrev_b64 v[20:21], 2, v[12:13]
	v_add_co_u32_e32 v38, vcc, v9, v20
	v_addc_co_u32_e32 v39, vcc, v11, v21, vcc
	global_load_dword v38, v[38:39], off
	s_waitcnt vmcnt(1)
	v_subrev_u32_e32 v13, s67, v37
	s_waitcnt vmcnt(0)
	v_subrev_u32_e32 v37, s68, v38
	v_cmp_eq_u32_e32 vcc, v13, v37
	s_and_saveexec_b64 s[54:55], vcc
	s_cbranch_execz .LBB2_11
; %bb.15:                               ;   in Loop: Header=BB2_13 Depth=4
	v_add_co_u32_e32 v18, vcc, v32, v18
	v_addc_co_u32_e32 v19, vcc, v33, v19, vcc
	v_add_co_u32_e32 v20, vcc, v35, v20
	v_addc_co_u32_e32 v21, vcc, v36, v21, vcc
	global_load_dword v18, v[18:19], off
	s_nop 0
	global_load_dword v19, v[20:21], off
	s_waitcnt vmcnt(0)
	v_fmac_f32_e32 v5, v18, v19
	s_branch .LBB2_11
.LBB2_16:                               ;   in Loop: Header=BB2_9 Depth=3
	s_or_b64 exec, exec, s[48:49]
.LBB2_17:                               ;   in Loop: Header=BB2_9 Depth=3
	s_or_b64 exec, exec, s[6:7]
	v_mov_b32_e32 v9, s31
	v_add_co_u32_e32 v16, vcc, s30, v16
	v_addc_co_u32_e32 v17, vcc, v9, v17, vcc
	global_load_dword v9, v[16:17], off
	v_cmp_le_i32_e64 s[6:7], v2, v8
	v_cmp_gt_i32_e32 vcc, v2, v8
	s_waitcnt vmcnt(0)
	v_sub_f32_e32 v5, v9, v5
	s_and_saveexec_b64 s[48:49], vcc
	s_cbranch_execz .LBB2_21
; %bb.18:                               ;   in Loop: Header=BB2_9 Depth=3
	v_mov_b32_e32 v9, s37
	v_add_co_u32_e32 v16, vcc, s36, v14
	v_addc_co_u32_e32 v17, vcc, v9, v15, vcc
	global_load_dword v9, v[16:17], off
	v_mov_b32_e32 v11, 0
	s_waitcnt vmcnt(0)
	v_cmp_lg_f32_e32 vcc, 0, v9
	s_and_saveexec_b64 s[50:51], vcc
; %bb.19:                               ;   in Loop: Header=BB2_9 Depth=3
	v_div_scale_f32 v11, s[52:53], v9, v9, v5
	v_rcp_f32_e32 v13, v11
	v_div_scale_f32 v16, vcc, v5, v9, v5
	v_fma_f32 v17, -v11, v13, 1.0
	v_fmac_f32_e32 v13, v17, v13
	v_mul_f32_e32 v17, v16, v13
	v_fma_f32 v18, -v11, v17, v16
	v_fmac_f32_e32 v17, v18, v13
	v_fma_f32 v11, -v11, v17, v16
	v_div_fmas_f32 v11, v11, v13, v17
	v_div_fixup_f32 v11, v11, v9, v5
; %bb.20:                               ;   in Loop: Header=BB2_9 Depth=3
	s_or_b64 exec, exec, s[50:51]
	v_mov_b32_e32 v5, v11
.LBB2_21:                               ;   in Loop: Header=BB2_9 Depth=3
	s_or_b64 exec, exec, s[48:49]
	v_cmp_class_f32_e64 s[50:51], v5, s70
	s_and_saveexec_b64 s[48:49], s[50:51]
	s_cbranch_execz .LBB2_8
; %bb.22:                               ;   in Loop: Header=BB2_9 Depth=3
	s_mov_b64 s[50:51], 0
                                        ; implicit-def: $vgpr16_vgpr17
	s_and_saveexec_b64 s[52:53], s[6:7]
	s_xor_b64 s[6:7], exec, s[52:53]
	s_cbranch_execnz .LBB2_25
; %bb.23:                               ;   in Loop: Header=BB2_9 Depth=3
	s_andn2_saveexec_b64 s[6:7], s[6:7]
	s_cbranch_execnz .LBB2_38
.LBB2_24:                               ;   in Loop: Header=BB2_9 Depth=3
	s_or_b64 exec, exec, s[6:7]
	s_and_b64 exec, exec, s[50:51]
	s_cbranch_execz .LBB2_8
	s_branch .LBB2_47
.LBB2_25:                               ;   in Loop: Header=BB2_9 Depth=3
	v_cmp_ge_i32_e32 vcc, v2, v8
                                        ; implicit-def: $vgpr16_vgpr17
	s_and_saveexec_b64 s[52:53], vcc
	s_xor_b64 s[52:53], exec, s[52:53]
; %bb.26:                               ;   in Loop: Header=BB2_9 Depth=3
	v_mov_b32_e32 v0, s39
	v_add_co_u32_e32 v16, vcc, s38, v14
	s_mov_b64 s[50:51], exec
	v_addc_co_u32_e32 v17, vcc, v0, v15, vcc
                                        ; implicit-def: $vgpr12
                                        ; implicit-def: $vgpr34
                                        ; implicit-def: $vgpr10
; %bb.27:                               ;   in Loop: Header=BB2_9 Depth=3
	s_andn2_saveexec_b64 s[52:53], s[52:53]
	s_cbranch_execz .LBB2_37
; %bb.28:                               ;   in Loop: Header=BB2_9 Depth=3
	v_cmp_lt_i32_e32 vcc, v12, v34
	s_mov_b64 s[56:57], s[50:51]
                                        ; implicit-def: $vgpr16_vgpr17
	s_and_saveexec_b64 s[54:55], vcc
	s_cbranch_execz .LBB2_36
; %bb.29:                               ;   in Loop: Header=BB2_9 Depth=3
	s_mov_b64 s[58:59], 0
                                        ; implicit-def: $sgpr56_sgpr57
                                        ; implicit-def: $sgpr62_sgpr63
                                        ; implicit-def: $sgpr60_sgpr61
	s_branch .LBB2_31
.LBB2_30:                               ;   in Loop: Header=BB2_31 Depth=4
	s_or_b64 exec, exec, s[64:65]
	s_and_b64 s[64:65], exec, s[62:63]
	s_or_b64 s[58:59], s[64:65], s[58:59]
	s_andn2_b64 s[56:57], s[56:57], exec
	s_and_b64 s[64:65], s[60:61], exec
	s_or_b64 s[56:57], s[56:57], s[64:65]
	s_andn2_b64 exec, exec, s[58:59]
	s_cbranch_execz .LBB2_33
.LBB2_31:                               ;   Parent Loop BB2_3 Depth=1
                                        ;     Parent Loop BB2_5 Depth=2
                                        ;       Parent Loop BB2_9 Depth=3
                                        ; =>      This Inner Loop Header: Depth=4
	v_add_u32_e32 v8, v10, v12
	v_ashrrev_i32_e32 v9, 31, v8
	v_lshlrev_b64 v[8:9], 2, v[8:9]
	v_mov_b32_e32 v0, s13
	v_add_co_u32_e32 v14, vcc, s12, v8
	v_addc_co_u32_e32 v15, vcc, v0, v9, vcc
	global_load_dword v0, v[14:15], off
	s_or_b64 s[60:61], s[60:61], exec
	s_or_b64 s[62:63], s[62:63], exec
	s_waitcnt vmcnt(0)
	v_subrev_u32_e32 v0, s68, v0
	v_cmp_ne_u32_e32 vcc, v0, v2
	s_and_saveexec_b64 s[64:65], vcc
	s_cbranch_execz .LBB2_30
; %bb.32:                               ;   in Loop: Header=BB2_31 Depth=4
	v_add_u32_e32 v12, 1, v12
	v_cmp_ge_i32_e32 vcc, v12, v34
	s_andn2_b64 s[62:63], s[62:63], exec
	s_and_b64 s[72:73], vcc, exec
	s_andn2_b64 s[60:61], s[60:61], exec
	s_or_b64 s[62:63], s[62:63], s[72:73]
	s_branch .LBB2_30
.LBB2_33:                               ;   in Loop: Header=BB2_9 Depth=3
	s_or_b64 exec, exec, s[58:59]
	s_mov_b64 s[58:59], s[50:51]
                                        ; implicit-def: $vgpr16_vgpr17
	s_and_saveexec_b64 s[60:61], s[56:57]
	s_xor_b64 s[56:57], exec, s[60:61]
; %bb.34:                               ;   in Loop: Header=BB2_9 Depth=3
	v_mov_b32_e32 v0, s43
	v_add_co_u32_e32 v16, vcc, s42, v8
	v_addc_co_u32_e32 v17, vcc, v0, v9, vcc
	s_or_b64 s[58:59], s[50:51], exec
; %bb.35:                               ;   in Loop: Header=BB2_9 Depth=3
	s_or_b64 exec, exec, s[56:57]
	s_andn2_b64 s[56:57], s[50:51], exec
	s_and_b64 s[58:59], s[58:59], exec
	s_or_b64 s[56:57], s[56:57], s[58:59]
.LBB2_36:                               ;   in Loop: Header=BB2_9 Depth=3
	s_or_b64 exec, exec, s[54:55]
	s_andn2_b64 s[50:51], s[50:51], exec
	s_and_b64 s[54:55], s[56:57], exec
	s_or_b64 s[50:51], s[50:51], s[54:55]
.LBB2_37:                               ;   in Loop: Header=BB2_9 Depth=3
	s_or_b64 exec, exec, s[52:53]
	s_and_b64 s[50:51], s[50:51], exec
                                        ; implicit-def: $vgpr8_vgpr9
	s_andn2_saveexec_b64 s[6:7], s[6:7]
	s_cbranch_execz .LBB2_24
.LBB2_38:                               ;   in Loop: Header=BB2_9 Depth=3
	v_cmp_lt_i32_e32 vcc, v0, v30
	s_mov_b64 s[54:55], s[50:51]
                                        ; implicit-def: $vgpr16_vgpr17
	s_and_saveexec_b64 s[52:53], vcc
	s_cbranch_execz .LBB2_46
; %bb.39:                               ;   in Loop: Header=BB2_9 Depth=3
	s_mov_b64 s[56:57], 0
                                        ; implicit-def: $sgpr54_sgpr55
                                        ; implicit-def: $sgpr60_sgpr61
                                        ; implicit-def: $sgpr58_sgpr59
	s_branch .LBB2_41
.LBB2_40:                               ;   in Loop: Header=BB2_41 Depth=4
	s_or_b64 exec, exec, s[62:63]
	s_and_b64 s[62:63], exec, s[60:61]
	s_or_b64 s[56:57], s[62:63], s[56:57]
	s_andn2_b64 s[54:55], s[54:55], exec
	s_and_b64 s[62:63], s[58:59], exec
	s_or_b64 s[54:55], s[54:55], s[62:63]
	s_andn2_b64 exec, exec, s[56:57]
	s_cbranch_execz .LBB2_43
.LBB2_41:                               ;   Parent Loop BB2_3 Depth=1
                                        ;     Parent Loop BB2_5 Depth=2
                                        ;       Parent Loop BB2_9 Depth=3
                                        ; =>      This Inner Loop Header: Depth=4
	v_add_u32_e32 v10, v6, v0
	v_ashrrev_i32_e32 v11, 31, v10
	v_lshlrev_b64 v[10:11], 2, v[10:11]
	v_mov_b32_e32 v9, s21
	v_add_co_u32_e32 v12, vcc, s20, v10
	v_addc_co_u32_e32 v13, vcc, v9, v11, vcc
	global_load_dword v9, v[12:13], off
	s_or_b64 s[58:59], s[58:59], exec
	s_or_b64 s[60:61], s[60:61], exec
	s_waitcnt vmcnt(0)
	v_subrev_u32_e32 v9, s67, v9
	v_cmp_ne_u32_e32 vcc, v9, v8
	s_and_saveexec_b64 s[62:63], vcc
	s_cbranch_execz .LBB2_40
; %bb.42:                               ;   in Loop: Header=BB2_41 Depth=4
	v_add_u32_e32 v0, 1, v0
	v_cmp_ge_i32_e32 vcc, v0, v30
	s_andn2_b64 s[60:61], s[60:61], exec
	s_and_b64 s[64:65], vcc, exec
	s_andn2_b64 s[58:59], s[58:59], exec
	s_or_b64 s[60:61], s[60:61], s[64:65]
	s_branch .LBB2_40
.LBB2_43:                               ;   in Loop: Header=BB2_9 Depth=3
	s_or_b64 exec, exec, s[56:57]
	s_mov_b64 s[56:57], s[50:51]
                                        ; implicit-def: $vgpr16_vgpr17
	s_and_saveexec_b64 s[58:59], s[54:55]
	s_xor_b64 s[54:55], exec, s[58:59]
; %bb.44:                               ;   in Loop: Header=BB2_9 Depth=3
	v_mov_b32_e32 v0, s41
	v_add_co_u32_e32 v16, vcc, s40, v10
	v_addc_co_u32_e32 v17, vcc, v0, v11, vcc
	s_or_b64 s[56:57], s[50:51], exec
; %bb.45:                               ;   in Loop: Header=BB2_9 Depth=3
	s_or_b64 exec, exec, s[54:55]
	s_andn2_b64 s[54:55], s[50:51], exec
	s_and_b64 s[56:57], s[56:57], exec
	s_or_b64 s[54:55], s[54:55], s[56:57]
.LBB2_46:                               ;   in Loop: Header=BB2_9 Depth=3
	s_or_b64 exec, exec, s[52:53]
	s_andn2_b64 s[50:51], s[50:51], exec
	s_and_b64 s[52:53], s[54:55], exec
	s_or_b64 s[50:51], s[50:51], s[52:53]
	s_or_b64 exec, exec, s[6:7]
	s_and_b64 exec, exec, s[50:51]
	s_cbranch_execz .LBB2_8
.LBB2_47:                               ;   in Loop: Header=BB2_9 Depth=3
	global_store_dword v[16:17], v5, off
	s_branch .LBB2_8
.LBB2_48:                               ;   in Loop: Header=BB2_3 Depth=1
	s_and_saveexec_b64 s[6:7], s[0:1]
	s_cbranch_execz .LBB2_2
; %bb.49:                               ;   in Loop: Header=BB2_3 Depth=1
	s_mov_b64 s[44:45], 0
	v_mov_b32_e32 v2, v22
	s_branch .LBB2_51
.LBB2_50:                               ;   in Loop: Header=BB2_51 Depth=2
	s_or_b64 exec, exec, s[46:47]
	v_add_u32_e32 v2, 0x100, v2
	v_cmp_le_u32_e32 vcc, s69, v2
	s_or_b64 s[44:45], vcc, s[44:45]
	s_andn2_b64 exec, exec, s[44:45]
	s_cbranch_execz .LBB2_2
.LBB2_51:                               ;   Parent Loop BB2_3 Depth=1
                                        ; =>  This Loop Header: Depth=2
                                        ;       Child Loop BB2_55 Depth 3
                                        ;       Child Loop BB2_59 Depth 3
	;; [unrolled: 1-line block ×4, first 2 shown]
	v_cmp_gt_i32_e32 vcc, s35, v2
	s_and_saveexec_b64 s[46:47], vcc
	s_cbranch_execz .LBB2_50
; %bb.52:                               ;   in Loop: Header=BB2_51 Depth=2
	v_ashrrev_i32_e32 v3, 31, v2
	v_lshlrev_b64 v[4:5], 2, v[2:3]
	v_mov_b32_e32 v0, s17
	v_add_co_u32_e32 v6, vcc, s16, v4
	v_addc_co_u32_e32 v7, vcc, v0, v5, vcc
	global_load_dword v3, v[6:7], off
	v_mov_b32_e32 v0, s19
	v_add_co_u32_e32 v6, vcc, s18, v4
	v_addc_co_u32_e32 v7, vcc, v0, v5, vcc
	global_load_dword v0, v[6:7], off
	s_waitcnt vmcnt(1)
	v_add_u32_e32 v6, v24, v3
	s_waitcnt vmcnt(0)
	v_subrev_u32_e32 v0, s67, v0
	v_cmp_lt_i32_e32 vcc, v6, v0
	s_and_saveexec_b64 s[48:49], vcc
	s_cbranch_execz .LBB2_60
; %bb.53:                               ;   in Loop: Header=BB2_51 Depth=2
	v_add_u32_e32 v7, v29, v3
	v_max_i32_e32 v7, v7, v0
	v_add_u32_e32 v7, v28, v7
	v_sub_u32_e32 v3, v7, v3
	v_cmp_lt_u32_e32 vcc, 3, v3
	s_mov_b64 s[4:5], -1
	s_and_saveexec_b64 s[50:51], vcc
	s_cbranch_execz .LBB2_57
; %bb.54:                               ;   in Loop: Header=BB2_51 Depth=2
	v_lshrrev_b32_e32 v3, 2, v3
	v_add_u32_e32 v3, 1, v3
	v_and_b32_e32 v10, 0x7ffffffe, v3
	v_add_u32_e32 v7, 4, v6
	s_mov_b64 s[52:53], 0
	v_mov_b32_e32 v11, v10
	v_pk_mov_b32 v[8:9], v[6:7], v[6:7] op_sel:[0,1]
.LBB2_55:                               ;   Parent Loop BB2_3 Depth=1
                                        ;     Parent Loop BB2_51 Depth=2
                                        ; =>    This Inner Loop Header: Depth=3
	v_ashrrev_i32_e32 v15, 31, v8
	v_mov_b32_e32 v14, v8
	v_lshlrev_b64 v[14:15], 2, v[14:15]
	v_ashrrev_i32_e32 v13, 31, v9
	v_mov_b32_e32 v12, v9
	v_mov_b32_e32 v7, s41
	v_add_co_u32_e32 v16, vcc, s40, v14
	v_lshlrev_b64 v[12:13], 2, v[12:13]
	v_addc_co_u32_e32 v17, vcc, v7, v15, vcc
	v_add_co_u32_e32 v18, vcc, s40, v12
	v_addc_co_u32_e32 v19, vcc, v7, v13, vcc
	global_load_dword v7, v[16:17], off
	s_nop 0
	global_load_dword v16, v[18:19], off
	v_mov_b32_e32 v17, s23
	v_add_u32_e32 v11, -2, v11
	v_add_co_u32_e64 v14, s[4:5], s22, v14
	v_cmp_eq_u32_e32 vcc, 0, v11
	v_addc_co_u32_e64 v15, s[4:5], v17, v15, s[4:5]
	v_add_u32_e32 v9, 8, v9
	v_add_u32_e32 v8, 8, v8
	v_add_co_u32_e64 v12, s[4:5], s22, v12
	s_or_b64 s[52:53], vcc, s[52:53]
	v_addc_co_u32_e64 v13, s[4:5], v17, v13, s[4:5]
	s_waitcnt vmcnt(1)
	global_store_dword v[14:15], v7, off
	s_waitcnt vmcnt(1)
	global_store_dword v[12:13], v16, off
	s_andn2_b64 exec, exec, s[52:53]
	s_cbranch_execnz .LBB2_55
; %bb.56:                               ;   in Loop: Header=BB2_51 Depth=2
	s_or_b64 exec, exec, s[52:53]
	v_cmp_ne_u32_e32 vcc, v3, v10
	v_lshl_add_u32 v6, v10, 2, v6
	s_orn2_b64 s[4:5], vcc, exec
.LBB2_57:                               ;   in Loop: Header=BB2_51 Depth=2
	s_or_b64 exec, exec, s[50:51]
	s_and_b64 exec, exec, s[4:5]
	s_cbranch_execz .LBB2_60
; %bb.58:                               ;   in Loop: Header=BB2_51 Depth=2
	v_ashrrev_i32_e32 v7, 31, v6
	v_lshlrev_b64 v[10:11], 2, v[6:7]
	v_mov_b32_e32 v3, s41
	v_add_co_u32_e32 v8, vcc, s40, v10
	v_addc_co_u32_e32 v9, vcc, v3, v11, vcc
	v_mov_b32_e32 v3, s23
	v_add_co_u32_e32 v10, vcc, s22, v10
	v_addc_co_u32_e32 v11, vcc, v3, v11, vcc
	s_mov_b64 s[4:5], 0
.LBB2_59:                               ;   Parent Loop BB2_3 Depth=1
                                        ;     Parent Loop BB2_51 Depth=2
                                        ; =>    This Inner Loop Header: Depth=3
	global_load_dword v3, v[8:9], off
	v_add_co_u32_e32 v8, vcc, 16, v8
	v_add_u32_e32 v6, 4, v6
	v_addc_co_u32_e32 v9, vcc, 0, v9, vcc
	v_cmp_ge_i32_e32 vcc, v6, v0
	s_or_b64 s[4:5], vcc, s[4:5]
	s_waitcnt vmcnt(0)
	global_store_dword v[10:11], v3, off
	v_add_co_u32_e32 v10, vcc, 16, v10
	v_addc_co_u32_e32 v11, vcc, 0, v11, vcc
	s_andn2_b64 exec, exec, s[4:5]
	s_cbranch_execnz .LBB2_59
.LBB2_60:                               ;   in Loop: Header=BB2_51 Depth=2
	s_or_b64 exec, exec, s[48:49]
	v_mov_b32_e32 v0, s9
	v_add_co_u32_e32 v6, vcc, s8, v4
	v_addc_co_u32_e32 v7, vcc, v0, v5, vcc
	global_load_dword v3, v[6:7], off
	v_mov_b32_e32 v0, s11
	v_add_co_u32_e32 v6, vcc, s10, v4
	v_addc_co_u32_e32 v7, vcc, v0, v5, vcc
	global_load_dword v0, v[6:7], off
	s_waitcnt vmcnt(1)
	v_add_u32_e32 v6, v25, v3
	s_waitcnt vmcnt(0)
	v_subrev_u32_e32 v0, s68, v0
	v_cmp_lt_i32_e32 vcc, v6, v0
	s_and_saveexec_b64 s[48:49], vcc
	s_cbranch_execz .LBB2_68
; %bb.61:                               ;   in Loop: Header=BB2_51 Depth=2
	v_add_u32_e32 v7, v27, v3
	v_max_i32_e32 v7, v7, v0
	v_add_u32_e32 v7, v26, v7
	v_sub_u32_e32 v3, v7, v3
	v_cmp_lt_u32_e32 vcc, 3, v3
	s_mov_b64 s[4:5], -1
	s_and_saveexec_b64 s[50:51], vcc
	s_cbranch_execz .LBB2_65
; %bb.62:                               ;   in Loop: Header=BB2_51 Depth=2
	v_lshrrev_b32_e32 v3, 2, v3
	v_add_u32_e32 v3, 1, v3
	v_and_b32_e32 v10, 0x7ffffffe, v3
	v_add_u32_e32 v7, 4, v6
	s_mov_b64 s[52:53], 0
	v_mov_b32_e32 v11, v10
	v_pk_mov_b32 v[8:9], v[6:7], v[6:7] op_sel:[0,1]
.LBB2_63:                               ;   Parent Loop BB2_3 Depth=1
                                        ;     Parent Loop BB2_51 Depth=2
                                        ; =>    This Inner Loop Header: Depth=3
	v_ashrrev_i32_e32 v15, 31, v8
	v_mov_b32_e32 v14, v8
	v_lshlrev_b64 v[14:15], 2, v[14:15]
	v_ashrrev_i32_e32 v13, 31, v9
	v_mov_b32_e32 v12, v9
	v_mov_b32_e32 v7, s43
	v_add_co_u32_e32 v16, vcc, s42, v14
	v_lshlrev_b64 v[12:13], 2, v[12:13]
	v_addc_co_u32_e32 v17, vcc, v7, v15, vcc
	v_add_co_u32_e32 v18, vcc, s42, v12
	v_addc_co_u32_e32 v19, vcc, v7, v13, vcc
	global_load_dword v7, v[16:17], off
	s_nop 0
	global_load_dword v16, v[18:19], off
	v_mov_b32_e32 v17, s15
	v_add_u32_e32 v11, -2, v11
	v_add_co_u32_e64 v14, s[4:5], s14, v14
	v_cmp_eq_u32_e32 vcc, 0, v11
	v_addc_co_u32_e64 v15, s[4:5], v17, v15, s[4:5]
	v_add_u32_e32 v9, 8, v9
	v_add_u32_e32 v8, 8, v8
	v_add_co_u32_e64 v12, s[4:5], s14, v12
	s_or_b64 s[52:53], vcc, s[52:53]
	v_addc_co_u32_e64 v13, s[4:5], v17, v13, s[4:5]
	s_waitcnt vmcnt(1)
	global_store_dword v[14:15], v7, off
	s_waitcnt vmcnt(1)
	global_store_dword v[12:13], v16, off
	s_andn2_b64 exec, exec, s[52:53]
	s_cbranch_execnz .LBB2_63
; %bb.64:                               ;   in Loop: Header=BB2_51 Depth=2
	s_or_b64 exec, exec, s[52:53]
	v_cmp_ne_u32_e32 vcc, v3, v10
	v_lshl_add_u32 v6, v10, 2, v6
	s_orn2_b64 s[4:5], vcc, exec
.LBB2_65:                               ;   in Loop: Header=BB2_51 Depth=2
	s_or_b64 exec, exec, s[50:51]
	s_and_b64 exec, exec, s[4:5]
	s_cbranch_execz .LBB2_68
; %bb.66:                               ;   in Loop: Header=BB2_51 Depth=2
	v_ashrrev_i32_e32 v7, 31, v6
	v_lshlrev_b64 v[10:11], 2, v[6:7]
	v_mov_b32_e32 v3, s43
	v_add_co_u32_e32 v8, vcc, s42, v10
	v_addc_co_u32_e32 v9, vcc, v3, v11, vcc
	v_mov_b32_e32 v3, s15
	v_add_co_u32_e32 v10, vcc, s14, v10
	v_addc_co_u32_e32 v11, vcc, v3, v11, vcc
	s_mov_b64 s[4:5], 0
.LBB2_67:                               ;   Parent Loop BB2_3 Depth=1
                                        ;     Parent Loop BB2_51 Depth=2
                                        ; =>    This Inner Loop Header: Depth=3
	global_load_dword v3, v[8:9], off
	v_add_co_u32_e32 v8, vcc, 16, v8
	v_add_u32_e32 v6, 4, v6
	v_addc_co_u32_e32 v9, vcc, 0, v9, vcc
	v_cmp_ge_i32_e32 vcc, v6, v0
	s_or_b64 s[4:5], vcc, s[4:5]
	s_waitcnt vmcnt(0)
	global_store_dword v[10:11], v3, off
	v_add_co_u32_e32 v10, vcc, 16, v10
	v_addc_co_u32_e32 v11, vcc, 0, v11, vcc
	s_andn2_b64 exec, exec, s[4:5]
	s_cbranch_execnz .LBB2_67
.LBB2_68:                               ;   in Loop: Header=BB2_51 Depth=2
	s_or_b64 exec, exec, s[48:49]
	s_and_b64 exec, exec, s[2:3]
	s_cbranch_execz .LBB2_50
; %bb.69:                               ;   in Loop: Header=BB2_51 Depth=2
	v_mov_b32_e32 v0, s39
	v_add_co_u32_e32 v6, vcc, s38, v4
	v_addc_co_u32_e32 v7, vcc, v0, v5, vcc
	global_load_dword v0, v[6:7], off
	v_mov_b32_e32 v3, s37
	v_add_co_u32_e32 v4, vcc, s36, v4
	v_addc_co_u32_e32 v5, vcc, v3, v5, vcc
	s_waitcnt vmcnt(0)
	global_store_dword v[4:5], v0, off
	s_branch .LBB2_50
.LBB2_70:
	s_endpgm
	.section	.rodata,"a",@progbits
	.p2align	6, 0x0
	.amdhsa_kernel _ZN9rocsparseL14kernel_freerunILi1024ELi4EfiiEEvT3_S1_T2_PKS2_S4_PKS1_PKT1_21rocsparse_index_base_S4_S4_S6_PS7_SB_SA_S4_S4_S6_SB_SB_SA_SB_SB_
		.amdhsa_group_segment_fixed_size 0
		.amdhsa_private_segment_fixed_size 0
		.amdhsa_kernarg_size 168
		.amdhsa_user_sgpr_count 6
		.amdhsa_user_sgpr_private_segment_buffer 1
		.amdhsa_user_sgpr_dispatch_ptr 0
		.amdhsa_user_sgpr_queue_ptr 0
		.amdhsa_user_sgpr_kernarg_segment_ptr 1
		.amdhsa_user_sgpr_dispatch_id 0
		.amdhsa_user_sgpr_flat_scratch_init 0
		.amdhsa_user_sgpr_kernarg_preload_length 0
		.amdhsa_user_sgpr_kernarg_preload_offset 0
		.amdhsa_user_sgpr_private_segment_size 0
		.amdhsa_uses_dynamic_stack 0
		.amdhsa_system_sgpr_private_segment_wavefront_offset 0
		.amdhsa_system_sgpr_workgroup_id_x 1
		.amdhsa_system_sgpr_workgroup_id_y 0
		.amdhsa_system_sgpr_workgroup_id_z 0
		.amdhsa_system_sgpr_workgroup_info 0
		.amdhsa_system_vgpr_workitem_id 0
		.amdhsa_next_free_vgpr 40
		.amdhsa_next_free_sgpr 74
		.amdhsa_accum_offset 40
		.amdhsa_reserve_vcc 1
		.amdhsa_reserve_flat_scratch 0
		.amdhsa_float_round_mode_32 0
		.amdhsa_float_round_mode_16_64 0
		.amdhsa_float_denorm_mode_32 3
		.amdhsa_float_denorm_mode_16_64 3
		.amdhsa_dx10_clamp 1
		.amdhsa_ieee_mode 1
		.amdhsa_fp16_overflow 0
		.amdhsa_tg_split 0
		.amdhsa_exception_fp_ieee_invalid_op 0
		.amdhsa_exception_fp_denorm_src 0
		.amdhsa_exception_fp_ieee_div_zero 0
		.amdhsa_exception_fp_ieee_overflow 0
		.amdhsa_exception_fp_ieee_underflow 0
		.amdhsa_exception_fp_ieee_inexact 0
		.amdhsa_exception_int_div_zero 0
	.end_amdhsa_kernel
	.section	.text._ZN9rocsparseL14kernel_freerunILi1024ELi4EfiiEEvT3_S1_T2_PKS2_S4_PKS1_PKT1_21rocsparse_index_base_S4_S4_S6_PS7_SB_SA_S4_S4_S6_SB_SB_SA_SB_SB_,"axG",@progbits,_ZN9rocsparseL14kernel_freerunILi1024ELi4EfiiEEvT3_S1_T2_PKS2_S4_PKS1_PKT1_21rocsparse_index_base_S4_S4_S6_PS7_SB_SA_S4_S4_S6_SB_SB_SA_SB_SB_,comdat
.Lfunc_end2:
	.size	_ZN9rocsparseL14kernel_freerunILi1024ELi4EfiiEEvT3_S1_T2_PKS2_S4_PKS1_PKT1_21rocsparse_index_base_S4_S4_S6_PS7_SB_SA_S4_S4_S6_SB_SB_SA_SB_SB_, .Lfunc_end2-_ZN9rocsparseL14kernel_freerunILi1024ELi4EfiiEEvT3_S1_T2_PKS2_S4_PKS1_PKT1_21rocsparse_index_base_S4_S4_S6_PS7_SB_SA_S4_S4_S6_SB_SB_SA_SB_SB_
                                        ; -- End function
	.section	.AMDGPU.csdata,"",@progbits
; Kernel info:
; codeLenInByte = 2576
; NumSgprs: 78
; NumVgprs: 40
; NumAgprs: 0
; TotalNumVgprs: 40
; ScratchSize: 0
; MemoryBound: 0
; FloatMode: 240
; IeeeMode: 1
; LDSByteSize: 0 bytes/workgroup (compile time only)
; SGPRBlocks: 9
; VGPRBlocks: 4
; NumSGPRsForWavesPerEU: 78
; NumVGPRsForWavesPerEU: 40
; AccumOffset: 40
; Occupancy: 8
; WaveLimiterHint : 1
; COMPUTE_PGM_RSRC2:SCRATCH_EN: 0
; COMPUTE_PGM_RSRC2:USER_SGPR: 6
; COMPUTE_PGM_RSRC2:TRAP_HANDLER: 0
; COMPUTE_PGM_RSRC2:TGID_X_EN: 1
; COMPUTE_PGM_RSRC2:TGID_Y_EN: 0
; COMPUTE_PGM_RSRC2:TGID_Z_EN: 0
; COMPUTE_PGM_RSRC2:TIDIG_COMP_CNT: 0
; COMPUTE_PGM_RSRC3_GFX90A:ACCUM_OFFSET: 9
; COMPUTE_PGM_RSRC3_GFX90A:TG_SPLIT: 0
	.section	.text._ZN9rocsparseL14kernel_freerunILi1024ELi8EfiiEEvT3_S1_T2_PKS2_S4_PKS1_PKT1_21rocsparse_index_base_S4_S4_S6_PS7_SB_SA_S4_S4_S6_SB_SB_SA_SB_SB_,"axG",@progbits,_ZN9rocsparseL14kernel_freerunILi1024ELi8EfiiEEvT3_S1_T2_PKS2_S4_PKS1_PKT1_21rocsparse_index_base_S4_S4_S6_PS7_SB_SA_S4_S4_S6_SB_SB_SA_SB_SB_,comdat
	.globl	_ZN9rocsparseL14kernel_freerunILi1024ELi8EfiiEEvT3_S1_T2_PKS2_S4_PKS1_PKT1_21rocsparse_index_base_S4_S4_S6_PS7_SB_SA_S4_S4_S6_SB_SB_SA_SB_SB_ ; -- Begin function _ZN9rocsparseL14kernel_freerunILi1024ELi8EfiiEEvT3_S1_T2_PKS2_S4_PKS1_PKT1_21rocsparse_index_base_S4_S4_S6_PS7_SB_SA_S4_S4_S6_SB_SB_SA_SB_SB_
	.p2align	8
	.type	_ZN9rocsparseL14kernel_freerunILi1024ELi8EfiiEEvT3_S1_T2_PKS2_S4_PKS1_PKT1_21rocsparse_index_base_S4_S4_S6_PS7_SB_SA_S4_S4_S6_SB_SB_SA_SB_SB_,@function
_ZN9rocsparseL14kernel_freerunILi1024ELi8EfiiEEvT3_S1_T2_PKS2_S4_PKS1_PKT1_21rocsparse_index_base_S4_S4_S6_PS7_SB_SA_S4_S4_S6_SB_SB_SA_SB_SB_: ; @_ZN9rocsparseL14kernel_freerunILi1024ELi8EfiiEEvT3_S1_T2_PKS2_S4_PKS1_PKT1_21rocsparse_index_base_S4_S4_S6_PS7_SB_SA_S4_S4_S6_SB_SB_SA_SB_SB_
; %bb.0:
	s_load_dwordx2 s[34:35], s[4:5], 0x0
	v_lshrrev_b32_e32 v1, 3, v0
	s_lshl_b32 s69, s6, 10
	v_or_b32_e32 v22, s69, v1
	s_mov_b32 s33, 0
	s_waitcnt lgkmcnt(0)
	s_cmp_gt_i32 s34, 0
	v_cmp_gt_i32_e32 vcc, s35, v22
	s_cselect_b64 s[0:1], -1, 0
	s_and_b64 s[0:1], vcc, s[0:1]
	s_and_saveexec_b64 s[2:3], s[0:1]
	s_cbranch_execz .LBB3_70
; %bb.1:
	s_load_dwordx4 s[36:39], s[4:5], 0x98
	s_load_dwordx8 s[8:15], s[4:5], 0x68
	s_load_dwordx8 s[16:23], s[4:5], 0x38
	;; [unrolled: 1-line block ×3, first 2 shown]
	s_load_dword s66, s[4:5], 0x30
	s_load_dwordx2 s[40:41], s[4:5], 0x58
	s_load_dword s67, s[4:5], 0x60
	s_load_dwordx2 s[42:43], s[4:5], 0x88
	s_load_dword s68, s[4:5], 0x90
	v_and_b32_e32 v0, 7, v0
	s_waitcnt lgkmcnt(0)
	v_subrev_u32_e32 v23, s66, v0
	s_addk_i32 s69, 0x400
	v_subrev_u32_e32 v24, s67, v0
	v_subrev_u32_e32 v25, s68, v0
	v_cmp_eq_u32_e64 s[2:3], 0, v0
	v_not_b32_e32 v1, v0
	v_or_b32_e32 v0, 8, v0
	v_cmp_gt_u32_e64 s[0:1], s69, v22
	v_add_u32_e32 v26, s68, v1
	v_subrev_u32_e32 v27, s68, v0
	v_add_u32_e32 v28, s67, v1
	v_subrev_u32_e32 v29, s67, v0
	s_movk_i32 s70, 0x1f8
	v_mov_b32_e32 v1, 0
	s_branch .LBB3_3
.LBB3_2:                                ;   in Loop: Header=BB3_3 Depth=1
	s_or_b64 exec, exec, s[6:7]
	s_add_i32 s33, s33, 1
	s_cmp_eq_u32 s33, s34
	s_cbranch_scc1 .LBB3_70
.LBB3_3:                                ; =>This Loop Header: Depth=1
                                        ;     Child Loop BB3_5 Depth 2
                                        ;       Child Loop BB3_9 Depth 3
                                        ;         Child Loop BB3_13 Depth 4
                                        ;         Child Loop BB3_31 Depth 4
                                        ;         Child Loop BB3_41 Depth 4
                                        ;     Child Loop BB3_51 Depth 2
                                        ;       Child Loop BB3_55 Depth 3
                                        ;       Child Loop BB3_59 Depth 3
	;; [unrolled: 1-line block ×4, first 2 shown]
	s_mov_b32 s71, 0
	s_branch .LBB3_5
.LBB3_4:                                ;   in Loop: Header=BB3_5 Depth=2
	s_or_b64 exec, exec, s[44:45]
	s_add_i32 s71, s71, 1
	s_cmp_eq_u32 s71, 8
	s_cbranch_scc1 .LBB3_48
.LBB3_5:                                ;   Parent Loop BB3_3 Depth=1
                                        ; =>  This Loop Header: Depth=2
                                        ;       Child Loop BB3_9 Depth 3
                                        ;         Child Loop BB3_13 Depth 4
                                        ;         Child Loop BB3_31 Depth 4
	;; [unrolled: 1-line block ×3, first 2 shown]
	v_lshl_add_u32 v2, s71, 7, v22
	v_cmp_gt_i32_e32 vcc, s35, v2
	s_and_saveexec_b64 s[44:45], vcc
	s_cbranch_execz .LBB3_4
; %bb.6:                                ;   in Loop: Header=BB3_5 Depth=2
	v_ashrrev_i32_e32 v3, 31, v2
	v_lshlrev_b64 v[6:7], 2, v[2:3]
	v_mov_b32_e32 v0, s25
	v_add_co_u32_e32 v4, vcc, s24, v6
	v_addc_co_u32_e32 v5, vcc, v0, v7, vcc
	global_load_dword v0, v[4:5], off
	v_mov_b32_e32 v3, s27
	v_add_co_u32_e32 v4, vcc, s26, v6
	v_addc_co_u32_e32 v5, vcc, v3, v7, vcc
	global_load_dword v3, v[4:5], off
	s_waitcnt vmcnt(1)
	v_add_u32_e32 v4, v23, v0
	s_waitcnt vmcnt(0)
	v_subrev_u32_e32 v3, s66, v3
	v_cmp_lt_i32_e32 vcc, v4, v3
	s_and_b64 exec, exec, vcc
	s_cbranch_execz .LBB3_4
; %bb.7:                                ;   in Loop: Header=BB3_5 Depth=2
	v_mov_b32_e32 v0, s19
	v_add_co_u32_e32 v8, vcc, s18, v6
	v_addc_co_u32_e32 v9, vcc, v0, v7, vcc
	v_mov_b32_e32 v0, s17
	v_add_co_u32_e32 v6, vcc, s16, v6
	v_addc_co_u32_e32 v7, vcc, v0, v7, vcc
	global_load_dword v0, v[6:7], off
	global_load_dword v5, v[8:9], off
	v_mov_b32_e32 v10, s21
	v_mov_b32_e32 v11, s23
	s_mov_b64 s[46:47], 0
	s_waitcnt vmcnt(1)
	v_subrev_u32_e32 v6, s67, v0
	v_ashrrev_i32_e32 v7, 31, v6
	v_lshlrev_b64 v[8:9], 2, v[6:7]
	v_add_co_u32_e32 v7, vcc, s20, v8
	v_addc_co_u32_e32 v31, vcc, v10, v9, vcc
	s_waitcnt vmcnt(0)
	v_sub_u32_e32 v30, v5, v0
	v_add_co_u32_e32 v32, vcc, s22, v8
	v_cmp_lt_i32_e64 s[4:5], 0, v30
	v_addc_co_u32_e32 v33, vcc, v11, v9, vcc
	s_branch .LBB3_9
.LBB3_8:                                ;   in Loop: Header=BB3_9 Depth=3
	s_or_b64 exec, exec, s[48:49]
	v_add_u32_e32 v4, 8, v4
	v_cmp_ge_i32_e32 vcc, v4, v3
	s_or_b64 s[46:47], vcc, s[46:47]
	s_andn2_b64 exec, exec, s[46:47]
	s_cbranch_execz .LBB3_4
.LBB3_9:                                ;   Parent Loop BB3_3 Depth=1
                                        ;     Parent Loop BB3_5 Depth=2
                                        ; =>    This Loop Header: Depth=3
                                        ;         Child Loop BB3_13 Depth 4
                                        ;         Child Loop BB3_31 Depth 4
	;; [unrolled: 1-line block ×3, first 2 shown]
	v_ashrrev_i32_e32 v5, 31, v4
	v_lshlrev_b64 v[16:17], 2, v[4:5]
	v_mov_b32_e32 v0, s29
	v_add_co_u32_e32 v8, vcc, s28, v16
	v_addc_co_u32_e32 v9, vcc, v0, v17, vcc
	global_load_dword v0, v[8:9], off
	v_mov_b32_e32 v5, s9
	v_mov_b32_e32 v13, s11
	s_waitcnt vmcnt(0)
	v_subrev_u32_e32 v8, s66, v0
	v_ashrrev_i32_e32 v9, 31, v8
	v_lshlrev_b64 v[14:15], 2, v[8:9]
	v_add_co_u32_e32 v10, vcc, s8, v14
	v_addc_co_u32_e32 v11, vcc, v5, v15, vcc
	v_add_co_u32_e32 v12, vcc, s10, v14
	v_addc_co_u32_e32 v13, vcc, v13, v15, vcc
	global_load_dword v0, v[10:11], off
	global_load_dword v9, v[12:13], off
	v_mov_b32_e32 v5, 0
	v_mov_b32_e32 v12, 0
	s_waitcnt vmcnt(1)
	v_subrev_u32_e32 v10, s68, v0
	s_waitcnt vmcnt(0)
	v_sub_u32_e32 v34, v9, v0
	v_mov_b32_e32 v0, 0
	s_and_saveexec_b64 s[6:7], s[4:5]
	s_cbranch_execz .LBB3_17
; %bb.10:                               ;   in Loop: Header=BB3_9 Depth=3
	v_ashrrev_i32_e32 v11, 31, v10
	v_lshlrev_b64 v[12:13], 2, v[10:11]
	v_mov_b32_e32 v0, s13
	v_add_co_u32_e32 v9, vcc, s12, v12
	v_addc_co_u32_e32 v11, vcc, v0, v13, vcc
	v_mov_b32_e32 v0, s15
	v_add_co_u32_e32 v35, vcc, s14, v12
	v_addc_co_u32_e32 v36, vcc, v0, v13, vcc
	v_mov_b32_e32 v0, 0
	s_mov_b64 s[48:49], 0
	v_mov_b32_e32 v5, 0
	v_mov_b32_e32 v12, v0
                                        ; implicit-def: $sgpr50_sgpr51
	s_branch .LBB3_13
.LBB3_11:                               ;   in Loop: Header=BB3_13 Depth=4
	s_or_b64 exec, exec, s[54:55]
	v_cmp_le_i32_e32 vcc, v13, v37
	v_addc_co_u32_e32 v0, vcc, 0, v0, vcc
	v_cmp_ge_i32_e32 vcc, v13, v37
	v_addc_co_u32_e32 v12, vcc, 0, v12, vcc
	v_cmp_ge_i32_e32 vcc, v0, v30
	s_andn2_b64 s[50:51], s[50:51], exec
	s_and_b64 s[54:55], vcc, exec
	s_or_b64 s[50:51], s[50:51], s[54:55]
.LBB3_12:                               ;   in Loop: Header=BB3_13 Depth=4
	s_or_b64 exec, exec, s[52:53]
	s_and_b64 s[52:53], exec, s[50:51]
	s_or_b64 s[48:49], s[52:53], s[48:49]
	s_andn2_b64 exec, exec, s[48:49]
	s_cbranch_execz .LBB3_16
.LBB3_13:                               ;   Parent Loop BB3_3 Depth=1
                                        ;     Parent Loop BB3_5 Depth=2
                                        ;       Parent Loop BB3_9 Depth=3
                                        ; =>      This Inner Loop Header: Depth=4
	v_cmp_lt_i32_e32 vcc, v12, v34
	s_or_b64 s[50:51], s[50:51], exec
	s_and_saveexec_b64 s[52:53], vcc
	s_cbranch_execz .LBB3_12
; %bb.14:                               ;   in Loop: Header=BB3_13 Depth=4
	v_lshlrev_b64 v[18:19], 2, v[0:1]
	v_add_co_u32_e32 v20, vcc, v7, v18
	v_addc_co_u32_e32 v21, vcc, v31, v19, vcc
	v_mov_b32_e32 v13, v1
	global_load_dword v37, v[20:21], off
	v_lshlrev_b64 v[20:21], 2, v[12:13]
	v_add_co_u32_e32 v38, vcc, v9, v20
	v_addc_co_u32_e32 v39, vcc, v11, v21, vcc
	global_load_dword v38, v[38:39], off
	s_waitcnt vmcnt(1)
	v_subrev_u32_e32 v13, s67, v37
	s_waitcnt vmcnt(0)
	v_subrev_u32_e32 v37, s68, v38
	v_cmp_eq_u32_e32 vcc, v13, v37
	s_and_saveexec_b64 s[54:55], vcc
	s_cbranch_execz .LBB3_11
; %bb.15:                               ;   in Loop: Header=BB3_13 Depth=4
	v_add_co_u32_e32 v18, vcc, v32, v18
	v_addc_co_u32_e32 v19, vcc, v33, v19, vcc
	v_add_co_u32_e32 v20, vcc, v35, v20
	v_addc_co_u32_e32 v21, vcc, v36, v21, vcc
	global_load_dword v18, v[18:19], off
	s_nop 0
	global_load_dword v19, v[20:21], off
	s_waitcnt vmcnt(0)
	v_fmac_f32_e32 v5, v18, v19
	s_branch .LBB3_11
.LBB3_16:                               ;   in Loop: Header=BB3_9 Depth=3
	s_or_b64 exec, exec, s[48:49]
.LBB3_17:                               ;   in Loop: Header=BB3_9 Depth=3
	s_or_b64 exec, exec, s[6:7]
	v_mov_b32_e32 v9, s31
	v_add_co_u32_e32 v16, vcc, s30, v16
	v_addc_co_u32_e32 v17, vcc, v9, v17, vcc
	global_load_dword v9, v[16:17], off
	v_cmp_le_i32_e64 s[6:7], v2, v8
	v_cmp_gt_i32_e32 vcc, v2, v8
	s_waitcnt vmcnt(0)
	v_sub_f32_e32 v5, v9, v5
	s_and_saveexec_b64 s[48:49], vcc
	s_cbranch_execz .LBB3_21
; %bb.18:                               ;   in Loop: Header=BB3_9 Depth=3
	v_mov_b32_e32 v9, s37
	v_add_co_u32_e32 v16, vcc, s36, v14
	v_addc_co_u32_e32 v17, vcc, v9, v15, vcc
	global_load_dword v9, v[16:17], off
	v_mov_b32_e32 v11, 0
	s_waitcnt vmcnt(0)
	v_cmp_lg_f32_e32 vcc, 0, v9
	s_and_saveexec_b64 s[50:51], vcc
; %bb.19:                               ;   in Loop: Header=BB3_9 Depth=3
	v_div_scale_f32 v11, s[52:53], v9, v9, v5
	v_rcp_f32_e32 v13, v11
	v_div_scale_f32 v16, vcc, v5, v9, v5
	v_fma_f32 v17, -v11, v13, 1.0
	v_fmac_f32_e32 v13, v17, v13
	v_mul_f32_e32 v17, v16, v13
	v_fma_f32 v18, -v11, v17, v16
	v_fmac_f32_e32 v17, v18, v13
	v_fma_f32 v11, -v11, v17, v16
	v_div_fmas_f32 v11, v11, v13, v17
	v_div_fixup_f32 v11, v11, v9, v5
; %bb.20:                               ;   in Loop: Header=BB3_9 Depth=3
	s_or_b64 exec, exec, s[50:51]
	v_mov_b32_e32 v5, v11
.LBB3_21:                               ;   in Loop: Header=BB3_9 Depth=3
	s_or_b64 exec, exec, s[48:49]
	v_cmp_class_f32_e64 s[50:51], v5, s70
	s_and_saveexec_b64 s[48:49], s[50:51]
	s_cbranch_execz .LBB3_8
; %bb.22:                               ;   in Loop: Header=BB3_9 Depth=3
	s_mov_b64 s[50:51], 0
                                        ; implicit-def: $vgpr16_vgpr17
	s_and_saveexec_b64 s[52:53], s[6:7]
	s_xor_b64 s[6:7], exec, s[52:53]
	s_cbranch_execnz .LBB3_25
; %bb.23:                               ;   in Loop: Header=BB3_9 Depth=3
	s_andn2_saveexec_b64 s[6:7], s[6:7]
	s_cbranch_execnz .LBB3_38
.LBB3_24:                               ;   in Loop: Header=BB3_9 Depth=3
	s_or_b64 exec, exec, s[6:7]
	s_and_b64 exec, exec, s[50:51]
	s_cbranch_execz .LBB3_8
	s_branch .LBB3_47
.LBB3_25:                               ;   in Loop: Header=BB3_9 Depth=3
	v_cmp_ge_i32_e32 vcc, v2, v8
                                        ; implicit-def: $vgpr16_vgpr17
	s_and_saveexec_b64 s[52:53], vcc
	s_xor_b64 s[52:53], exec, s[52:53]
; %bb.26:                               ;   in Loop: Header=BB3_9 Depth=3
	v_mov_b32_e32 v0, s39
	v_add_co_u32_e32 v16, vcc, s38, v14
	s_mov_b64 s[50:51], exec
	v_addc_co_u32_e32 v17, vcc, v0, v15, vcc
                                        ; implicit-def: $vgpr12
                                        ; implicit-def: $vgpr34
                                        ; implicit-def: $vgpr10
; %bb.27:                               ;   in Loop: Header=BB3_9 Depth=3
	s_andn2_saveexec_b64 s[52:53], s[52:53]
	s_cbranch_execz .LBB3_37
; %bb.28:                               ;   in Loop: Header=BB3_9 Depth=3
	v_cmp_lt_i32_e32 vcc, v12, v34
	s_mov_b64 s[56:57], s[50:51]
                                        ; implicit-def: $vgpr16_vgpr17
	s_and_saveexec_b64 s[54:55], vcc
	s_cbranch_execz .LBB3_36
; %bb.29:                               ;   in Loop: Header=BB3_9 Depth=3
	s_mov_b64 s[58:59], 0
                                        ; implicit-def: $sgpr56_sgpr57
                                        ; implicit-def: $sgpr62_sgpr63
                                        ; implicit-def: $sgpr60_sgpr61
	s_branch .LBB3_31
.LBB3_30:                               ;   in Loop: Header=BB3_31 Depth=4
	s_or_b64 exec, exec, s[64:65]
	s_and_b64 s[64:65], exec, s[62:63]
	s_or_b64 s[58:59], s[64:65], s[58:59]
	s_andn2_b64 s[56:57], s[56:57], exec
	s_and_b64 s[64:65], s[60:61], exec
	s_or_b64 s[56:57], s[56:57], s[64:65]
	s_andn2_b64 exec, exec, s[58:59]
	s_cbranch_execz .LBB3_33
.LBB3_31:                               ;   Parent Loop BB3_3 Depth=1
                                        ;     Parent Loop BB3_5 Depth=2
                                        ;       Parent Loop BB3_9 Depth=3
                                        ; =>      This Inner Loop Header: Depth=4
	v_add_u32_e32 v8, v10, v12
	v_ashrrev_i32_e32 v9, 31, v8
	v_lshlrev_b64 v[8:9], 2, v[8:9]
	v_mov_b32_e32 v0, s13
	v_add_co_u32_e32 v14, vcc, s12, v8
	v_addc_co_u32_e32 v15, vcc, v0, v9, vcc
	global_load_dword v0, v[14:15], off
	s_or_b64 s[60:61], s[60:61], exec
	s_or_b64 s[62:63], s[62:63], exec
	s_waitcnt vmcnt(0)
	v_subrev_u32_e32 v0, s68, v0
	v_cmp_ne_u32_e32 vcc, v0, v2
	s_and_saveexec_b64 s[64:65], vcc
	s_cbranch_execz .LBB3_30
; %bb.32:                               ;   in Loop: Header=BB3_31 Depth=4
	v_add_u32_e32 v12, 1, v12
	v_cmp_ge_i32_e32 vcc, v12, v34
	s_andn2_b64 s[62:63], s[62:63], exec
	s_and_b64 s[72:73], vcc, exec
	s_andn2_b64 s[60:61], s[60:61], exec
	s_or_b64 s[62:63], s[62:63], s[72:73]
	s_branch .LBB3_30
.LBB3_33:                               ;   in Loop: Header=BB3_9 Depth=3
	s_or_b64 exec, exec, s[58:59]
	s_mov_b64 s[58:59], s[50:51]
                                        ; implicit-def: $vgpr16_vgpr17
	s_and_saveexec_b64 s[60:61], s[56:57]
	s_xor_b64 s[56:57], exec, s[60:61]
; %bb.34:                               ;   in Loop: Header=BB3_9 Depth=3
	v_mov_b32_e32 v0, s43
	v_add_co_u32_e32 v16, vcc, s42, v8
	v_addc_co_u32_e32 v17, vcc, v0, v9, vcc
	s_or_b64 s[58:59], s[50:51], exec
; %bb.35:                               ;   in Loop: Header=BB3_9 Depth=3
	s_or_b64 exec, exec, s[56:57]
	s_andn2_b64 s[56:57], s[50:51], exec
	s_and_b64 s[58:59], s[58:59], exec
	s_or_b64 s[56:57], s[56:57], s[58:59]
.LBB3_36:                               ;   in Loop: Header=BB3_9 Depth=3
	s_or_b64 exec, exec, s[54:55]
	s_andn2_b64 s[50:51], s[50:51], exec
	s_and_b64 s[54:55], s[56:57], exec
	s_or_b64 s[50:51], s[50:51], s[54:55]
.LBB3_37:                               ;   in Loop: Header=BB3_9 Depth=3
	s_or_b64 exec, exec, s[52:53]
	s_and_b64 s[50:51], s[50:51], exec
                                        ; implicit-def: $vgpr8_vgpr9
	s_andn2_saveexec_b64 s[6:7], s[6:7]
	s_cbranch_execz .LBB3_24
.LBB3_38:                               ;   in Loop: Header=BB3_9 Depth=3
	v_cmp_lt_i32_e32 vcc, v0, v30
	s_mov_b64 s[54:55], s[50:51]
                                        ; implicit-def: $vgpr16_vgpr17
	s_and_saveexec_b64 s[52:53], vcc
	s_cbranch_execz .LBB3_46
; %bb.39:                               ;   in Loop: Header=BB3_9 Depth=3
	s_mov_b64 s[56:57], 0
                                        ; implicit-def: $sgpr54_sgpr55
                                        ; implicit-def: $sgpr60_sgpr61
                                        ; implicit-def: $sgpr58_sgpr59
	s_branch .LBB3_41
.LBB3_40:                               ;   in Loop: Header=BB3_41 Depth=4
	s_or_b64 exec, exec, s[62:63]
	s_and_b64 s[62:63], exec, s[60:61]
	s_or_b64 s[56:57], s[62:63], s[56:57]
	s_andn2_b64 s[54:55], s[54:55], exec
	s_and_b64 s[62:63], s[58:59], exec
	s_or_b64 s[54:55], s[54:55], s[62:63]
	s_andn2_b64 exec, exec, s[56:57]
	s_cbranch_execz .LBB3_43
.LBB3_41:                               ;   Parent Loop BB3_3 Depth=1
                                        ;     Parent Loop BB3_5 Depth=2
                                        ;       Parent Loop BB3_9 Depth=3
                                        ; =>      This Inner Loop Header: Depth=4
	v_add_u32_e32 v10, v6, v0
	v_ashrrev_i32_e32 v11, 31, v10
	v_lshlrev_b64 v[10:11], 2, v[10:11]
	v_mov_b32_e32 v9, s21
	v_add_co_u32_e32 v12, vcc, s20, v10
	v_addc_co_u32_e32 v13, vcc, v9, v11, vcc
	global_load_dword v9, v[12:13], off
	s_or_b64 s[58:59], s[58:59], exec
	s_or_b64 s[60:61], s[60:61], exec
	s_waitcnt vmcnt(0)
	v_subrev_u32_e32 v9, s67, v9
	v_cmp_ne_u32_e32 vcc, v9, v8
	s_and_saveexec_b64 s[62:63], vcc
	s_cbranch_execz .LBB3_40
; %bb.42:                               ;   in Loop: Header=BB3_41 Depth=4
	v_add_u32_e32 v0, 1, v0
	v_cmp_ge_i32_e32 vcc, v0, v30
	s_andn2_b64 s[60:61], s[60:61], exec
	s_and_b64 s[64:65], vcc, exec
	s_andn2_b64 s[58:59], s[58:59], exec
	s_or_b64 s[60:61], s[60:61], s[64:65]
	s_branch .LBB3_40
.LBB3_43:                               ;   in Loop: Header=BB3_9 Depth=3
	s_or_b64 exec, exec, s[56:57]
	s_mov_b64 s[56:57], s[50:51]
                                        ; implicit-def: $vgpr16_vgpr17
	s_and_saveexec_b64 s[58:59], s[54:55]
	s_xor_b64 s[54:55], exec, s[58:59]
; %bb.44:                               ;   in Loop: Header=BB3_9 Depth=3
	v_mov_b32_e32 v0, s41
	v_add_co_u32_e32 v16, vcc, s40, v10
	v_addc_co_u32_e32 v17, vcc, v0, v11, vcc
	s_or_b64 s[56:57], s[50:51], exec
; %bb.45:                               ;   in Loop: Header=BB3_9 Depth=3
	s_or_b64 exec, exec, s[54:55]
	s_andn2_b64 s[54:55], s[50:51], exec
	s_and_b64 s[56:57], s[56:57], exec
	s_or_b64 s[54:55], s[54:55], s[56:57]
.LBB3_46:                               ;   in Loop: Header=BB3_9 Depth=3
	s_or_b64 exec, exec, s[52:53]
	s_andn2_b64 s[50:51], s[50:51], exec
	s_and_b64 s[52:53], s[54:55], exec
	s_or_b64 s[50:51], s[50:51], s[52:53]
	s_or_b64 exec, exec, s[6:7]
	s_and_b64 exec, exec, s[50:51]
	s_cbranch_execz .LBB3_8
.LBB3_47:                               ;   in Loop: Header=BB3_9 Depth=3
	global_store_dword v[16:17], v5, off
	s_branch .LBB3_8
.LBB3_48:                               ;   in Loop: Header=BB3_3 Depth=1
	s_and_saveexec_b64 s[6:7], s[0:1]
	s_cbranch_execz .LBB3_2
; %bb.49:                               ;   in Loop: Header=BB3_3 Depth=1
	s_mov_b64 s[44:45], 0
	v_mov_b32_e32 v2, v22
	s_branch .LBB3_51
.LBB3_50:                               ;   in Loop: Header=BB3_51 Depth=2
	s_or_b64 exec, exec, s[46:47]
	v_add_u32_e32 v2, 0x80, v2
	v_cmp_le_u32_e32 vcc, s69, v2
	s_or_b64 s[44:45], vcc, s[44:45]
	s_andn2_b64 exec, exec, s[44:45]
	s_cbranch_execz .LBB3_2
.LBB3_51:                               ;   Parent Loop BB3_3 Depth=1
                                        ; =>  This Loop Header: Depth=2
                                        ;       Child Loop BB3_55 Depth 3
                                        ;       Child Loop BB3_59 Depth 3
	;; [unrolled: 1-line block ×4, first 2 shown]
	v_cmp_gt_i32_e32 vcc, s35, v2
	s_and_saveexec_b64 s[46:47], vcc
	s_cbranch_execz .LBB3_50
; %bb.52:                               ;   in Loop: Header=BB3_51 Depth=2
	v_ashrrev_i32_e32 v3, 31, v2
	v_lshlrev_b64 v[4:5], 2, v[2:3]
	v_mov_b32_e32 v0, s17
	v_add_co_u32_e32 v6, vcc, s16, v4
	v_addc_co_u32_e32 v7, vcc, v0, v5, vcc
	global_load_dword v3, v[6:7], off
	v_mov_b32_e32 v0, s19
	v_add_co_u32_e32 v6, vcc, s18, v4
	v_addc_co_u32_e32 v7, vcc, v0, v5, vcc
	global_load_dword v0, v[6:7], off
	s_waitcnt vmcnt(1)
	v_add_u32_e32 v6, v24, v3
	s_waitcnt vmcnt(0)
	v_subrev_u32_e32 v0, s67, v0
	v_cmp_lt_i32_e32 vcc, v6, v0
	s_and_saveexec_b64 s[48:49], vcc
	s_cbranch_execz .LBB3_60
; %bb.53:                               ;   in Loop: Header=BB3_51 Depth=2
	v_add_u32_e32 v7, v29, v3
	v_max_i32_e32 v7, v7, v0
	v_add_u32_e32 v7, v28, v7
	v_sub_u32_e32 v3, v7, v3
	v_cmp_lt_u32_e32 vcc, 7, v3
	s_mov_b64 s[4:5], -1
	s_and_saveexec_b64 s[50:51], vcc
	s_cbranch_execz .LBB3_57
; %bb.54:                               ;   in Loop: Header=BB3_51 Depth=2
	v_lshrrev_b32_e32 v3, 3, v3
	v_add_u32_e32 v3, 1, v3
	v_and_b32_e32 v10, 0x3ffffffe, v3
	v_add_u32_e32 v7, 8, v6
	s_mov_b64 s[52:53], 0
	v_mov_b32_e32 v11, v10
	v_pk_mov_b32 v[8:9], v[6:7], v[6:7] op_sel:[0,1]
.LBB3_55:                               ;   Parent Loop BB3_3 Depth=1
                                        ;     Parent Loop BB3_51 Depth=2
                                        ; =>    This Inner Loop Header: Depth=3
	v_ashrrev_i32_e32 v15, 31, v8
	v_mov_b32_e32 v14, v8
	v_lshlrev_b64 v[14:15], 2, v[14:15]
	v_ashrrev_i32_e32 v13, 31, v9
	v_mov_b32_e32 v12, v9
	v_mov_b32_e32 v7, s41
	v_add_co_u32_e32 v16, vcc, s40, v14
	v_lshlrev_b64 v[12:13], 2, v[12:13]
	v_addc_co_u32_e32 v17, vcc, v7, v15, vcc
	v_add_co_u32_e32 v18, vcc, s40, v12
	v_addc_co_u32_e32 v19, vcc, v7, v13, vcc
	global_load_dword v7, v[16:17], off
	s_nop 0
	global_load_dword v16, v[18:19], off
	v_mov_b32_e32 v17, s23
	v_add_u32_e32 v11, -2, v11
	v_add_co_u32_e64 v14, s[4:5], s22, v14
	v_cmp_eq_u32_e32 vcc, 0, v11
	v_addc_co_u32_e64 v15, s[4:5], v17, v15, s[4:5]
	v_add_u32_e32 v9, 16, v9
	v_add_u32_e32 v8, 16, v8
	v_add_co_u32_e64 v12, s[4:5], s22, v12
	s_or_b64 s[52:53], vcc, s[52:53]
	v_addc_co_u32_e64 v13, s[4:5], v17, v13, s[4:5]
	s_waitcnt vmcnt(1)
	global_store_dword v[14:15], v7, off
	s_waitcnt vmcnt(1)
	global_store_dword v[12:13], v16, off
	s_andn2_b64 exec, exec, s[52:53]
	s_cbranch_execnz .LBB3_55
; %bb.56:                               ;   in Loop: Header=BB3_51 Depth=2
	s_or_b64 exec, exec, s[52:53]
	v_cmp_ne_u32_e32 vcc, v3, v10
	v_lshl_add_u32 v6, v10, 3, v6
	s_orn2_b64 s[4:5], vcc, exec
.LBB3_57:                               ;   in Loop: Header=BB3_51 Depth=2
	s_or_b64 exec, exec, s[50:51]
	s_and_b64 exec, exec, s[4:5]
	s_cbranch_execz .LBB3_60
; %bb.58:                               ;   in Loop: Header=BB3_51 Depth=2
	v_ashrrev_i32_e32 v7, 31, v6
	v_lshlrev_b64 v[10:11], 2, v[6:7]
	v_mov_b32_e32 v3, s41
	v_add_co_u32_e32 v8, vcc, s40, v10
	v_addc_co_u32_e32 v9, vcc, v3, v11, vcc
	v_mov_b32_e32 v3, s23
	v_add_co_u32_e32 v10, vcc, s22, v10
	v_addc_co_u32_e32 v11, vcc, v3, v11, vcc
	s_mov_b64 s[4:5], 0
.LBB3_59:                               ;   Parent Loop BB3_3 Depth=1
                                        ;     Parent Loop BB3_51 Depth=2
                                        ; =>    This Inner Loop Header: Depth=3
	global_load_dword v3, v[8:9], off
	v_add_co_u32_e32 v8, vcc, 32, v8
	v_add_u32_e32 v6, 8, v6
	v_addc_co_u32_e32 v9, vcc, 0, v9, vcc
	v_cmp_ge_i32_e32 vcc, v6, v0
	s_or_b64 s[4:5], vcc, s[4:5]
	s_waitcnt vmcnt(0)
	global_store_dword v[10:11], v3, off
	v_add_co_u32_e32 v10, vcc, 32, v10
	v_addc_co_u32_e32 v11, vcc, 0, v11, vcc
	s_andn2_b64 exec, exec, s[4:5]
	s_cbranch_execnz .LBB3_59
.LBB3_60:                               ;   in Loop: Header=BB3_51 Depth=2
	s_or_b64 exec, exec, s[48:49]
	v_mov_b32_e32 v0, s9
	v_add_co_u32_e32 v6, vcc, s8, v4
	v_addc_co_u32_e32 v7, vcc, v0, v5, vcc
	global_load_dword v3, v[6:7], off
	v_mov_b32_e32 v0, s11
	v_add_co_u32_e32 v6, vcc, s10, v4
	v_addc_co_u32_e32 v7, vcc, v0, v5, vcc
	global_load_dword v0, v[6:7], off
	s_waitcnt vmcnt(1)
	v_add_u32_e32 v6, v25, v3
	s_waitcnt vmcnt(0)
	v_subrev_u32_e32 v0, s68, v0
	v_cmp_lt_i32_e32 vcc, v6, v0
	s_and_saveexec_b64 s[48:49], vcc
	s_cbranch_execz .LBB3_68
; %bb.61:                               ;   in Loop: Header=BB3_51 Depth=2
	v_add_u32_e32 v7, v27, v3
	v_max_i32_e32 v7, v7, v0
	v_add_u32_e32 v7, v26, v7
	v_sub_u32_e32 v3, v7, v3
	v_cmp_lt_u32_e32 vcc, 7, v3
	s_mov_b64 s[4:5], -1
	s_and_saveexec_b64 s[50:51], vcc
	s_cbranch_execz .LBB3_65
; %bb.62:                               ;   in Loop: Header=BB3_51 Depth=2
	v_lshrrev_b32_e32 v3, 3, v3
	v_add_u32_e32 v3, 1, v3
	v_and_b32_e32 v10, 0x3ffffffe, v3
	v_add_u32_e32 v7, 8, v6
	s_mov_b64 s[52:53], 0
	v_mov_b32_e32 v11, v10
	v_pk_mov_b32 v[8:9], v[6:7], v[6:7] op_sel:[0,1]
.LBB3_63:                               ;   Parent Loop BB3_3 Depth=1
                                        ;     Parent Loop BB3_51 Depth=2
                                        ; =>    This Inner Loop Header: Depth=3
	v_ashrrev_i32_e32 v15, 31, v8
	v_mov_b32_e32 v14, v8
	v_lshlrev_b64 v[14:15], 2, v[14:15]
	v_ashrrev_i32_e32 v13, 31, v9
	v_mov_b32_e32 v12, v9
	v_mov_b32_e32 v7, s43
	v_add_co_u32_e32 v16, vcc, s42, v14
	v_lshlrev_b64 v[12:13], 2, v[12:13]
	v_addc_co_u32_e32 v17, vcc, v7, v15, vcc
	v_add_co_u32_e32 v18, vcc, s42, v12
	v_addc_co_u32_e32 v19, vcc, v7, v13, vcc
	global_load_dword v7, v[16:17], off
	s_nop 0
	global_load_dword v16, v[18:19], off
	v_mov_b32_e32 v17, s15
	v_add_u32_e32 v11, -2, v11
	v_add_co_u32_e64 v14, s[4:5], s14, v14
	v_cmp_eq_u32_e32 vcc, 0, v11
	v_addc_co_u32_e64 v15, s[4:5], v17, v15, s[4:5]
	v_add_u32_e32 v9, 16, v9
	v_add_u32_e32 v8, 16, v8
	v_add_co_u32_e64 v12, s[4:5], s14, v12
	s_or_b64 s[52:53], vcc, s[52:53]
	v_addc_co_u32_e64 v13, s[4:5], v17, v13, s[4:5]
	s_waitcnt vmcnt(1)
	global_store_dword v[14:15], v7, off
	s_waitcnt vmcnt(1)
	global_store_dword v[12:13], v16, off
	s_andn2_b64 exec, exec, s[52:53]
	s_cbranch_execnz .LBB3_63
; %bb.64:                               ;   in Loop: Header=BB3_51 Depth=2
	s_or_b64 exec, exec, s[52:53]
	v_cmp_ne_u32_e32 vcc, v3, v10
	v_lshl_add_u32 v6, v10, 3, v6
	s_orn2_b64 s[4:5], vcc, exec
.LBB3_65:                               ;   in Loop: Header=BB3_51 Depth=2
	s_or_b64 exec, exec, s[50:51]
	s_and_b64 exec, exec, s[4:5]
	s_cbranch_execz .LBB3_68
; %bb.66:                               ;   in Loop: Header=BB3_51 Depth=2
	v_ashrrev_i32_e32 v7, 31, v6
	v_lshlrev_b64 v[10:11], 2, v[6:7]
	v_mov_b32_e32 v3, s43
	v_add_co_u32_e32 v8, vcc, s42, v10
	v_addc_co_u32_e32 v9, vcc, v3, v11, vcc
	v_mov_b32_e32 v3, s15
	v_add_co_u32_e32 v10, vcc, s14, v10
	v_addc_co_u32_e32 v11, vcc, v3, v11, vcc
	s_mov_b64 s[4:5], 0
.LBB3_67:                               ;   Parent Loop BB3_3 Depth=1
                                        ;     Parent Loop BB3_51 Depth=2
                                        ; =>    This Inner Loop Header: Depth=3
	global_load_dword v3, v[8:9], off
	v_add_co_u32_e32 v8, vcc, 32, v8
	v_add_u32_e32 v6, 8, v6
	v_addc_co_u32_e32 v9, vcc, 0, v9, vcc
	v_cmp_ge_i32_e32 vcc, v6, v0
	s_or_b64 s[4:5], vcc, s[4:5]
	s_waitcnt vmcnt(0)
	global_store_dword v[10:11], v3, off
	v_add_co_u32_e32 v10, vcc, 32, v10
	v_addc_co_u32_e32 v11, vcc, 0, v11, vcc
	s_andn2_b64 exec, exec, s[4:5]
	s_cbranch_execnz .LBB3_67
.LBB3_68:                               ;   in Loop: Header=BB3_51 Depth=2
	s_or_b64 exec, exec, s[48:49]
	s_and_b64 exec, exec, s[2:3]
	s_cbranch_execz .LBB3_50
; %bb.69:                               ;   in Loop: Header=BB3_51 Depth=2
	v_mov_b32_e32 v0, s39
	v_add_co_u32_e32 v6, vcc, s38, v4
	v_addc_co_u32_e32 v7, vcc, v0, v5, vcc
	global_load_dword v0, v[6:7], off
	v_mov_b32_e32 v3, s37
	v_add_co_u32_e32 v4, vcc, s36, v4
	v_addc_co_u32_e32 v5, vcc, v3, v5, vcc
	s_waitcnt vmcnt(0)
	global_store_dword v[4:5], v0, off
	s_branch .LBB3_50
.LBB3_70:
	s_endpgm
	.section	.rodata,"a",@progbits
	.p2align	6, 0x0
	.amdhsa_kernel _ZN9rocsparseL14kernel_freerunILi1024ELi8EfiiEEvT3_S1_T2_PKS2_S4_PKS1_PKT1_21rocsparse_index_base_S4_S4_S6_PS7_SB_SA_S4_S4_S6_SB_SB_SA_SB_SB_
		.amdhsa_group_segment_fixed_size 0
		.amdhsa_private_segment_fixed_size 0
		.amdhsa_kernarg_size 168
		.amdhsa_user_sgpr_count 6
		.amdhsa_user_sgpr_private_segment_buffer 1
		.amdhsa_user_sgpr_dispatch_ptr 0
		.amdhsa_user_sgpr_queue_ptr 0
		.amdhsa_user_sgpr_kernarg_segment_ptr 1
		.amdhsa_user_sgpr_dispatch_id 0
		.amdhsa_user_sgpr_flat_scratch_init 0
		.amdhsa_user_sgpr_kernarg_preload_length 0
		.amdhsa_user_sgpr_kernarg_preload_offset 0
		.amdhsa_user_sgpr_private_segment_size 0
		.amdhsa_uses_dynamic_stack 0
		.amdhsa_system_sgpr_private_segment_wavefront_offset 0
		.amdhsa_system_sgpr_workgroup_id_x 1
		.amdhsa_system_sgpr_workgroup_id_y 0
		.amdhsa_system_sgpr_workgroup_id_z 0
		.amdhsa_system_sgpr_workgroup_info 0
		.amdhsa_system_vgpr_workitem_id 0
		.amdhsa_next_free_vgpr 40
		.amdhsa_next_free_sgpr 74
		.amdhsa_accum_offset 40
		.amdhsa_reserve_vcc 1
		.amdhsa_reserve_flat_scratch 0
		.amdhsa_float_round_mode_32 0
		.amdhsa_float_round_mode_16_64 0
		.amdhsa_float_denorm_mode_32 3
		.amdhsa_float_denorm_mode_16_64 3
		.amdhsa_dx10_clamp 1
		.amdhsa_ieee_mode 1
		.amdhsa_fp16_overflow 0
		.amdhsa_tg_split 0
		.amdhsa_exception_fp_ieee_invalid_op 0
		.amdhsa_exception_fp_denorm_src 0
		.amdhsa_exception_fp_ieee_div_zero 0
		.amdhsa_exception_fp_ieee_overflow 0
		.amdhsa_exception_fp_ieee_underflow 0
		.amdhsa_exception_fp_ieee_inexact 0
		.amdhsa_exception_int_div_zero 0
	.end_amdhsa_kernel
	.section	.text._ZN9rocsparseL14kernel_freerunILi1024ELi8EfiiEEvT3_S1_T2_PKS2_S4_PKS1_PKT1_21rocsparse_index_base_S4_S4_S6_PS7_SB_SA_S4_S4_S6_SB_SB_SA_SB_SB_,"axG",@progbits,_ZN9rocsparseL14kernel_freerunILi1024ELi8EfiiEEvT3_S1_T2_PKS2_S4_PKS1_PKT1_21rocsparse_index_base_S4_S4_S6_PS7_SB_SA_S4_S4_S6_SB_SB_SA_SB_SB_,comdat
.Lfunc_end3:
	.size	_ZN9rocsparseL14kernel_freerunILi1024ELi8EfiiEEvT3_S1_T2_PKS2_S4_PKS1_PKT1_21rocsparse_index_base_S4_S4_S6_PS7_SB_SA_S4_S4_S6_SB_SB_SA_SB_SB_, .Lfunc_end3-_ZN9rocsparseL14kernel_freerunILi1024ELi8EfiiEEvT3_S1_T2_PKS2_S4_PKS1_PKT1_21rocsparse_index_base_S4_S4_S6_PS7_SB_SA_S4_S4_S6_SB_SB_SA_SB_SB_
                                        ; -- End function
	.section	.AMDGPU.csdata,"",@progbits
; Kernel info:
; codeLenInByte = 2576
; NumSgprs: 78
; NumVgprs: 40
; NumAgprs: 0
; TotalNumVgprs: 40
; ScratchSize: 0
; MemoryBound: 0
; FloatMode: 240
; IeeeMode: 1
; LDSByteSize: 0 bytes/workgroup (compile time only)
; SGPRBlocks: 9
; VGPRBlocks: 4
; NumSGPRsForWavesPerEU: 78
; NumVGPRsForWavesPerEU: 40
; AccumOffset: 40
; Occupancy: 8
; WaveLimiterHint : 1
; COMPUTE_PGM_RSRC2:SCRATCH_EN: 0
; COMPUTE_PGM_RSRC2:USER_SGPR: 6
; COMPUTE_PGM_RSRC2:TRAP_HANDLER: 0
; COMPUTE_PGM_RSRC2:TGID_X_EN: 1
; COMPUTE_PGM_RSRC2:TGID_Y_EN: 0
; COMPUTE_PGM_RSRC2:TGID_Z_EN: 0
; COMPUTE_PGM_RSRC2:TIDIG_COMP_CNT: 0
; COMPUTE_PGM_RSRC3_GFX90A:ACCUM_OFFSET: 9
; COMPUTE_PGM_RSRC3_GFX90A:TG_SPLIT: 0
	.section	.text._ZN9rocsparseL14kernel_freerunILi1024ELi16EfiiEEvT3_S1_T2_PKS2_S4_PKS1_PKT1_21rocsparse_index_base_S4_S4_S6_PS7_SB_SA_S4_S4_S6_SB_SB_SA_SB_SB_,"axG",@progbits,_ZN9rocsparseL14kernel_freerunILi1024ELi16EfiiEEvT3_S1_T2_PKS2_S4_PKS1_PKT1_21rocsparse_index_base_S4_S4_S6_PS7_SB_SA_S4_S4_S6_SB_SB_SA_SB_SB_,comdat
	.globl	_ZN9rocsparseL14kernel_freerunILi1024ELi16EfiiEEvT3_S1_T2_PKS2_S4_PKS1_PKT1_21rocsparse_index_base_S4_S4_S6_PS7_SB_SA_S4_S4_S6_SB_SB_SA_SB_SB_ ; -- Begin function _ZN9rocsparseL14kernel_freerunILi1024ELi16EfiiEEvT3_S1_T2_PKS2_S4_PKS1_PKT1_21rocsparse_index_base_S4_S4_S6_PS7_SB_SA_S4_S4_S6_SB_SB_SA_SB_SB_
	.p2align	8
	.type	_ZN9rocsparseL14kernel_freerunILi1024ELi16EfiiEEvT3_S1_T2_PKS2_S4_PKS1_PKT1_21rocsparse_index_base_S4_S4_S6_PS7_SB_SA_S4_S4_S6_SB_SB_SA_SB_SB_,@function
_ZN9rocsparseL14kernel_freerunILi1024ELi16EfiiEEvT3_S1_T2_PKS2_S4_PKS1_PKT1_21rocsparse_index_base_S4_S4_S6_PS7_SB_SA_S4_S4_S6_SB_SB_SA_SB_SB_: ; @_ZN9rocsparseL14kernel_freerunILi1024ELi16EfiiEEvT3_S1_T2_PKS2_S4_PKS1_PKT1_21rocsparse_index_base_S4_S4_S6_PS7_SB_SA_S4_S4_S6_SB_SB_SA_SB_SB_
; %bb.0:
	s_load_dwordx2 s[34:35], s[4:5], 0x0
	v_lshrrev_b32_e32 v1, 4, v0
	s_lshl_b32 s69, s6, 10
	v_or_b32_e32 v22, s69, v1
	s_mov_b32 s33, 0
	s_waitcnt lgkmcnt(0)
	s_cmp_gt_i32 s34, 0
	v_cmp_gt_i32_e32 vcc, s35, v22
	s_cselect_b64 s[0:1], -1, 0
	s_and_b64 s[0:1], vcc, s[0:1]
	s_and_saveexec_b64 s[2:3], s[0:1]
	s_cbranch_execz .LBB4_70
; %bb.1:
	s_load_dwordx4 s[36:39], s[4:5], 0x98
	s_load_dwordx8 s[8:15], s[4:5], 0x68
	s_load_dwordx8 s[16:23], s[4:5], 0x38
	;; [unrolled: 1-line block ×3, first 2 shown]
	s_load_dword s66, s[4:5], 0x30
	s_load_dwordx2 s[40:41], s[4:5], 0x58
	s_load_dword s67, s[4:5], 0x60
	s_load_dwordx2 s[42:43], s[4:5], 0x88
	s_load_dword s68, s[4:5], 0x90
	v_and_b32_e32 v0, 15, v0
	s_waitcnt lgkmcnt(0)
	v_subrev_u32_e32 v23, s66, v0
	s_addk_i32 s69, 0x400
	v_subrev_u32_e32 v24, s67, v0
	v_subrev_u32_e32 v25, s68, v0
	v_cmp_eq_u32_e64 s[2:3], 0, v0
	v_not_b32_e32 v1, v0
	v_or_b32_e32 v0, 16, v0
	v_cmp_gt_u32_e64 s[0:1], s69, v22
	v_add_u32_e32 v26, s68, v1
	v_subrev_u32_e32 v27, s68, v0
	v_add_u32_e32 v28, s67, v1
	v_subrev_u32_e32 v29, s67, v0
	s_movk_i32 s70, 0x1f8
	v_mov_b32_e32 v1, 0
	s_branch .LBB4_3
.LBB4_2:                                ;   in Loop: Header=BB4_3 Depth=1
	s_or_b64 exec, exec, s[6:7]
	s_add_i32 s33, s33, 1
	s_cmp_eq_u32 s33, s34
	s_cbranch_scc1 .LBB4_70
.LBB4_3:                                ; =>This Loop Header: Depth=1
                                        ;     Child Loop BB4_5 Depth 2
                                        ;       Child Loop BB4_9 Depth 3
                                        ;         Child Loop BB4_13 Depth 4
                                        ;         Child Loop BB4_31 Depth 4
	;; [unrolled: 1-line block ×3, first 2 shown]
                                        ;     Child Loop BB4_51 Depth 2
                                        ;       Child Loop BB4_55 Depth 3
                                        ;       Child Loop BB4_59 Depth 3
	;; [unrolled: 1-line block ×4, first 2 shown]
	s_mov_b32 s71, 0
	s_branch .LBB4_5
.LBB4_4:                                ;   in Loop: Header=BB4_5 Depth=2
	s_or_b64 exec, exec, s[44:45]
	s_add_i32 s71, s71, 1
	s_cmp_eq_u32 s71, 16
	s_cbranch_scc1 .LBB4_48
.LBB4_5:                                ;   Parent Loop BB4_3 Depth=1
                                        ; =>  This Loop Header: Depth=2
                                        ;       Child Loop BB4_9 Depth 3
                                        ;         Child Loop BB4_13 Depth 4
                                        ;         Child Loop BB4_31 Depth 4
	;; [unrolled: 1-line block ×3, first 2 shown]
	v_lshl_add_u32 v2, s71, 6, v22
	v_cmp_gt_i32_e32 vcc, s35, v2
	s_and_saveexec_b64 s[44:45], vcc
	s_cbranch_execz .LBB4_4
; %bb.6:                                ;   in Loop: Header=BB4_5 Depth=2
	v_ashrrev_i32_e32 v3, 31, v2
	v_lshlrev_b64 v[6:7], 2, v[2:3]
	v_mov_b32_e32 v0, s25
	v_add_co_u32_e32 v4, vcc, s24, v6
	v_addc_co_u32_e32 v5, vcc, v0, v7, vcc
	global_load_dword v0, v[4:5], off
	v_mov_b32_e32 v3, s27
	v_add_co_u32_e32 v4, vcc, s26, v6
	v_addc_co_u32_e32 v5, vcc, v3, v7, vcc
	global_load_dword v3, v[4:5], off
	s_waitcnt vmcnt(1)
	v_add_u32_e32 v4, v23, v0
	s_waitcnt vmcnt(0)
	v_subrev_u32_e32 v3, s66, v3
	v_cmp_lt_i32_e32 vcc, v4, v3
	s_and_b64 exec, exec, vcc
	s_cbranch_execz .LBB4_4
; %bb.7:                                ;   in Loop: Header=BB4_5 Depth=2
	v_mov_b32_e32 v0, s19
	v_add_co_u32_e32 v8, vcc, s18, v6
	v_addc_co_u32_e32 v9, vcc, v0, v7, vcc
	v_mov_b32_e32 v0, s17
	v_add_co_u32_e32 v6, vcc, s16, v6
	v_addc_co_u32_e32 v7, vcc, v0, v7, vcc
	global_load_dword v0, v[6:7], off
	global_load_dword v5, v[8:9], off
	v_mov_b32_e32 v10, s21
	v_mov_b32_e32 v11, s23
	s_mov_b64 s[46:47], 0
	s_waitcnt vmcnt(1)
	v_subrev_u32_e32 v6, s67, v0
	v_ashrrev_i32_e32 v7, 31, v6
	v_lshlrev_b64 v[8:9], 2, v[6:7]
	v_add_co_u32_e32 v7, vcc, s20, v8
	v_addc_co_u32_e32 v31, vcc, v10, v9, vcc
	s_waitcnt vmcnt(0)
	v_sub_u32_e32 v30, v5, v0
	v_add_co_u32_e32 v32, vcc, s22, v8
	v_cmp_lt_i32_e64 s[4:5], 0, v30
	v_addc_co_u32_e32 v33, vcc, v11, v9, vcc
	s_branch .LBB4_9
.LBB4_8:                                ;   in Loop: Header=BB4_9 Depth=3
	s_or_b64 exec, exec, s[48:49]
	v_add_u32_e32 v4, 16, v4
	v_cmp_ge_i32_e32 vcc, v4, v3
	s_or_b64 s[46:47], vcc, s[46:47]
	s_andn2_b64 exec, exec, s[46:47]
	s_cbranch_execz .LBB4_4
.LBB4_9:                                ;   Parent Loop BB4_3 Depth=1
                                        ;     Parent Loop BB4_5 Depth=2
                                        ; =>    This Loop Header: Depth=3
                                        ;         Child Loop BB4_13 Depth 4
                                        ;         Child Loop BB4_31 Depth 4
	;; [unrolled: 1-line block ×3, first 2 shown]
	v_ashrrev_i32_e32 v5, 31, v4
	v_lshlrev_b64 v[16:17], 2, v[4:5]
	v_mov_b32_e32 v0, s29
	v_add_co_u32_e32 v8, vcc, s28, v16
	v_addc_co_u32_e32 v9, vcc, v0, v17, vcc
	global_load_dword v0, v[8:9], off
	v_mov_b32_e32 v5, s9
	v_mov_b32_e32 v13, s11
	s_waitcnt vmcnt(0)
	v_subrev_u32_e32 v8, s66, v0
	v_ashrrev_i32_e32 v9, 31, v8
	v_lshlrev_b64 v[14:15], 2, v[8:9]
	v_add_co_u32_e32 v10, vcc, s8, v14
	v_addc_co_u32_e32 v11, vcc, v5, v15, vcc
	v_add_co_u32_e32 v12, vcc, s10, v14
	v_addc_co_u32_e32 v13, vcc, v13, v15, vcc
	global_load_dword v0, v[10:11], off
	global_load_dword v9, v[12:13], off
	v_mov_b32_e32 v5, 0
	v_mov_b32_e32 v12, 0
	s_waitcnt vmcnt(1)
	v_subrev_u32_e32 v10, s68, v0
	s_waitcnt vmcnt(0)
	v_sub_u32_e32 v34, v9, v0
	v_mov_b32_e32 v0, 0
	s_and_saveexec_b64 s[6:7], s[4:5]
	s_cbranch_execz .LBB4_17
; %bb.10:                               ;   in Loop: Header=BB4_9 Depth=3
	v_ashrrev_i32_e32 v11, 31, v10
	v_lshlrev_b64 v[12:13], 2, v[10:11]
	v_mov_b32_e32 v0, s13
	v_add_co_u32_e32 v9, vcc, s12, v12
	v_addc_co_u32_e32 v11, vcc, v0, v13, vcc
	v_mov_b32_e32 v0, s15
	v_add_co_u32_e32 v35, vcc, s14, v12
	v_addc_co_u32_e32 v36, vcc, v0, v13, vcc
	v_mov_b32_e32 v0, 0
	s_mov_b64 s[48:49], 0
	v_mov_b32_e32 v5, 0
	v_mov_b32_e32 v12, v0
                                        ; implicit-def: $sgpr50_sgpr51
	s_branch .LBB4_13
.LBB4_11:                               ;   in Loop: Header=BB4_13 Depth=4
	s_or_b64 exec, exec, s[54:55]
	v_cmp_le_i32_e32 vcc, v13, v37
	v_addc_co_u32_e32 v0, vcc, 0, v0, vcc
	v_cmp_ge_i32_e32 vcc, v13, v37
	v_addc_co_u32_e32 v12, vcc, 0, v12, vcc
	v_cmp_ge_i32_e32 vcc, v0, v30
	s_andn2_b64 s[50:51], s[50:51], exec
	s_and_b64 s[54:55], vcc, exec
	s_or_b64 s[50:51], s[50:51], s[54:55]
.LBB4_12:                               ;   in Loop: Header=BB4_13 Depth=4
	s_or_b64 exec, exec, s[52:53]
	s_and_b64 s[52:53], exec, s[50:51]
	s_or_b64 s[48:49], s[52:53], s[48:49]
	s_andn2_b64 exec, exec, s[48:49]
	s_cbranch_execz .LBB4_16
.LBB4_13:                               ;   Parent Loop BB4_3 Depth=1
                                        ;     Parent Loop BB4_5 Depth=2
                                        ;       Parent Loop BB4_9 Depth=3
                                        ; =>      This Inner Loop Header: Depth=4
	v_cmp_lt_i32_e32 vcc, v12, v34
	s_or_b64 s[50:51], s[50:51], exec
	s_and_saveexec_b64 s[52:53], vcc
	s_cbranch_execz .LBB4_12
; %bb.14:                               ;   in Loop: Header=BB4_13 Depth=4
	v_lshlrev_b64 v[18:19], 2, v[0:1]
	v_add_co_u32_e32 v20, vcc, v7, v18
	v_addc_co_u32_e32 v21, vcc, v31, v19, vcc
	v_mov_b32_e32 v13, v1
	global_load_dword v37, v[20:21], off
	v_lshlrev_b64 v[20:21], 2, v[12:13]
	v_add_co_u32_e32 v38, vcc, v9, v20
	v_addc_co_u32_e32 v39, vcc, v11, v21, vcc
	global_load_dword v38, v[38:39], off
	s_waitcnt vmcnt(1)
	v_subrev_u32_e32 v13, s67, v37
	s_waitcnt vmcnt(0)
	v_subrev_u32_e32 v37, s68, v38
	v_cmp_eq_u32_e32 vcc, v13, v37
	s_and_saveexec_b64 s[54:55], vcc
	s_cbranch_execz .LBB4_11
; %bb.15:                               ;   in Loop: Header=BB4_13 Depth=4
	v_add_co_u32_e32 v18, vcc, v32, v18
	v_addc_co_u32_e32 v19, vcc, v33, v19, vcc
	v_add_co_u32_e32 v20, vcc, v35, v20
	v_addc_co_u32_e32 v21, vcc, v36, v21, vcc
	global_load_dword v18, v[18:19], off
	s_nop 0
	global_load_dword v19, v[20:21], off
	s_waitcnt vmcnt(0)
	v_fmac_f32_e32 v5, v18, v19
	s_branch .LBB4_11
.LBB4_16:                               ;   in Loop: Header=BB4_9 Depth=3
	s_or_b64 exec, exec, s[48:49]
.LBB4_17:                               ;   in Loop: Header=BB4_9 Depth=3
	s_or_b64 exec, exec, s[6:7]
	v_mov_b32_e32 v9, s31
	v_add_co_u32_e32 v16, vcc, s30, v16
	v_addc_co_u32_e32 v17, vcc, v9, v17, vcc
	global_load_dword v9, v[16:17], off
	v_cmp_le_i32_e64 s[6:7], v2, v8
	v_cmp_gt_i32_e32 vcc, v2, v8
	s_waitcnt vmcnt(0)
	v_sub_f32_e32 v5, v9, v5
	s_and_saveexec_b64 s[48:49], vcc
	s_cbranch_execz .LBB4_21
; %bb.18:                               ;   in Loop: Header=BB4_9 Depth=3
	v_mov_b32_e32 v9, s37
	v_add_co_u32_e32 v16, vcc, s36, v14
	v_addc_co_u32_e32 v17, vcc, v9, v15, vcc
	global_load_dword v9, v[16:17], off
	v_mov_b32_e32 v11, 0
	s_waitcnt vmcnt(0)
	v_cmp_lg_f32_e32 vcc, 0, v9
	s_and_saveexec_b64 s[50:51], vcc
; %bb.19:                               ;   in Loop: Header=BB4_9 Depth=3
	v_div_scale_f32 v11, s[52:53], v9, v9, v5
	v_rcp_f32_e32 v13, v11
	v_div_scale_f32 v16, vcc, v5, v9, v5
	v_fma_f32 v17, -v11, v13, 1.0
	v_fmac_f32_e32 v13, v17, v13
	v_mul_f32_e32 v17, v16, v13
	v_fma_f32 v18, -v11, v17, v16
	v_fmac_f32_e32 v17, v18, v13
	v_fma_f32 v11, -v11, v17, v16
	v_div_fmas_f32 v11, v11, v13, v17
	v_div_fixup_f32 v11, v11, v9, v5
; %bb.20:                               ;   in Loop: Header=BB4_9 Depth=3
	s_or_b64 exec, exec, s[50:51]
	v_mov_b32_e32 v5, v11
.LBB4_21:                               ;   in Loop: Header=BB4_9 Depth=3
	s_or_b64 exec, exec, s[48:49]
	v_cmp_class_f32_e64 s[50:51], v5, s70
	s_and_saveexec_b64 s[48:49], s[50:51]
	s_cbranch_execz .LBB4_8
; %bb.22:                               ;   in Loop: Header=BB4_9 Depth=3
	s_mov_b64 s[50:51], 0
                                        ; implicit-def: $vgpr16_vgpr17
	s_and_saveexec_b64 s[52:53], s[6:7]
	s_xor_b64 s[6:7], exec, s[52:53]
	s_cbranch_execnz .LBB4_25
; %bb.23:                               ;   in Loop: Header=BB4_9 Depth=3
	s_andn2_saveexec_b64 s[6:7], s[6:7]
	s_cbranch_execnz .LBB4_38
.LBB4_24:                               ;   in Loop: Header=BB4_9 Depth=3
	s_or_b64 exec, exec, s[6:7]
	s_and_b64 exec, exec, s[50:51]
	s_cbranch_execz .LBB4_8
	s_branch .LBB4_47
.LBB4_25:                               ;   in Loop: Header=BB4_9 Depth=3
	v_cmp_ge_i32_e32 vcc, v2, v8
                                        ; implicit-def: $vgpr16_vgpr17
	s_and_saveexec_b64 s[52:53], vcc
	s_xor_b64 s[52:53], exec, s[52:53]
; %bb.26:                               ;   in Loop: Header=BB4_9 Depth=3
	v_mov_b32_e32 v0, s39
	v_add_co_u32_e32 v16, vcc, s38, v14
	s_mov_b64 s[50:51], exec
	v_addc_co_u32_e32 v17, vcc, v0, v15, vcc
                                        ; implicit-def: $vgpr12
                                        ; implicit-def: $vgpr34
                                        ; implicit-def: $vgpr10
; %bb.27:                               ;   in Loop: Header=BB4_9 Depth=3
	s_andn2_saveexec_b64 s[52:53], s[52:53]
	s_cbranch_execz .LBB4_37
; %bb.28:                               ;   in Loop: Header=BB4_9 Depth=3
	v_cmp_lt_i32_e32 vcc, v12, v34
	s_mov_b64 s[56:57], s[50:51]
                                        ; implicit-def: $vgpr16_vgpr17
	s_and_saveexec_b64 s[54:55], vcc
	s_cbranch_execz .LBB4_36
; %bb.29:                               ;   in Loop: Header=BB4_9 Depth=3
	s_mov_b64 s[58:59], 0
                                        ; implicit-def: $sgpr56_sgpr57
                                        ; implicit-def: $sgpr62_sgpr63
                                        ; implicit-def: $sgpr60_sgpr61
	s_branch .LBB4_31
.LBB4_30:                               ;   in Loop: Header=BB4_31 Depth=4
	s_or_b64 exec, exec, s[64:65]
	s_and_b64 s[64:65], exec, s[62:63]
	s_or_b64 s[58:59], s[64:65], s[58:59]
	s_andn2_b64 s[56:57], s[56:57], exec
	s_and_b64 s[64:65], s[60:61], exec
	s_or_b64 s[56:57], s[56:57], s[64:65]
	s_andn2_b64 exec, exec, s[58:59]
	s_cbranch_execz .LBB4_33
.LBB4_31:                               ;   Parent Loop BB4_3 Depth=1
                                        ;     Parent Loop BB4_5 Depth=2
                                        ;       Parent Loop BB4_9 Depth=3
                                        ; =>      This Inner Loop Header: Depth=4
	v_add_u32_e32 v8, v10, v12
	v_ashrrev_i32_e32 v9, 31, v8
	v_lshlrev_b64 v[8:9], 2, v[8:9]
	v_mov_b32_e32 v0, s13
	v_add_co_u32_e32 v14, vcc, s12, v8
	v_addc_co_u32_e32 v15, vcc, v0, v9, vcc
	global_load_dword v0, v[14:15], off
	s_or_b64 s[60:61], s[60:61], exec
	s_or_b64 s[62:63], s[62:63], exec
	s_waitcnt vmcnt(0)
	v_subrev_u32_e32 v0, s68, v0
	v_cmp_ne_u32_e32 vcc, v0, v2
	s_and_saveexec_b64 s[64:65], vcc
	s_cbranch_execz .LBB4_30
; %bb.32:                               ;   in Loop: Header=BB4_31 Depth=4
	v_add_u32_e32 v12, 1, v12
	v_cmp_ge_i32_e32 vcc, v12, v34
	s_andn2_b64 s[62:63], s[62:63], exec
	s_and_b64 s[72:73], vcc, exec
	s_andn2_b64 s[60:61], s[60:61], exec
	s_or_b64 s[62:63], s[62:63], s[72:73]
	s_branch .LBB4_30
.LBB4_33:                               ;   in Loop: Header=BB4_9 Depth=3
	s_or_b64 exec, exec, s[58:59]
	s_mov_b64 s[58:59], s[50:51]
                                        ; implicit-def: $vgpr16_vgpr17
	s_and_saveexec_b64 s[60:61], s[56:57]
	s_xor_b64 s[56:57], exec, s[60:61]
; %bb.34:                               ;   in Loop: Header=BB4_9 Depth=3
	v_mov_b32_e32 v0, s43
	v_add_co_u32_e32 v16, vcc, s42, v8
	v_addc_co_u32_e32 v17, vcc, v0, v9, vcc
	s_or_b64 s[58:59], s[50:51], exec
; %bb.35:                               ;   in Loop: Header=BB4_9 Depth=3
	s_or_b64 exec, exec, s[56:57]
	s_andn2_b64 s[56:57], s[50:51], exec
	s_and_b64 s[58:59], s[58:59], exec
	s_or_b64 s[56:57], s[56:57], s[58:59]
.LBB4_36:                               ;   in Loop: Header=BB4_9 Depth=3
	s_or_b64 exec, exec, s[54:55]
	s_andn2_b64 s[50:51], s[50:51], exec
	s_and_b64 s[54:55], s[56:57], exec
	s_or_b64 s[50:51], s[50:51], s[54:55]
.LBB4_37:                               ;   in Loop: Header=BB4_9 Depth=3
	s_or_b64 exec, exec, s[52:53]
	s_and_b64 s[50:51], s[50:51], exec
                                        ; implicit-def: $vgpr8_vgpr9
	s_andn2_saveexec_b64 s[6:7], s[6:7]
	s_cbranch_execz .LBB4_24
.LBB4_38:                               ;   in Loop: Header=BB4_9 Depth=3
	v_cmp_lt_i32_e32 vcc, v0, v30
	s_mov_b64 s[54:55], s[50:51]
                                        ; implicit-def: $vgpr16_vgpr17
	s_and_saveexec_b64 s[52:53], vcc
	s_cbranch_execz .LBB4_46
; %bb.39:                               ;   in Loop: Header=BB4_9 Depth=3
	s_mov_b64 s[56:57], 0
                                        ; implicit-def: $sgpr54_sgpr55
                                        ; implicit-def: $sgpr60_sgpr61
                                        ; implicit-def: $sgpr58_sgpr59
	s_branch .LBB4_41
.LBB4_40:                               ;   in Loop: Header=BB4_41 Depth=4
	s_or_b64 exec, exec, s[62:63]
	s_and_b64 s[62:63], exec, s[60:61]
	s_or_b64 s[56:57], s[62:63], s[56:57]
	s_andn2_b64 s[54:55], s[54:55], exec
	s_and_b64 s[62:63], s[58:59], exec
	s_or_b64 s[54:55], s[54:55], s[62:63]
	s_andn2_b64 exec, exec, s[56:57]
	s_cbranch_execz .LBB4_43
.LBB4_41:                               ;   Parent Loop BB4_3 Depth=1
                                        ;     Parent Loop BB4_5 Depth=2
                                        ;       Parent Loop BB4_9 Depth=3
                                        ; =>      This Inner Loop Header: Depth=4
	v_add_u32_e32 v10, v6, v0
	v_ashrrev_i32_e32 v11, 31, v10
	v_lshlrev_b64 v[10:11], 2, v[10:11]
	v_mov_b32_e32 v9, s21
	v_add_co_u32_e32 v12, vcc, s20, v10
	v_addc_co_u32_e32 v13, vcc, v9, v11, vcc
	global_load_dword v9, v[12:13], off
	s_or_b64 s[58:59], s[58:59], exec
	s_or_b64 s[60:61], s[60:61], exec
	s_waitcnt vmcnt(0)
	v_subrev_u32_e32 v9, s67, v9
	v_cmp_ne_u32_e32 vcc, v9, v8
	s_and_saveexec_b64 s[62:63], vcc
	s_cbranch_execz .LBB4_40
; %bb.42:                               ;   in Loop: Header=BB4_41 Depth=4
	v_add_u32_e32 v0, 1, v0
	v_cmp_ge_i32_e32 vcc, v0, v30
	s_andn2_b64 s[60:61], s[60:61], exec
	s_and_b64 s[64:65], vcc, exec
	s_andn2_b64 s[58:59], s[58:59], exec
	s_or_b64 s[60:61], s[60:61], s[64:65]
	s_branch .LBB4_40
.LBB4_43:                               ;   in Loop: Header=BB4_9 Depth=3
	s_or_b64 exec, exec, s[56:57]
	s_mov_b64 s[56:57], s[50:51]
                                        ; implicit-def: $vgpr16_vgpr17
	s_and_saveexec_b64 s[58:59], s[54:55]
	s_xor_b64 s[54:55], exec, s[58:59]
; %bb.44:                               ;   in Loop: Header=BB4_9 Depth=3
	v_mov_b32_e32 v0, s41
	v_add_co_u32_e32 v16, vcc, s40, v10
	v_addc_co_u32_e32 v17, vcc, v0, v11, vcc
	s_or_b64 s[56:57], s[50:51], exec
; %bb.45:                               ;   in Loop: Header=BB4_9 Depth=3
	s_or_b64 exec, exec, s[54:55]
	s_andn2_b64 s[54:55], s[50:51], exec
	s_and_b64 s[56:57], s[56:57], exec
	s_or_b64 s[54:55], s[54:55], s[56:57]
.LBB4_46:                               ;   in Loop: Header=BB4_9 Depth=3
	s_or_b64 exec, exec, s[52:53]
	s_andn2_b64 s[50:51], s[50:51], exec
	s_and_b64 s[52:53], s[54:55], exec
	s_or_b64 s[50:51], s[50:51], s[52:53]
	s_or_b64 exec, exec, s[6:7]
	s_and_b64 exec, exec, s[50:51]
	s_cbranch_execz .LBB4_8
.LBB4_47:                               ;   in Loop: Header=BB4_9 Depth=3
	global_store_dword v[16:17], v5, off
	s_branch .LBB4_8
.LBB4_48:                               ;   in Loop: Header=BB4_3 Depth=1
	s_and_saveexec_b64 s[6:7], s[0:1]
	s_cbranch_execz .LBB4_2
; %bb.49:                               ;   in Loop: Header=BB4_3 Depth=1
	s_mov_b64 s[44:45], 0
	v_mov_b32_e32 v2, v22
	s_branch .LBB4_51
.LBB4_50:                               ;   in Loop: Header=BB4_51 Depth=2
	s_or_b64 exec, exec, s[46:47]
	v_add_u32_e32 v2, 64, v2
	v_cmp_le_u32_e32 vcc, s69, v2
	s_or_b64 s[44:45], vcc, s[44:45]
	s_andn2_b64 exec, exec, s[44:45]
	s_cbranch_execz .LBB4_2
.LBB4_51:                               ;   Parent Loop BB4_3 Depth=1
                                        ; =>  This Loop Header: Depth=2
                                        ;       Child Loop BB4_55 Depth 3
                                        ;       Child Loop BB4_59 Depth 3
	;; [unrolled: 1-line block ×4, first 2 shown]
	v_cmp_gt_i32_e32 vcc, s35, v2
	s_and_saveexec_b64 s[46:47], vcc
	s_cbranch_execz .LBB4_50
; %bb.52:                               ;   in Loop: Header=BB4_51 Depth=2
	v_ashrrev_i32_e32 v3, 31, v2
	v_lshlrev_b64 v[4:5], 2, v[2:3]
	v_mov_b32_e32 v0, s17
	v_add_co_u32_e32 v6, vcc, s16, v4
	v_addc_co_u32_e32 v7, vcc, v0, v5, vcc
	global_load_dword v3, v[6:7], off
	v_mov_b32_e32 v0, s19
	v_add_co_u32_e32 v6, vcc, s18, v4
	v_addc_co_u32_e32 v7, vcc, v0, v5, vcc
	global_load_dword v0, v[6:7], off
	s_waitcnt vmcnt(1)
	v_add_u32_e32 v6, v24, v3
	s_waitcnt vmcnt(0)
	v_subrev_u32_e32 v0, s67, v0
	v_cmp_lt_i32_e32 vcc, v6, v0
	s_and_saveexec_b64 s[48:49], vcc
	s_cbranch_execz .LBB4_60
; %bb.53:                               ;   in Loop: Header=BB4_51 Depth=2
	v_add_u32_e32 v7, v29, v3
	v_max_i32_e32 v7, v7, v0
	v_add_u32_e32 v7, v28, v7
	v_sub_u32_e32 v3, v7, v3
	v_cmp_lt_u32_e32 vcc, 15, v3
	s_mov_b64 s[4:5], -1
	s_and_saveexec_b64 s[50:51], vcc
	s_cbranch_execz .LBB4_57
; %bb.54:                               ;   in Loop: Header=BB4_51 Depth=2
	v_lshrrev_b32_e32 v3, 4, v3
	v_add_u32_e32 v3, 1, v3
	v_and_b32_e32 v10, 0x1ffffffe, v3
	v_add_u32_e32 v7, 16, v6
	s_mov_b64 s[52:53], 0
	v_mov_b32_e32 v11, v10
	v_pk_mov_b32 v[8:9], v[6:7], v[6:7] op_sel:[0,1]
.LBB4_55:                               ;   Parent Loop BB4_3 Depth=1
                                        ;     Parent Loop BB4_51 Depth=2
                                        ; =>    This Inner Loop Header: Depth=3
	v_ashrrev_i32_e32 v15, 31, v8
	v_mov_b32_e32 v14, v8
	v_lshlrev_b64 v[14:15], 2, v[14:15]
	v_ashrrev_i32_e32 v13, 31, v9
	v_mov_b32_e32 v12, v9
	v_mov_b32_e32 v7, s41
	v_add_co_u32_e32 v16, vcc, s40, v14
	v_lshlrev_b64 v[12:13], 2, v[12:13]
	v_addc_co_u32_e32 v17, vcc, v7, v15, vcc
	v_add_co_u32_e32 v18, vcc, s40, v12
	v_addc_co_u32_e32 v19, vcc, v7, v13, vcc
	global_load_dword v7, v[16:17], off
	s_nop 0
	global_load_dword v16, v[18:19], off
	v_mov_b32_e32 v17, s23
	v_add_u32_e32 v11, -2, v11
	v_add_co_u32_e64 v14, s[4:5], s22, v14
	v_cmp_eq_u32_e32 vcc, 0, v11
	v_addc_co_u32_e64 v15, s[4:5], v17, v15, s[4:5]
	v_add_u32_e32 v9, 32, v9
	v_add_u32_e32 v8, 32, v8
	v_add_co_u32_e64 v12, s[4:5], s22, v12
	s_or_b64 s[52:53], vcc, s[52:53]
	v_addc_co_u32_e64 v13, s[4:5], v17, v13, s[4:5]
	s_waitcnt vmcnt(1)
	global_store_dword v[14:15], v7, off
	s_waitcnt vmcnt(1)
	global_store_dword v[12:13], v16, off
	s_andn2_b64 exec, exec, s[52:53]
	s_cbranch_execnz .LBB4_55
; %bb.56:                               ;   in Loop: Header=BB4_51 Depth=2
	s_or_b64 exec, exec, s[52:53]
	v_cmp_ne_u32_e32 vcc, v3, v10
	v_lshl_add_u32 v6, v10, 4, v6
	s_orn2_b64 s[4:5], vcc, exec
.LBB4_57:                               ;   in Loop: Header=BB4_51 Depth=2
	s_or_b64 exec, exec, s[50:51]
	s_and_b64 exec, exec, s[4:5]
	s_cbranch_execz .LBB4_60
; %bb.58:                               ;   in Loop: Header=BB4_51 Depth=2
	v_ashrrev_i32_e32 v7, 31, v6
	v_lshlrev_b64 v[10:11], 2, v[6:7]
	v_mov_b32_e32 v3, s41
	v_add_co_u32_e32 v8, vcc, s40, v10
	v_addc_co_u32_e32 v9, vcc, v3, v11, vcc
	v_mov_b32_e32 v3, s23
	v_add_co_u32_e32 v10, vcc, s22, v10
	v_addc_co_u32_e32 v11, vcc, v3, v11, vcc
	s_mov_b64 s[4:5], 0
.LBB4_59:                               ;   Parent Loop BB4_3 Depth=1
                                        ;     Parent Loop BB4_51 Depth=2
                                        ; =>    This Inner Loop Header: Depth=3
	global_load_dword v3, v[8:9], off
	v_add_co_u32_e32 v8, vcc, 64, v8
	v_add_u32_e32 v6, 16, v6
	v_addc_co_u32_e32 v9, vcc, 0, v9, vcc
	v_cmp_ge_i32_e32 vcc, v6, v0
	s_or_b64 s[4:5], vcc, s[4:5]
	s_waitcnt vmcnt(0)
	global_store_dword v[10:11], v3, off
	v_add_co_u32_e32 v10, vcc, 64, v10
	v_addc_co_u32_e32 v11, vcc, 0, v11, vcc
	s_andn2_b64 exec, exec, s[4:5]
	s_cbranch_execnz .LBB4_59
.LBB4_60:                               ;   in Loop: Header=BB4_51 Depth=2
	s_or_b64 exec, exec, s[48:49]
	v_mov_b32_e32 v0, s9
	v_add_co_u32_e32 v6, vcc, s8, v4
	v_addc_co_u32_e32 v7, vcc, v0, v5, vcc
	global_load_dword v3, v[6:7], off
	v_mov_b32_e32 v0, s11
	v_add_co_u32_e32 v6, vcc, s10, v4
	v_addc_co_u32_e32 v7, vcc, v0, v5, vcc
	global_load_dword v0, v[6:7], off
	s_waitcnt vmcnt(1)
	v_add_u32_e32 v6, v25, v3
	s_waitcnt vmcnt(0)
	v_subrev_u32_e32 v0, s68, v0
	v_cmp_lt_i32_e32 vcc, v6, v0
	s_and_saveexec_b64 s[48:49], vcc
	s_cbranch_execz .LBB4_68
; %bb.61:                               ;   in Loop: Header=BB4_51 Depth=2
	v_add_u32_e32 v7, v27, v3
	v_max_i32_e32 v7, v7, v0
	v_add_u32_e32 v7, v26, v7
	v_sub_u32_e32 v3, v7, v3
	v_cmp_lt_u32_e32 vcc, 15, v3
	s_mov_b64 s[4:5], -1
	s_and_saveexec_b64 s[50:51], vcc
	s_cbranch_execz .LBB4_65
; %bb.62:                               ;   in Loop: Header=BB4_51 Depth=2
	v_lshrrev_b32_e32 v3, 4, v3
	v_add_u32_e32 v3, 1, v3
	v_and_b32_e32 v10, 0x1ffffffe, v3
	v_add_u32_e32 v7, 16, v6
	s_mov_b64 s[52:53], 0
	v_mov_b32_e32 v11, v10
	v_pk_mov_b32 v[8:9], v[6:7], v[6:7] op_sel:[0,1]
.LBB4_63:                               ;   Parent Loop BB4_3 Depth=1
                                        ;     Parent Loop BB4_51 Depth=2
                                        ; =>    This Inner Loop Header: Depth=3
	v_ashrrev_i32_e32 v15, 31, v8
	v_mov_b32_e32 v14, v8
	v_lshlrev_b64 v[14:15], 2, v[14:15]
	v_ashrrev_i32_e32 v13, 31, v9
	v_mov_b32_e32 v12, v9
	v_mov_b32_e32 v7, s43
	v_add_co_u32_e32 v16, vcc, s42, v14
	v_lshlrev_b64 v[12:13], 2, v[12:13]
	v_addc_co_u32_e32 v17, vcc, v7, v15, vcc
	v_add_co_u32_e32 v18, vcc, s42, v12
	v_addc_co_u32_e32 v19, vcc, v7, v13, vcc
	global_load_dword v7, v[16:17], off
	s_nop 0
	global_load_dword v16, v[18:19], off
	v_mov_b32_e32 v17, s15
	v_add_u32_e32 v11, -2, v11
	v_add_co_u32_e64 v14, s[4:5], s14, v14
	v_cmp_eq_u32_e32 vcc, 0, v11
	v_addc_co_u32_e64 v15, s[4:5], v17, v15, s[4:5]
	v_add_u32_e32 v9, 32, v9
	v_add_u32_e32 v8, 32, v8
	v_add_co_u32_e64 v12, s[4:5], s14, v12
	s_or_b64 s[52:53], vcc, s[52:53]
	v_addc_co_u32_e64 v13, s[4:5], v17, v13, s[4:5]
	s_waitcnt vmcnt(1)
	global_store_dword v[14:15], v7, off
	s_waitcnt vmcnt(1)
	global_store_dword v[12:13], v16, off
	s_andn2_b64 exec, exec, s[52:53]
	s_cbranch_execnz .LBB4_63
; %bb.64:                               ;   in Loop: Header=BB4_51 Depth=2
	s_or_b64 exec, exec, s[52:53]
	v_cmp_ne_u32_e32 vcc, v3, v10
	v_lshl_add_u32 v6, v10, 4, v6
	s_orn2_b64 s[4:5], vcc, exec
.LBB4_65:                               ;   in Loop: Header=BB4_51 Depth=2
	s_or_b64 exec, exec, s[50:51]
	s_and_b64 exec, exec, s[4:5]
	s_cbranch_execz .LBB4_68
; %bb.66:                               ;   in Loop: Header=BB4_51 Depth=2
	v_ashrrev_i32_e32 v7, 31, v6
	v_lshlrev_b64 v[10:11], 2, v[6:7]
	v_mov_b32_e32 v3, s43
	v_add_co_u32_e32 v8, vcc, s42, v10
	v_addc_co_u32_e32 v9, vcc, v3, v11, vcc
	v_mov_b32_e32 v3, s15
	v_add_co_u32_e32 v10, vcc, s14, v10
	v_addc_co_u32_e32 v11, vcc, v3, v11, vcc
	s_mov_b64 s[4:5], 0
.LBB4_67:                               ;   Parent Loop BB4_3 Depth=1
                                        ;     Parent Loop BB4_51 Depth=2
                                        ; =>    This Inner Loop Header: Depth=3
	global_load_dword v3, v[8:9], off
	v_add_co_u32_e32 v8, vcc, 64, v8
	v_add_u32_e32 v6, 16, v6
	v_addc_co_u32_e32 v9, vcc, 0, v9, vcc
	v_cmp_ge_i32_e32 vcc, v6, v0
	s_or_b64 s[4:5], vcc, s[4:5]
	s_waitcnt vmcnt(0)
	global_store_dword v[10:11], v3, off
	v_add_co_u32_e32 v10, vcc, 64, v10
	v_addc_co_u32_e32 v11, vcc, 0, v11, vcc
	s_andn2_b64 exec, exec, s[4:5]
	s_cbranch_execnz .LBB4_67
.LBB4_68:                               ;   in Loop: Header=BB4_51 Depth=2
	s_or_b64 exec, exec, s[48:49]
	s_and_b64 exec, exec, s[2:3]
	s_cbranch_execz .LBB4_50
; %bb.69:                               ;   in Loop: Header=BB4_51 Depth=2
	v_mov_b32_e32 v0, s39
	v_add_co_u32_e32 v6, vcc, s38, v4
	v_addc_co_u32_e32 v7, vcc, v0, v5, vcc
	global_load_dword v0, v[6:7], off
	v_mov_b32_e32 v3, s37
	v_add_co_u32_e32 v4, vcc, s36, v4
	v_addc_co_u32_e32 v5, vcc, v3, v5, vcc
	s_waitcnt vmcnt(0)
	global_store_dword v[4:5], v0, off
	s_branch .LBB4_50
.LBB4_70:
	s_endpgm
	.section	.rodata,"a",@progbits
	.p2align	6, 0x0
	.amdhsa_kernel _ZN9rocsparseL14kernel_freerunILi1024ELi16EfiiEEvT3_S1_T2_PKS2_S4_PKS1_PKT1_21rocsparse_index_base_S4_S4_S6_PS7_SB_SA_S4_S4_S6_SB_SB_SA_SB_SB_
		.amdhsa_group_segment_fixed_size 0
		.amdhsa_private_segment_fixed_size 0
		.amdhsa_kernarg_size 168
		.amdhsa_user_sgpr_count 6
		.amdhsa_user_sgpr_private_segment_buffer 1
		.amdhsa_user_sgpr_dispatch_ptr 0
		.amdhsa_user_sgpr_queue_ptr 0
		.amdhsa_user_sgpr_kernarg_segment_ptr 1
		.amdhsa_user_sgpr_dispatch_id 0
		.amdhsa_user_sgpr_flat_scratch_init 0
		.amdhsa_user_sgpr_kernarg_preload_length 0
		.amdhsa_user_sgpr_kernarg_preload_offset 0
		.amdhsa_user_sgpr_private_segment_size 0
		.amdhsa_uses_dynamic_stack 0
		.amdhsa_system_sgpr_private_segment_wavefront_offset 0
		.amdhsa_system_sgpr_workgroup_id_x 1
		.amdhsa_system_sgpr_workgroup_id_y 0
		.amdhsa_system_sgpr_workgroup_id_z 0
		.amdhsa_system_sgpr_workgroup_info 0
		.amdhsa_system_vgpr_workitem_id 0
		.amdhsa_next_free_vgpr 40
		.amdhsa_next_free_sgpr 74
		.amdhsa_accum_offset 40
		.amdhsa_reserve_vcc 1
		.amdhsa_reserve_flat_scratch 0
		.amdhsa_float_round_mode_32 0
		.amdhsa_float_round_mode_16_64 0
		.amdhsa_float_denorm_mode_32 3
		.amdhsa_float_denorm_mode_16_64 3
		.amdhsa_dx10_clamp 1
		.amdhsa_ieee_mode 1
		.amdhsa_fp16_overflow 0
		.amdhsa_tg_split 0
		.amdhsa_exception_fp_ieee_invalid_op 0
		.amdhsa_exception_fp_denorm_src 0
		.amdhsa_exception_fp_ieee_div_zero 0
		.amdhsa_exception_fp_ieee_overflow 0
		.amdhsa_exception_fp_ieee_underflow 0
		.amdhsa_exception_fp_ieee_inexact 0
		.amdhsa_exception_int_div_zero 0
	.end_amdhsa_kernel
	.section	.text._ZN9rocsparseL14kernel_freerunILi1024ELi16EfiiEEvT3_S1_T2_PKS2_S4_PKS1_PKT1_21rocsparse_index_base_S4_S4_S6_PS7_SB_SA_S4_S4_S6_SB_SB_SA_SB_SB_,"axG",@progbits,_ZN9rocsparseL14kernel_freerunILi1024ELi16EfiiEEvT3_S1_T2_PKS2_S4_PKS1_PKT1_21rocsparse_index_base_S4_S4_S6_PS7_SB_SA_S4_S4_S6_SB_SB_SA_SB_SB_,comdat
.Lfunc_end4:
	.size	_ZN9rocsparseL14kernel_freerunILi1024ELi16EfiiEEvT3_S1_T2_PKS2_S4_PKS1_PKT1_21rocsparse_index_base_S4_S4_S6_PS7_SB_SA_S4_S4_S6_SB_SB_SA_SB_SB_, .Lfunc_end4-_ZN9rocsparseL14kernel_freerunILi1024ELi16EfiiEEvT3_S1_T2_PKS2_S4_PKS1_PKT1_21rocsparse_index_base_S4_S4_S6_PS7_SB_SA_S4_S4_S6_SB_SB_SA_SB_SB_
                                        ; -- End function
	.section	.AMDGPU.csdata,"",@progbits
; Kernel info:
; codeLenInByte = 2572
; NumSgprs: 78
; NumVgprs: 40
; NumAgprs: 0
; TotalNumVgprs: 40
; ScratchSize: 0
; MemoryBound: 0
; FloatMode: 240
; IeeeMode: 1
; LDSByteSize: 0 bytes/workgroup (compile time only)
; SGPRBlocks: 9
; VGPRBlocks: 4
; NumSGPRsForWavesPerEU: 78
; NumVGPRsForWavesPerEU: 40
; AccumOffset: 40
; Occupancy: 8
; WaveLimiterHint : 1
; COMPUTE_PGM_RSRC2:SCRATCH_EN: 0
; COMPUTE_PGM_RSRC2:USER_SGPR: 6
; COMPUTE_PGM_RSRC2:TRAP_HANDLER: 0
; COMPUTE_PGM_RSRC2:TGID_X_EN: 1
; COMPUTE_PGM_RSRC2:TGID_Y_EN: 0
; COMPUTE_PGM_RSRC2:TGID_Z_EN: 0
; COMPUTE_PGM_RSRC2:TIDIG_COMP_CNT: 0
; COMPUTE_PGM_RSRC3_GFX90A:ACCUM_OFFSET: 9
; COMPUTE_PGM_RSRC3_GFX90A:TG_SPLIT: 0
	.section	.text._ZN9rocsparseL14kernel_freerunILi1024ELi32EfiiEEvT3_S1_T2_PKS2_S4_PKS1_PKT1_21rocsparse_index_base_S4_S4_S6_PS7_SB_SA_S4_S4_S6_SB_SB_SA_SB_SB_,"axG",@progbits,_ZN9rocsparseL14kernel_freerunILi1024ELi32EfiiEEvT3_S1_T2_PKS2_S4_PKS1_PKT1_21rocsparse_index_base_S4_S4_S6_PS7_SB_SA_S4_S4_S6_SB_SB_SA_SB_SB_,comdat
	.globl	_ZN9rocsparseL14kernel_freerunILi1024ELi32EfiiEEvT3_S1_T2_PKS2_S4_PKS1_PKT1_21rocsparse_index_base_S4_S4_S6_PS7_SB_SA_S4_S4_S6_SB_SB_SA_SB_SB_ ; -- Begin function _ZN9rocsparseL14kernel_freerunILi1024ELi32EfiiEEvT3_S1_T2_PKS2_S4_PKS1_PKT1_21rocsparse_index_base_S4_S4_S6_PS7_SB_SA_S4_S4_S6_SB_SB_SA_SB_SB_
	.p2align	8
	.type	_ZN9rocsparseL14kernel_freerunILi1024ELi32EfiiEEvT3_S1_T2_PKS2_S4_PKS1_PKT1_21rocsparse_index_base_S4_S4_S6_PS7_SB_SA_S4_S4_S6_SB_SB_SA_SB_SB_,@function
_ZN9rocsparseL14kernel_freerunILi1024ELi32EfiiEEvT3_S1_T2_PKS2_S4_PKS1_PKT1_21rocsparse_index_base_S4_S4_S6_PS7_SB_SA_S4_S4_S6_SB_SB_SA_SB_SB_: ; @_ZN9rocsparseL14kernel_freerunILi1024ELi32EfiiEEvT3_S1_T2_PKS2_S4_PKS1_PKT1_21rocsparse_index_base_S4_S4_S6_PS7_SB_SA_S4_S4_S6_SB_SB_SA_SB_SB_
; %bb.0:
	s_load_dwordx2 s[34:35], s[4:5], 0x0
	v_lshrrev_b32_e32 v1, 5, v0
	s_lshl_b32 s69, s6, 10
	v_or_b32_e32 v22, s69, v1
	s_mov_b32 s33, 0
	s_waitcnt lgkmcnt(0)
	s_cmp_gt_i32 s34, 0
	v_cmp_gt_i32_e32 vcc, s35, v22
	s_cselect_b64 s[0:1], -1, 0
	s_and_b64 s[0:1], vcc, s[0:1]
	s_and_saveexec_b64 s[2:3], s[0:1]
	s_cbranch_execz .LBB5_70
; %bb.1:
	s_load_dwordx4 s[36:39], s[4:5], 0x98
	s_load_dwordx8 s[8:15], s[4:5], 0x68
	s_load_dwordx8 s[16:23], s[4:5], 0x38
	;; [unrolled: 1-line block ×3, first 2 shown]
	s_load_dword s66, s[4:5], 0x30
	s_load_dwordx2 s[40:41], s[4:5], 0x58
	s_load_dword s67, s[4:5], 0x60
	s_load_dwordx2 s[42:43], s[4:5], 0x88
	s_load_dword s68, s[4:5], 0x90
	v_and_b32_e32 v0, 31, v0
	s_waitcnt lgkmcnt(0)
	v_subrev_u32_e32 v23, s66, v0
	s_addk_i32 s69, 0x400
	v_subrev_u32_e32 v24, s67, v0
	v_subrev_u32_e32 v25, s68, v0
	v_cmp_eq_u32_e64 s[2:3], 0, v0
	v_not_b32_e32 v1, v0
	v_or_b32_e32 v0, 32, v0
	v_cmp_gt_u32_e64 s[0:1], s69, v22
	v_add_u32_e32 v26, s68, v1
	v_subrev_u32_e32 v27, s68, v0
	v_add_u32_e32 v28, s67, v1
	v_subrev_u32_e32 v29, s67, v0
	s_movk_i32 s70, 0x1f8
	v_mov_b32_e32 v1, 0
	s_branch .LBB5_3
.LBB5_2:                                ;   in Loop: Header=BB5_3 Depth=1
	s_or_b64 exec, exec, s[6:7]
	s_add_i32 s33, s33, 1
	s_cmp_eq_u32 s33, s34
	s_cbranch_scc1 .LBB5_70
.LBB5_3:                                ; =>This Loop Header: Depth=1
                                        ;     Child Loop BB5_5 Depth 2
                                        ;       Child Loop BB5_9 Depth 3
                                        ;         Child Loop BB5_13 Depth 4
                                        ;         Child Loop BB5_31 Depth 4
	;; [unrolled: 1-line block ×3, first 2 shown]
                                        ;     Child Loop BB5_51 Depth 2
                                        ;       Child Loop BB5_55 Depth 3
                                        ;       Child Loop BB5_59 Depth 3
	;; [unrolled: 1-line block ×4, first 2 shown]
	s_mov_b32 s71, 0
	s_branch .LBB5_5
.LBB5_4:                                ;   in Loop: Header=BB5_5 Depth=2
	s_or_b64 exec, exec, s[44:45]
	s_add_i32 s71, s71, 1
	s_cmp_eq_u32 s71, 32
	s_cbranch_scc1 .LBB5_48
.LBB5_5:                                ;   Parent Loop BB5_3 Depth=1
                                        ; =>  This Loop Header: Depth=2
                                        ;       Child Loop BB5_9 Depth 3
                                        ;         Child Loop BB5_13 Depth 4
                                        ;         Child Loop BB5_31 Depth 4
	;; [unrolled: 1-line block ×3, first 2 shown]
	v_lshl_add_u32 v2, s71, 5, v22
	v_cmp_gt_i32_e32 vcc, s35, v2
	s_and_saveexec_b64 s[44:45], vcc
	s_cbranch_execz .LBB5_4
; %bb.6:                                ;   in Loop: Header=BB5_5 Depth=2
	v_ashrrev_i32_e32 v3, 31, v2
	v_lshlrev_b64 v[6:7], 2, v[2:3]
	v_mov_b32_e32 v0, s25
	v_add_co_u32_e32 v4, vcc, s24, v6
	v_addc_co_u32_e32 v5, vcc, v0, v7, vcc
	global_load_dword v0, v[4:5], off
	v_mov_b32_e32 v3, s27
	v_add_co_u32_e32 v4, vcc, s26, v6
	v_addc_co_u32_e32 v5, vcc, v3, v7, vcc
	global_load_dword v3, v[4:5], off
	s_waitcnt vmcnt(1)
	v_add_u32_e32 v4, v23, v0
	s_waitcnt vmcnt(0)
	v_subrev_u32_e32 v3, s66, v3
	v_cmp_lt_i32_e32 vcc, v4, v3
	s_and_b64 exec, exec, vcc
	s_cbranch_execz .LBB5_4
; %bb.7:                                ;   in Loop: Header=BB5_5 Depth=2
	v_mov_b32_e32 v0, s19
	v_add_co_u32_e32 v8, vcc, s18, v6
	v_addc_co_u32_e32 v9, vcc, v0, v7, vcc
	v_mov_b32_e32 v0, s17
	v_add_co_u32_e32 v6, vcc, s16, v6
	v_addc_co_u32_e32 v7, vcc, v0, v7, vcc
	global_load_dword v0, v[6:7], off
	global_load_dword v5, v[8:9], off
	v_mov_b32_e32 v10, s21
	v_mov_b32_e32 v11, s23
	s_mov_b64 s[46:47], 0
	s_waitcnt vmcnt(1)
	v_subrev_u32_e32 v6, s67, v0
	v_ashrrev_i32_e32 v7, 31, v6
	v_lshlrev_b64 v[8:9], 2, v[6:7]
	v_add_co_u32_e32 v7, vcc, s20, v8
	v_addc_co_u32_e32 v31, vcc, v10, v9, vcc
	s_waitcnt vmcnt(0)
	v_sub_u32_e32 v30, v5, v0
	v_add_co_u32_e32 v32, vcc, s22, v8
	v_cmp_lt_i32_e64 s[4:5], 0, v30
	v_addc_co_u32_e32 v33, vcc, v11, v9, vcc
	s_branch .LBB5_9
.LBB5_8:                                ;   in Loop: Header=BB5_9 Depth=3
	s_or_b64 exec, exec, s[48:49]
	v_add_u32_e32 v4, 32, v4
	v_cmp_ge_i32_e32 vcc, v4, v3
	s_or_b64 s[46:47], vcc, s[46:47]
	s_andn2_b64 exec, exec, s[46:47]
	s_cbranch_execz .LBB5_4
.LBB5_9:                                ;   Parent Loop BB5_3 Depth=1
                                        ;     Parent Loop BB5_5 Depth=2
                                        ; =>    This Loop Header: Depth=3
                                        ;         Child Loop BB5_13 Depth 4
                                        ;         Child Loop BB5_31 Depth 4
	;; [unrolled: 1-line block ×3, first 2 shown]
	v_ashrrev_i32_e32 v5, 31, v4
	v_lshlrev_b64 v[16:17], 2, v[4:5]
	v_mov_b32_e32 v0, s29
	v_add_co_u32_e32 v8, vcc, s28, v16
	v_addc_co_u32_e32 v9, vcc, v0, v17, vcc
	global_load_dword v0, v[8:9], off
	v_mov_b32_e32 v5, s9
	v_mov_b32_e32 v13, s11
	s_waitcnt vmcnt(0)
	v_subrev_u32_e32 v8, s66, v0
	v_ashrrev_i32_e32 v9, 31, v8
	v_lshlrev_b64 v[14:15], 2, v[8:9]
	v_add_co_u32_e32 v10, vcc, s8, v14
	v_addc_co_u32_e32 v11, vcc, v5, v15, vcc
	v_add_co_u32_e32 v12, vcc, s10, v14
	v_addc_co_u32_e32 v13, vcc, v13, v15, vcc
	global_load_dword v0, v[10:11], off
	global_load_dword v9, v[12:13], off
	v_mov_b32_e32 v5, 0
	v_mov_b32_e32 v12, 0
	s_waitcnt vmcnt(1)
	v_subrev_u32_e32 v10, s68, v0
	s_waitcnt vmcnt(0)
	v_sub_u32_e32 v34, v9, v0
	v_mov_b32_e32 v0, 0
	s_and_saveexec_b64 s[6:7], s[4:5]
	s_cbranch_execz .LBB5_17
; %bb.10:                               ;   in Loop: Header=BB5_9 Depth=3
	v_ashrrev_i32_e32 v11, 31, v10
	v_lshlrev_b64 v[12:13], 2, v[10:11]
	v_mov_b32_e32 v0, s13
	v_add_co_u32_e32 v9, vcc, s12, v12
	v_addc_co_u32_e32 v11, vcc, v0, v13, vcc
	v_mov_b32_e32 v0, s15
	v_add_co_u32_e32 v35, vcc, s14, v12
	v_addc_co_u32_e32 v36, vcc, v0, v13, vcc
	v_mov_b32_e32 v0, 0
	s_mov_b64 s[48:49], 0
	v_mov_b32_e32 v5, 0
	v_mov_b32_e32 v12, v0
                                        ; implicit-def: $sgpr50_sgpr51
	s_branch .LBB5_13
.LBB5_11:                               ;   in Loop: Header=BB5_13 Depth=4
	s_or_b64 exec, exec, s[54:55]
	v_cmp_le_i32_e32 vcc, v13, v37
	v_addc_co_u32_e32 v0, vcc, 0, v0, vcc
	v_cmp_ge_i32_e32 vcc, v13, v37
	v_addc_co_u32_e32 v12, vcc, 0, v12, vcc
	v_cmp_ge_i32_e32 vcc, v0, v30
	s_andn2_b64 s[50:51], s[50:51], exec
	s_and_b64 s[54:55], vcc, exec
	s_or_b64 s[50:51], s[50:51], s[54:55]
.LBB5_12:                               ;   in Loop: Header=BB5_13 Depth=4
	s_or_b64 exec, exec, s[52:53]
	s_and_b64 s[52:53], exec, s[50:51]
	s_or_b64 s[48:49], s[52:53], s[48:49]
	s_andn2_b64 exec, exec, s[48:49]
	s_cbranch_execz .LBB5_16
.LBB5_13:                               ;   Parent Loop BB5_3 Depth=1
                                        ;     Parent Loop BB5_5 Depth=2
                                        ;       Parent Loop BB5_9 Depth=3
                                        ; =>      This Inner Loop Header: Depth=4
	v_cmp_lt_i32_e32 vcc, v12, v34
	s_or_b64 s[50:51], s[50:51], exec
	s_and_saveexec_b64 s[52:53], vcc
	s_cbranch_execz .LBB5_12
; %bb.14:                               ;   in Loop: Header=BB5_13 Depth=4
	v_lshlrev_b64 v[18:19], 2, v[0:1]
	v_add_co_u32_e32 v20, vcc, v7, v18
	v_addc_co_u32_e32 v21, vcc, v31, v19, vcc
	v_mov_b32_e32 v13, v1
	global_load_dword v37, v[20:21], off
	v_lshlrev_b64 v[20:21], 2, v[12:13]
	v_add_co_u32_e32 v38, vcc, v9, v20
	v_addc_co_u32_e32 v39, vcc, v11, v21, vcc
	global_load_dword v38, v[38:39], off
	s_waitcnt vmcnt(1)
	v_subrev_u32_e32 v13, s67, v37
	s_waitcnt vmcnt(0)
	v_subrev_u32_e32 v37, s68, v38
	v_cmp_eq_u32_e32 vcc, v13, v37
	s_and_saveexec_b64 s[54:55], vcc
	s_cbranch_execz .LBB5_11
; %bb.15:                               ;   in Loop: Header=BB5_13 Depth=4
	v_add_co_u32_e32 v18, vcc, v32, v18
	v_addc_co_u32_e32 v19, vcc, v33, v19, vcc
	v_add_co_u32_e32 v20, vcc, v35, v20
	v_addc_co_u32_e32 v21, vcc, v36, v21, vcc
	global_load_dword v18, v[18:19], off
	s_nop 0
	global_load_dword v19, v[20:21], off
	s_waitcnt vmcnt(0)
	v_fmac_f32_e32 v5, v18, v19
	s_branch .LBB5_11
.LBB5_16:                               ;   in Loop: Header=BB5_9 Depth=3
	s_or_b64 exec, exec, s[48:49]
.LBB5_17:                               ;   in Loop: Header=BB5_9 Depth=3
	s_or_b64 exec, exec, s[6:7]
	v_mov_b32_e32 v9, s31
	v_add_co_u32_e32 v16, vcc, s30, v16
	v_addc_co_u32_e32 v17, vcc, v9, v17, vcc
	global_load_dword v9, v[16:17], off
	v_cmp_le_i32_e64 s[6:7], v2, v8
	v_cmp_gt_i32_e32 vcc, v2, v8
	s_waitcnt vmcnt(0)
	v_sub_f32_e32 v5, v9, v5
	s_and_saveexec_b64 s[48:49], vcc
	s_cbranch_execz .LBB5_21
; %bb.18:                               ;   in Loop: Header=BB5_9 Depth=3
	v_mov_b32_e32 v9, s37
	v_add_co_u32_e32 v16, vcc, s36, v14
	v_addc_co_u32_e32 v17, vcc, v9, v15, vcc
	global_load_dword v9, v[16:17], off
	v_mov_b32_e32 v11, 0
	s_waitcnt vmcnt(0)
	v_cmp_lg_f32_e32 vcc, 0, v9
	s_and_saveexec_b64 s[50:51], vcc
; %bb.19:                               ;   in Loop: Header=BB5_9 Depth=3
	v_div_scale_f32 v11, s[52:53], v9, v9, v5
	v_rcp_f32_e32 v13, v11
	v_div_scale_f32 v16, vcc, v5, v9, v5
	v_fma_f32 v17, -v11, v13, 1.0
	v_fmac_f32_e32 v13, v17, v13
	v_mul_f32_e32 v17, v16, v13
	v_fma_f32 v18, -v11, v17, v16
	v_fmac_f32_e32 v17, v18, v13
	v_fma_f32 v11, -v11, v17, v16
	v_div_fmas_f32 v11, v11, v13, v17
	v_div_fixup_f32 v11, v11, v9, v5
; %bb.20:                               ;   in Loop: Header=BB5_9 Depth=3
	s_or_b64 exec, exec, s[50:51]
	v_mov_b32_e32 v5, v11
.LBB5_21:                               ;   in Loop: Header=BB5_9 Depth=3
	s_or_b64 exec, exec, s[48:49]
	v_cmp_class_f32_e64 s[50:51], v5, s70
	s_and_saveexec_b64 s[48:49], s[50:51]
	s_cbranch_execz .LBB5_8
; %bb.22:                               ;   in Loop: Header=BB5_9 Depth=3
	s_mov_b64 s[50:51], 0
                                        ; implicit-def: $vgpr16_vgpr17
	s_and_saveexec_b64 s[52:53], s[6:7]
	s_xor_b64 s[6:7], exec, s[52:53]
	s_cbranch_execnz .LBB5_25
; %bb.23:                               ;   in Loop: Header=BB5_9 Depth=3
	s_andn2_saveexec_b64 s[6:7], s[6:7]
	s_cbranch_execnz .LBB5_38
.LBB5_24:                               ;   in Loop: Header=BB5_9 Depth=3
	s_or_b64 exec, exec, s[6:7]
	s_and_b64 exec, exec, s[50:51]
	s_cbranch_execz .LBB5_8
	s_branch .LBB5_47
.LBB5_25:                               ;   in Loop: Header=BB5_9 Depth=3
	v_cmp_ge_i32_e32 vcc, v2, v8
                                        ; implicit-def: $vgpr16_vgpr17
	s_and_saveexec_b64 s[52:53], vcc
	s_xor_b64 s[52:53], exec, s[52:53]
; %bb.26:                               ;   in Loop: Header=BB5_9 Depth=3
	v_mov_b32_e32 v0, s39
	v_add_co_u32_e32 v16, vcc, s38, v14
	s_mov_b64 s[50:51], exec
	v_addc_co_u32_e32 v17, vcc, v0, v15, vcc
                                        ; implicit-def: $vgpr12
                                        ; implicit-def: $vgpr34
                                        ; implicit-def: $vgpr10
; %bb.27:                               ;   in Loop: Header=BB5_9 Depth=3
	s_andn2_saveexec_b64 s[52:53], s[52:53]
	s_cbranch_execz .LBB5_37
; %bb.28:                               ;   in Loop: Header=BB5_9 Depth=3
	v_cmp_lt_i32_e32 vcc, v12, v34
	s_mov_b64 s[56:57], s[50:51]
                                        ; implicit-def: $vgpr16_vgpr17
	s_and_saveexec_b64 s[54:55], vcc
	s_cbranch_execz .LBB5_36
; %bb.29:                               ;   in Loop: Header=BB5_9 Depth=3
	s_mov_b64 s[58:59], 0
                                        ; implicit-def: $sgpr56_sgpr57
                                        ; implicit-def: $sgpr62_sgpr63
                                        ; implicit-def: $sgpr60_sgpr61
	s_branch .LBB5_31
.LBB5_30:                               ;   in Loop: Header=BB5_31 Depth=4
	s_or_b64 exec, exec, s[64:65]
	s_and_b64 s[64:65], exec, s[62:63]
	s_or_b64 s[58:59], s[64:65], s[58:59]
	s_andn2_b64 s[56:57], s[56:57], exec
	s_and_b64 s[64:65], s[60:61], exec
	s_or_b64 s[56:57], s[56:57], s[64:65]
	s_andn2_b64 exec, exec, s[58:59]
	s_cbranch_execz .LBB5_33
.LBB5_31:                               ;   Parent Loop BB5_3 Depth=1
                                        ;     Parent Loop BB5_5 Depth=2
                                        ;       Parent Loop BB5_9 Depth=3
                                        ; =>      This Inner Loop Header: Depth=4
	v_add_u32_e32 v8, v10, v12
	v_ashrrev_i32_e32 v9, 31, v8
	v_lshlrev_b64 v[8:9], 2, v[8:9]
	v_mov_b32_e32 v0, s13
	v_add_co_u32_e32 v14, vcc, s12, v8
	v_addc_co_u32_e32 v15, vcc, v0, v9, vcc
	global_load_dword v0, v[14:15], off
	s_or_b64 s[60:61], s[60:61], exec
	s_or_b64 s[62:63], s[62:63], exec
	s_waitcnt vmcnt(0)
	v_subrev_u32_e32 v0, s68, v0
	v_cmp_ne_u32_e32 vcc, v0, v2
	s_and_saveexec_b64 s[64:65], vcc
	s_cbranch_execz .LBB5_30
; %bb.32:                               ;   in Loop: Header=BB5_31 Depth=4
	v_add_u32_e32 v12, 1, v12
	v_cmp_ge_i32_e32 vcc, v12, v34
	s_andn2_b64 s[62:63], s[62:63], exec
	s_and_b64 s[72:73], vcc, exec
	s_andn2_b64 s[60:61], s[60:61], exec
	s_or_b64 s[62:63], s[62:63], s[72:73]
	s_branch .LBB5_30
.LBB5_33:                               ;   in Loop: Header=BB5_9 Depth=3
	s_or_b64 exec, exec, s[58:59]
	s_mov_b64 s[58:59], s[50:51]
                                        ; implicit-def: $vgpr16_vgpr17
	s_and_saveexec_b64 s[60:61], s[56:57]
	s_xor_b64 s[56:57], exec, s[60:61]
; %bb.34:                               ;   in Loop: Header=BB5_9 Depth=3
	v_mov_b32_e32 v0, s43
	v_add_co_u32_e32 v16, vcc, s42, v8
	v_addc_co_u32_e32 v17, vcc, v0, v9, vcc
	s_or_b64 s[58:59], s[50:51], exec
; %bb.35:                               ;   in Loop: Header=BB5_9 Depth=3
	s_or_b64 exec, exec, s[56:57]
	s_andn2_b64 s[56:57], s[50:51], exec
	s_and_b64 s[58:59], s[58:59], exec
	s_or_b64 s[56:57], s[56:57], s[58:59]
.LBB5_36:                               ;   in Loop: Header=BB5_9 Depth=3
	s_or_b64 exec, exec, s[54:55]
	s_andn2_b64 s[50:51], s[50:51], exec
	s_and_b64 s[54:55], s[56:57], exec
	s_or_b64 s[50:51], s[50:51], s[54:55]
.LBB5_37:                               ;   in Loop: Header=BB5_9 Depth=3
	s_or_b64 exec, exec, s[52:53]
	s_and_b64 s[50:51], s[50:51], exec
                                        ; implicit-def: $vgpr8_vgpr9
	s_andn2_saveexec_b64 s[6:7], s[6:7]
	s_cbranch_execz .LBB5_24
.LBB5_38:                               ;   in Loop: Header=BB5_9 Depth=3
	v_cmp_lt_i32_e32 vcc, v0, v30
	s_mov_b64 s[54:55], s[50:51]
                                        ; implicit-def: $vgpr16_vgpr17
	s_and_saveexec_b64 s[52:53], vcc
	s_cbranch_execz .LBB5_46
; %bb.39:                               ;   in Loop: Header=BB5_9 Depth=3
	s_mov_b64 s[56:57], 0
                                        ; implicit-def: $sgpr54_sgpr55
                                        ; implicit-def: $sgpr60_sgpr61
                                        ; implicit-def: $sgpr58_sgpr59
	s_branch .LBB5_41
.LBB5_40:                               ;   in Loop: Header=BB5_41 Depth=4
	s_or_b64 exec, exec, s[62:63]
	s_and_b64 s[62:63], exec, s[60:61]
	s_or_b64 s[56:57], s[62:63], s[56:57]
	s_andn2_b64 s[54:55], s[54:55], exec
	s_and_b64 s[62:63], s[58:59], exec
	s_or_b64 s[54:55], s[54:55], s[62:63]
	s_andn2_b64 exec, exec, s[56:57]
	s_cbranch_execz .LBB5_43
.LBB5_41:                               ;   Parent Loop BB5_3 Depth=1
                                        ;     Parent Loop BB5_5 Depth=2
                                        ;       Parent Loop BB5_9 Depth=3
                                        ; =>      This Inner Loop Header: Depth=4
	v_add_u32_e32 v10, v6, v0
	v_ashrrev_i32_e32 v11, 31, v10
	v_lshlrev_b64 v[10:11], 2, v[10:11]
	v_mov_b32_e32 v9, s21
	v_add_co_u32_e32 v12, vcc, s20, v10
	v_addc_co_u32_e32 v13, vcc, v9, v11, vcc
	global_load_dword v9, v[12:13], off
	s_or_b64 s[58:59], s[58:59], exec
	s_or_b64 s[60:61], s[60:61], exec
	s_waitcnt vmcnt(0)
	v_subrev_u32_e32 v9, s67, v9
	v_cmp_ne_u32_e32 vcc, v9, v8
	s_and_saveexec_b64 s[62:63], vcc
	s_cbranch_execz .LBB5_40
; %bb.42:                               ;   in Loop: Header=BB5_41 Depth=4
	v_add_u32_e32 v0, 1, v0
	v_cmp_ge_i32_e32 vcc, v0, v30
	s_andn2_b64 s[60:61], s[60:61], exec
	s_and_b64 s[64:65], vcc, exec
	s_andn2_b64 s[58:59], s[58:59], exec
	s_or_b64 s[60:61], s[60:61], s[64:65]
	s_branch .LBB5_40
.LBB5_43:                               ;   in Loop: Header=BB5_9 Depth=3
	s_or_b64 exec, exec, s[56:57]
	s_mov_b64 s[56:57], s[50:51]
                                        ; implicit-def: $vgpr16_vgpr17
	s_and_saveexec_b64 s[58:59], s[54:55]
	s_xor_b64 s[54:55], exec, s[58:59]
; %bb.44:                               ;   in Loop: Header=BB5_9 Depth=3
	v_mov_b32_e32 v0, s41
	v_add_co_u32_e32 v16, vcc, s40, v10
	v_addc_co_u32_e32 v17, vcc, v0, v11, vcc
	s_or_b64 s[56:57], s[50:51], exec
; %bb.45:                               ;   in Loop: Header=BB5_9 Depth=3
	s_or_b64 exec, exec, s[54:55]
	s_andn2_b64 s[54:55], s[50:51], exec
	s_and_b64 s[56:57], s[56:57], exec
	s_or_b64 s[54:55], s[54:55], s[56:57]
.LBB5_46:                               ;   in Loop: Header=BB5_9 Depth=3
	s_or_b64 exec, exec, s[52:53]
	s_andn2_b64 s[50:51], s[50:51], exec
	s_and_b64 s[52:53], s[54:55], exec
	s_or_b64 s[50:51], s[50:51], s[52:53]
	s_or_b64 exec, exec, s[6:7]
	s_and_b64 exec, exec, s[50:51]
	s_cbranch_execz .LBB5_8
.LBB5_47:                               ;   in Loop: Header=BB5_9 Depth=3
	global_store_dword v[16:17], v5, off
	s_branch .LBB5_8
.LBB5_48:                               ;   in Loop: Header=BB5_3 Depth=1
	s_and_saveexec_b64 s[6:7], s[0:1]
	s_cbranch_execz .LBB5_2
; %bb.49:                               ;   in Loop: Header=BB5_3 Depth=1
	s_mov_b64 s[44:45], 0
	v_mov_b32_e32 v2, v22
	s_branch .LBB5_51
.LBB5_50:                               ;   in Loop: Header=BB5_51 Depth=2
	s_or_b64 exec, exec, s[46:47]
	v_add_u32_e32 v2, 32, v2
	v_cmp_le_u32_e32 vcc, s69, v2
	s_or_b64 s[44:45], vcc, s[44:45]
	s_andn2_b64 exec, exec, s[44:45]
	s_cbranch_execz .LBB5_2
.LBB5_51:                               ;   Parent Loop BB5_3 Depth=1
                                        ; =>  This Loop Header: Depth=2
                                        ;       Child Loop BB5_55 Depth 3
                                        ;       Child Loop BB5_59 Depth 3
	;; [unrolled: 1-line block ×4, first 2 shown]
	v_cmp_gt_i32_e32 vcc, s35, v2
	s_and_saveexec_b64 s[46:47], vcc
	s_cbranch_execz .LBB5_50
; %bb.52:                               ;   in Loop: Header=BB5_51 Depth=2
	v_ashrrev_i32_e32 v3, 31, v2
	v_lshlrev_b64 v[4:5], 2, v[2:3]
	v_mov_b32_e32 v0, s17
	v_add_co_u32_e32 v6, vcc, s16, v4
	v_addc_co_u32_e32 v7, vcc, v0, v5, vcc
	global_load_dword v3, v[6:7], off
	v_mov_b32_e32 v0, s19
	v_add_co_u32_e32 v6, vcc, s18, v4
	v_addc_co_u32_e32 v7, vcc, v0, v5, vcc
	global_load_dword v0, v[6:7], off
	s_waitcnt vmcnt(1)
	v_add_u32_e32 v6, v24, v3
	s_waitcnt vmcnt(0)
	v_subrev_u32_e32 v0, s67, v0
	v_cmp_lt_i32_e32 vcc, v6, v0
	s_and_saveexec_b64 s[48:49], vcc
	s_cbranch_execz .LBB5_60
; %bb.53:                               ;   in Loop: Header=BB5_51 Depth=2
	v_add_u32_e32 v7, v29, v3
	v_max_i32_e32 v7, v7, v0
	v_add_u32_e32 v7, v28, v7
	v_sub_u32_e32 v3, v7, v3
	v_cmp_lt_u32_e32 vcc, 31, v3
	s_mov_b64 s[4:5], -1
	s_and_saveexec_b64 s[50:51], vcc
	s_cbranch_execz .LBB5_57
; %bb.54:                               ;   in Loop: Header=BB5_51 Depth=2
	v_lshrrev_b32_e32 v3, 5, v3
	v_add_u32_e32 v3, 1, v3
	v_and_b32_e32 v10, 0xffffffe, v3
	v_add_u32_e32 v7, 32, v6
	s_mov_b64 s[52:53], 0
	v_mov_b32_e32 v11, v10
	v_pk_mov_b32 v[8:9], v[6:7], v[6:7] op_sel:[0,1]
.LBB5_55:                               ;   Parent Loop BB5_3 Depth=1
                                        ;     Parent Loop BB5_51 Depth=2
                                        ; =>    This Inner Loop Header: Depth=3
	v_ashrrev_i32_e32 v15, 31, v8
	v_mov_b32_e32 v14, v8
	v_lshlrev_b64 v[14:15], 2, v[14:15]
	v_ashrrev_i32_e32 v13, 31, v9
	v_mov_b32_e32 v12, v9
	v_mov_b32_e32 v7, s41
	v_add_co_u32_e32 v16, vcc, s40, v14
	v_lshlrev_b64 v[12:13], 2, v[12:13]
	v_addc_co_u32_e32 v17, vcc, v7, v15, vcc
	v_add_co_u32_e32 v18, vcc, s40, v12
	v_addc_co_u32_e32 v19, vcc, v7, v13, vcc
	global_load_dword v7, v[16:17], off
	s_nop 0
	global_load_dword v16, v[18:19], off
	v_mov_b32_e32 v17, s23
	v_add_u32_e32 v11, -2, v11
	v_add_co_u32_e64 v14, s[4:5], s22, v14
	v_cmp_eq_u32_e32 vcc, 0, v11
	v_addc_co_u32_e64 v15, s[4:5], v17, v15, s[4:5]
	v_add_u32_e32 v9, 64, v9
	v_add_u32_e32 v8, 64, v8
	v_add_co_u32_e64 v12, s[4:5], s22, v12
	s_or_b64 s[52:53], vcc, s[52:53]
	v_addc_co_u32_e64 v13, s[4:5], v17, v13, s[4:5]
	s_waitcnt vmcnt(1)
	global_store_dword v[14:15], v7, off
	s_waitcnt vmcnt(1)
	global_store_dword v[12:13], v16, off
	s_andn2_b64 exec, exec, s[52:53]
	s_cbranch_execnz .LBB5_55
; %bb.56:                               ;   in Loop: Header=BB5_51 Depth=2
	s_or_b64 exec, exec, s[52:53]
	v_cmp_ne_u32_e32 vcc, v3, v10
	v_lshl_add_u32 v6, v10, 5, v6
	s_orn2_b64 s[4:5], vcc, exec
.LBB5_57:                               ;   in Loop: Header=BB5_51 Depth=2
	s_or_b64 exec, exec, s[50:51]
	s_and_b64 exec, exec, s[4:5]
	s_cbranch_execz .LBB5_60
; %bb.58:                               ;   in Loop: Header=BB5_51 Depth=2
	v_ashrrev_i32_e32 v7, 31, v6
	v_lshlrev_b64 v[10:11], 2, v[6:7]
	v_mov_b32_e32 v3, s41
	v_add_co_u32_e32 v8, vcc, s40, v10
	v_addc_co_u32_e32 v9, vcc, v3, v11, vcc
	v_mov_b32_e32 v3, s23
	v_add_co_u32_e32 v10, vcc, s22, v10
	v_addc_co_u32_e32 v11, vcc, v3, v11, vcc
	s_mov_b64 s[4:5], 0
.LBB5_59:                               ;   Parent Loop BB5_3 Depth=1
                                        ;     Parent Loop BB5_51 Depth=2
                                        ; =>    This Inner Loop Header: Depth=3
	global_load_dword v3, v[8:9], off
	v_add_co_u32_e32 v8, vcc, 0x80, v8
	v_add_u32_e32 v6, 32, v6
	v_addc_co_u32_e32 v9, vcc, 0, v9, vcc
	v_cmp_ge_i32_e32 vcc, v6, v0
	s_or_b64 s[4:5], vcc, s[4:5]
	s_waitcnt vmcnt(0)
	global_store_dword v[10:11], v3, off
	v_add_co_u32_e32 v10, vcc, 0x80, v10
	v_addc_co_u32_e32 v11, vcc, 0, v11, vcc
	s_andn2_b64 exec, exec, s[4:5]
	s_cbranch_execnz .LBB5_59
.LBB5_60:                               ;   in Loop: Header=BB5_51 Depth=2
	s_or_b64 exec, exec, s[48:49]
	v_mov_b32_e32 v0, s9
	v_add_co_u32_e32 v6, vcc, s8, v4
	v_addc_co_u32_e32 v7, vcc, v0, v5, vcc
	global_load_dword v3, v[6:7], off
	v_mov_b32_e32 v0, s11
	v_add_co_u32_e32 v6, vcc, s10, v4
	v_addc_co_u32_e32 v7, vcc, v0, v5, vcc
	global_load_dword v0, v[6:7], off
	s_waitcnt vmcnt(1)
	v_add_u32_e32 v6, v25, v3
	s_waitcnt vmcnt(0)
	v_subrev_u32_e32 v0, s68, v0
	v_cmp_lt_i32_e32 vcc, v6, v0
	s_and_saveexec_b64 s[48:49], vcc
	s_cbranch_execz .LBB5_68
; %bb.61:                               ;   in Loop: Header=BB5_51 Depth=2
	v_add_u32_e32 v7, v27, v3
	v_max_i32_e32 v7, v7, v0
	v_add_u32_e32 v7, v26, v7
	v_sub_u32_e32 v3, v7, v3
	v_cmp_lt_u32_e32 vcc, 31, v3
	s_mov_b64 s[4:5], -1
	s_and_saveexec_b64 s[50:51], vcc
	s_cbranch_execz .LBB5_65
; %bb.62:                               ;   in Loop: Header=BB5_51 Depth=2
	v_lshrrev_b32_e32 v3, 5, v3
	v_add_u32_e32 v3, 1, v3
	v_and_b32_e32 v10, 0xffffffe, v3
	v_add_u32_e32 v7, 32, v6
	s_mov_b64 s[52:53], 0
	v_mov_b32_e32 v11, v10
	v_pk_mov_b32 v[8:9], v[6:7], v[6:7] op_sel:[0,1]
.LBB5_63:                               ;   Parent Loop BB5_3 Depth=1
                                        ;     Parent Loop BB5_51 Depth=2
                                        ; =>    This Inner Loop Header: Depth=3
	v_ashrrev_i32_e32 v15, 31, v8
	v_mov_b32_e32 v14, v8
	v_lshlrev_b64 v[14:15], 2, v[14:15]
	v_ashrrev_i32_e32 v13, 31, v9
	v_mov_b32_e32 v12, v9
	v_mov_b32_e32 v7, s43
	v_add_co_u32_e32 v16, vcc, s42, v14
	v_lshlrev_b64 v[12:13], 2, v[12:13]
	v_addc_co_u32_e32 v17, vcc, v7, v15, vcc
	v_add_co_u32_e32 v18, vcc, s42, v12
	v_addc_co_u32_e32 v19, vcc, v7, v13, vcc
	global_load_dword v7, v[16:17], off
	s_nop 0
	global_load_dword v16, v[18:19], off
	v_mov_b32_e32 v17, s15
	v_add_u32_e32 v11, -2, v11
	v_add_co_u32_e64 v14, s[4:5], s14, v14
	v_cmp_eq_u32_e32 vcc, 0, v11
	v_addc_co_u32_e64 v15, s[4:5], v17, v15, s[4:5]
	v_add_u32_e32 v9, 64, v9
	v_add_u32_e32 v8, 64, v8
	v_add_co_u32_e64 v12, s[4:5], s14, v12
	s_or_b64 s[52:53], vcc, s[52:53]
	v_addc_co_u32_e64 v13, s[4:5], v17, v13, s[4:5]
	s_waitcnt vmcnt(1)
	global_store_dword v[14:15], v7, off
	s_waitcnt vmcnt(1)
	global_store_dword v[12:13], v16, off
	s_andn2_b64 exec, exec, s[52:53]
	s_cbranch_execnz .LBB5_63
; %bb.64:                               ;   in Loop: Header=BB5_51 Depth=2
	s_or_b64 exec, exec, s[52:53]
	v_cmp_ne_u32_e32 vcc, v3, v10
	v_lshl_add_u32 v6, v10, 5, v6
	s_orn2_b64 s[4:5], vcc, exec
.LBB5_65:                               ;   in Loop: Header=BB5_51 Depth=2
	s_or_b64 exec, exec, s[50:51]
	s_and_b64 exec, exec, s[4:5]
	s_cbranch_execz .LBB5_68
; %bb.66:                               ;   in Loop: Header=BB5_51 Depth=2
	v_ashrrev_i32_e32 v7, 31, v6
	v_lshlrev_b64 v[10:11], 2, v[6:7]
	v_mov_b32_e32 v3, s43
	v_add_co_u32_e32 v8, vcc, s42, v10
	v_addc_co_u32_e32 v9, vcc, v3, v11, vcc
	v_mov_b32_e32 v3, s15
	v_add_co_u32_e32 v10, vcc, s14, v10
	v_addc_co_u32_e32 v11, vcc, v3, v11, vcc
	s_mov_b64 s[4:5], 0
.LBB5_67:                               ;   Parent Loop BB5_3 Depth=1
                                        ;     Parent Loop BB5_51 Depth=2
                                        ; =>    This Inner Loop Header: Depth=3
	global_load_dword v3, v[8:9], off
	v_add_co_u32_e32 v8, vcc, 0x80, v8
	v_add_u32_e32 v6, 32, v6
	v_addc_co_u32_e32 v9, vcc, 0, v9, vcc
	v_cmp_ge_i32_e32 vcc, v6, v0
	s_or_b64 s[4:5], vcc, s[4:5]
	s_waitcnt vmcnt(0)
	global_store_dword v[10:11], v3, off
	v_add_co_u32_e32 v10, vcc, 0x80, v10
	v_addc_co_u32_e32 v11, vcc, 0, v11, vcc
	s_andn2_b64 exec, exec, s[4:5]
	s_cbranch_execnz .LBB5_67
.LBB5_68:                               ;   in Loop: Header=BB5_51 Depth=2
	s_or_b64 exec, exec, s[48:49]
	s_and_b64 exec, exec, s[2:3]
	s_cbranch_execz .LBB5_50
; %bb.69:                               ;   in Loop: Header=BB5_51 Depth=2
	v_mov_b32_e32 v0, s39
	v_add_co_u32_e32 v6, vcc, s38, v4
	v_addc_co_u32_e32 v7, vcc, v0, v5, vcc
	global_load_dword v0, v[6:7], off
	v_mov_b32_e32 v3, s37
	v_add_co_u32_e32 v4, vcc, s36, v4
	v_addc_co_u32_e32 v5, vcc, v3, v5, vcc
	s_waitcnt vmcnt(0)
	global_store_dword v[4:5], v0, off
	s_branch .LBB5_50
.LBB5_70:
	s_endpgm
	.section	.rodata,"a",@progbits
	.p2align	6, 0x0
	.amdhsa_kernel _ZN9rocsparseL14kernel_freerunILi1024ELi32EfiiEEvT3_S1_T2_PKS2_S4_PKS1_PKT1_21rocsparse_index_base_S4_S4_S6_PS7_SB_SA_S4_S4_S6_SB_SB_SA_SB_SB_
		.amdhsa_group_segment_fixed_size 0
		.amdhsa_private_segment_fixed_size 0
		.amdhsa_kernarg_size 168
		.amdhsa_user_sgpr_count 6
		.amdhsa_user_sgpr_private_segment_buffer 1
		.amdhsa_user_sgpr_dispatch_ptr 0
		.amdhsa_user_sgpr_queue_ptr 0
		.amdhsa_user_sgpr_kernarg_segment_ptr 1
		.amdhsa_user_sgpr_dispatch_id 0
		.amdhsa_user_sgpr_flat_scratch_init 0
		.amdhsa_user_sgpr_kernarg_preload_length 0
		.amdhsa_user_sgpr_kernarg_preload_offset 0
		.amdhsa_user_sgpr_private_segment_size 0
		.amdhsa_uses_dynamic_stack 0
		.amdhsa_system_sgpr_private_segment_wavefront_offset 0
		.amdhsa_system_sgpr_workgroup_id_x 1
		.amdhsa_system_sgpr_workgroup_id_y 0
		.amdhsa_system_sgpr_workgroup_id_z 0
		.amdhsa_system_sgpr_workgroup_info 0
		.amdhsa_system_vgpr_workitem_id 0
		.amdhsa_next_free_vgpr 40
		.amdhsa_next_free_sgpr 74
		.amdhsa_accum_offset 40
		.amdhsa_reserve_vcc 1
		.amdhsa_reserve_flat_scratch 0
		.amdhsa_float_round_mode_32 0
		.amdhsa_float_round_mode_16_64 0
		.amdhsa_float_denorm_mode_32 3
		.amdhsa_float_denorm_mode_16_64 3
		.amdhsa_dx10_clamp 1
		.amdhsa_ieee_mode 1
		.amdhsa_fp16_overflow 0
		.amdhsa_tg_split 0
		.amdhsa_exception_fp_ieee_invalid_op 0
		.amdhsa_exception_fp_denorm_src 0
		.amdhsa_exception_fp_ieee_div_zero 0
		.amdhsa_exception_fp_ieee_overflow 0
		.amdhsa_exception_fp_ieee_underflow 0
		.amdhsa_exception_fp_ieee_inexact 0
		.amdhsa_exception_int_div_zero 0
	.end_amdhsa_kernel
	.section	.text._ZN9rocsparseL14kernel_freerunILi1024ELi32EfiiEEvT3_S1_T2_PKS2_S4_PKS1_PKT1_21rocsparse_index_base_S4_S4_S6_PS7_SB_SA_S4_S4_S6_SB_SB_SA_SB_SB_,"axG",@progbits,_ZN9rocsparseL14kernel_freerunILi1024ELi32EfiiEEvT3_S1_T2_PKS2_S4_PKS1_PKT1_21rocsparse_index_base_S4_S4_S6_PS7_SB_SA_S4_S4_S6_SB_SB_SA_SB_SB_,comdat
.Lfunc_end5:
	.size	_ZN9rocsparseL14kernel_freerunILi1024ELi32EfiiEEvT3_S1_T2_PKS2_S4_PKS1_PKT1_21rocsparse_index_base_S4_S4_S6_PS7_SB_SA_S4_S4_S6_SB_SB_SA_SB_SB_, .Lfunc_end5-_ZN9rocsparseL14kernel_freerunILi1024ELi32EfiiEEvT3_S1_T2_PKS2_S4_PKS1_PKT1_21rocsparse_index_base_S4_S4_S6_PS7_SB_SA_S4_S4_S6_SB_SB_SA_SB_SB_
                                        ; -- End function
	.section	.AMDGPU.csdata,"",@progbits
; Kernel info:
; codeLenInByte = 2588
; NumSgprs: 78
; NumVgprs: 40
; NumAgprs: 0
; TotalNumVgprs: 40
; ScratchSize: 0
; MemoryBound: 0
; FloatMode: 240
; IeeeMode: 1
; LDSByteSize: 0 bytes/workgroup (compile time only)
; SGPRBlocks: 9
; VGPRBlocks: 4
; NumSGPRsForWavesPerEU: 78
; NumVGPRsForWavesPerEU: 40
; AccumOffset: 40
; Occupancy: 8
; WaveLimiterHint : 1
; COMPUTE_PGM_RSRC2:SCRATCH_EN: 0
; COMPUTE_PGM_RSRC2:USER_SGPR: 6
; COMPUTE_PGM_RSRC2:TRAP_HANDLER: 0
; COMPUTE_PGM_RSRC2:TGID_X_EN: 1
; COMPUTE_PGM_RSRC2:TGID_Y_EN: 0
; COMPUTE_PGM_RSRC2:TGID_Z_EN: 0
; COMPUTE_PGM_RSRC2:TIDIG_COMP_CNT: 0
; COMPUTE_PGM_RSRC3_GFX90A:ACCUM_OFFSET: 9
; COMPUTE_PGM_RSRC3_GFX90A:TG_SPLIT: 0
	.section	.text._ZN9rocsparseL14kernel_freerunILi1024ELi64EfiiEEvT3_S1_T2_PKS2_S4_PKS1_PKT1_21rocsparse_index_base_S4_S4_S6_PS7_SB_SA_S4_S4_S6_SB_SB_SA_SB_SB_,"axG",@progbits,_ZN9rocsparseL14kernel_freerunILi1024ELi64EfiiEEvT3_S1_T2_PKS2_S4_PKS1_PKT1_21rocsparse_index_base_S4_S4_S6_PS7_SB_SA_S4_S4_S6_SB_SB_SA_SB_SB_,comdat
	.globl	_ZN9rocsparseL14kernel_freerunILi1024ELi64EfiiEEvT3_S1_T2_PKS2_S4_PKS1_PKT1_21rocsparse_index_base_S4_S4_S6_PS7_SB_SA_S4_S4_S6_SB_SB_SA_SB_SB_ ; -- Begin function _ZN9rocsparseL14kernel_freerunILi1024ELi64EfiiEEvT3_S1_T2_PKS2_S4_PKS1_PKT1_21rocsparse_index_base_S4_S4_S6_PS7_SB_SA_S4_S4_S6_SB_SB_SA_SB_SB_
	.p2align	8
	.type	_ZN9rocsparseL14kernel_freerunILi1024ELi64EfiiEEvT3_S1_T2_PKS2_S4_PKS1_PKT1_21rocsparse_index_base_S4_S4_S6_PS7_SB_SA_S4_S4_S6_SB_SB_SA_SB_SB_,@function
_ZN9rocsparseL14kernel_freerunILi1024ELi64EfiiEEvT3_S1_T2_PKS2_S4_PKS1_PKT1_21rocsparse_index_base_S4_S4_S6_PS7_SB_SA_S4_S4_S6_SB_SB_SA_SB_SB_: ; @_ZN9rocsparseL14kernel_freerunILi1024ELi64EfiiEEvT3_S1_T2_PKS2_S4_PKS1_PKT1_21rocsparse_index_base_S4_S4_S6_PS7_SB_SA_S4_S4_S6_SB_SB_SA_SB_SB_
; %bb.0:
	s_load_dwordx2 s[34:35], s[4:5], 0x0
	v_lshrrev_b32_e32 v1, 6, v0
	s_lshl_b32 s69, s6, 10
	v_or_b32_e32 v22, s69, v1
	s_mov_b32 s33, 0
	s_waitcnt lgkmcnt(0)
	s_cmp_gt_i32 s34, 0
	v_cmp_gt_i32_e32 vcc, s35, v22
	s_cselect_b64 s[0:1], -1, 0
	s_and_b64 s[0:1], vcc, s[0:1]
	s_and_saveexec_b64 s[2:3], s[0:1]
	s_cbranch_execz .LBB6_70
; %bb.1:
	s_load_dwordx4 s[36:39], s[4:5], 0x98
	s_load_dwordx8 s[8:15], s[4:5], 0x68
	s_load_dwordx8 s[16:23], s[4:5], 0x38
	;; [unrolled: 1-line block ×3, first 2 shown]
	s_load_dword s66, s[4:5], 0x30
	s_load_dwordx2 s[40:41], s[4:5], 0x58
	s_load_dword s67, s[4:5], 0x60
	s_load_dwordx2 s[42:43], s[4:5], 0x88
	s_load_dword s68, s[4:5], 0x90
	v_and_b32_e32 v0, 63, v0
	s_waitcnt lgkmcnt(0)
	v_subrev_u32_e32 v23, s66, v0
	s_addk_i32 s69, 0x400
	v_subrev_u32_e32 v24, s67, v0
	v_subrev_u32_e32 v25, s68, v0
	v_cmp_eq_u32_e64 s[2:3], 0, v0
	v_not_b32_e32 v1, v0
	v_or_b32_e32 v0, 64, v0
	v_cmp_gt_u32_e64 s[0:1], s69, v22
	v_add_u32_e32 v26, s68, v1
	v_subrev_u32_e32 v27, s68, v0
	v_add_u32_e32 v28, s67, v1
	v_subrev_u32_e32 v29, s67, v0
	s_movk_i32 s70, 0x1f8
	v_mov_b32_e32 v1, 0
	s_branch .LBB6_3
.LBB6_2:                                ;   in Loop: Header=BB6_3 Depth=1
	s_or_b64 exec, exec, s[6:7]
	s_add_i32 s33, s33, 1
	s_cmp_eq_u32 s33, s34
	s_cbranch_scc1 .LBB6_70
.LBB6_3:                                ; =>This Loop Header: Depth=1
                                        ;     Child Loop BB6_5 Depth 2
                                        ;       Child Loop BB6_9 Depth 3
                                        ;         Child Loop BB6_13 Depth 4
                                        ;         Child Loop BB6_31 Depth 4
	;; [unrolled: 1-line block ×3, first 2 shown]
                                        ;     Child Loop BB6_51 Depth 2
                                        ;       Child Loop BB6_55 Depth 3
                                        ;       Child Loop BB6_59 Depth 3
	;; [unrolled: 1-line block ×4, first 2 shown]
	s_mov_b32 s71, 0
	s_branch .LBB6_5
.LBB6_4:                                ;   in Loop: Header=BB6_5 Depth=2
	s_or_b64 exec, exec, s[44:45]
	s_add_i32 s71, s71, 1
	s_cmp_eq_u32 s71, 64
	s_cbranch_scc1 .LBB6_48
.LBB6_5:                                ;   Parent Loop BB6_3 Depth=1
                                        ; =>  This Loop Header: Depth=2
                                        ;       Child Loop BB6_9 Depth 3
                                        ;         Child Loop BB6_13 Depth 4
                                        ;         Child Loop BB6_31 Depth 4
	;; [unrolled: 1-line block ×3, first 2 shown]
	v_lshl_add_u32 v2, s71, 4, v22
	v_cmp_gt_i32_e32 vcc, s35, v2
	s_and_saveexec_b64 s[44:45], vcc
	s_cbranch_execz .LBB6_4
; %bb.6:                                ;   in Loop: Header=BB6_5 Depth=2
	v_ashrrev_i32_e32 v3, 31, v2
	v_lshlrev_b64 v[6:7], 2, v[2:3]
	v_mov_b32_e32 v0, s25
	v_add_co_u32_e32 v4, vcc, s24, v6
	v_addc_co_u32_e32 v5, vcc, v0, v7, vcc
	global_load_dword v0, v[4:5], off
	v_mov_b32_e32 v3, s27
	v_add_co_u32_e32 v4, vcc, s26, v6
	v_addc_co_u32_e32 v5, vcc, v3, v7, vcc
	global_load_dword v3, v[4:5], off
	s_waitcnt vmcnt(1)
	v_add_u32_e32 v4, v23, v0
	s_waitcnt vmcnt(0)
	v_subrev_u32_e32 v3, s66, v3
	v_cmp_lt_i32_e32 vcc, v4, v3
	s_and_b64 exec, exec, vcc
	s_cbranch_execz .LBB6_4
; %bb.7:                                ;   in Loop: Header=BB6_5 Depth=2
	v_mov_b32_e32 v0, s19
	v_add_co_u32_e32 v8, vcc, s18, v6
	v_addc_co_u32_e32 v9, vcc, v0, v7, vcc
	v_mov_b32_e32 v0, s17
	v_add_co_u32_e32 v6, vcc, s16, v6
	v_addc_co_u32_e32 v7, vcc, v0, v7, vcc
	global_load_dword v0, v[6:7], off
	global_load_dword v5, v[8:9], off
	v_mov_b32_e32 v10, s21
	v_mov_b32_e32 v11, s23
	s_mov_b64 s[46:47], 0
	s_waitcnt vmcnt(1)
	v_subrev_u32_e32 v6, s67, v0
	v_ashrrev_i32_e32 v7, 31, v6
	v_lshlrev_b64 v[8:9], 2, v[6:7]
	v_add_co_u32_e32 v7, vcc, s20, v8
	v_addc_co_u32_e32 v31, vcc, v10, v9, vcc
	s_waitcnt vmcnt(0)
	v_sub_u32_e32 v30, v5, v0
	v_add_co_u32_e32 v32, vcc, s22, v8
	v_cmp_lt_i32_e64 s[4:5], 0, v30
	v_addc_co_u32_e32 v33, vcc, v11, v9, vcc
	s_branch .LBB6_9
.LBB6_8:                                ;   in Loop: Header=BB6_9 Depth=3
	s_or_b64 exec, exec, s[48:49]
	v_add_u32_e32 v4, 64, v4
	v_cmp_ge_i32_e32 vcc, v4, v3
	s_or_b64 s[46:47], vcc, s[46:47]
	s_andn2_b64 exec, exec, s[46:47]
	s_cbranch_execz .LBB6_4
.LBB6_9:                                ;   Parent Loop BB6_3 Depth=1
                                        ;     Parent Loop BB6_5 Depth=2
                                        ; =>    This Loop Header: Depth=3
                                        ;         Child Loop BB6_13 Depth 4
                                        ;         Child Loop BB6_31 Depth 4
	;; [unrolled: 1-line block ×3, first 2 shown]
	v_ashrrev_i32_e32 v5, 31, v4
	v_lshlrev_b64 v[16:17], 2, v[4:5]
	v_mov_b32_e32 v0, s29
	v_add_co_u32_e32 v8, vcc, s28, v16
	v_addc_co_u32_e32 v9, vcc, v0, v17, vcc
	global_load_dword v0, v[8:9], off
	v_mov_b32_e32 v5, s9
	v_mov_b32_e32 v13, s11
	s_waitcnt vmcnt(0)
	v_subrev_u32_e32 v8, s66, v0
	v_ashrrev_i32_e32 v9, 31, v8
	v_lshlrev_b64 v[14:15], 2, v[8:9]
	v_add_co_u32_e32 v10, vcc, s8, v14
	v_addc_co_u32_e32 v11, vcc, v5, v15, vcc
	v_add_co_u32_e32 v12, vcc, s10, v14
	v_addc_co_u32_e32 v13, vcc, v13, v15, vcc
	global_load_dword v0, v[10:11], off
	global_load_dword v9, v[12:13], off
	v_mov_b32_e32 v5, 0
	v_mov_b32_e32 v12, 0
	s_waitcnt vmcnt(1)
	v_subrev_u32_e32 v10, s68, v0
	s_waitcnt vmcnt(0)
	v_sub_u32_e32 v34, v9, v0
	v_mov_b32_e32 v0, 0
	s_and_saveexec_b64 s[6:7], s[4:5]
	s_cbranch_execz .LBB6_17
; %bb.10:                               ;   in Loop: Header=BB6_9 Depth=3
	v_ashrrev_i32_e32 v11, 31, v10
	v_lshlrev_b64 v[12:13], 2, v[10:11]
	v_mov_b32_e32 v0, s13
	v_add_co_u32_e32 v9, vcc, s12, v12
	v_addc_co_u32_e32 v11, vcc, v0, v13, vcc
	v_mov_b32_e32 v0, s15
	v_add_co_u32_e32 v35, vcc, s14, v12
	v_addc_co_u32_e32 v36, vcc, v0, v13, vcc
	v_mov_b32_e32 v0, 0
	s_mov_b64 s[48:49], 0
	v_mov_b32_e32 v5, 0
	v_mov_b32_e32 v12, v0
                                        ; implicit-def: $sgpr50_sgpr51
	s_branch .LBB6_13
.LBB6_11:                               ;   in Loop: Header=BB6_13 Depth=4
	s_or_b64 exec, exec, s[54:55]
	v_cmp_le_i32_e32 vcc, v13, v37
	v_addc_co_u32_e32 v0, vcc, 0, v0, vcc
	v_cmp_ge_i32_e32 vcc, v13, v37
	v_addc_co_u32_e32 v12, vcc, 0, v12, vcc
	v_cmp_ge_i32_e32 vcc, v0, v30
	s_andn2_b64 s[50:51], s[50:51], exec
	s_and_b64 s[54:55], vcc, exec
	s_or_b64 s[50:51], s[50:51], s[54:55]
.LBB6_12:                               ;   in Loop: Header=BB6_13 Depth=4
	s_or_b64 exec, exec, s[52:53]
	s_and_b64 s[52:53], exec, s[50:51]
	s_or_b64 s[48:49], s[52:53], s[48:49]
	s_andn2_b64 exec, exec, s[48:49]
	s_cbranch_execz .LBB6_16
.LBB6_13:                               ;   Parent Loop BB6_3 Depth=1
                                        ;     Parent Loop BB6_5 Depth=2
                                        ;       Parent Loop BB6_9 Depth=3
                                        ; =>      This Inner Loop Header: Depth=4
	v_cmp_lt_i32_e32 vcc, v12, v34
	s_or_b64 s[50:51], s[50:51], exec
	s_and_saveexec_b64 s[52:53], vcc
	s_cbranch_execz .LBB6_12
; %bb.14:                               ;   in Loop: Header=BB6_13 Depth=4
	v_lshlrev_b64 v[18:19], 2, v[0:1]
	v_add_co_u32_e32 v20, vcc, v7, v18
	v_addc_co_u32_e32 v21, vcc, v31, v19, vcc
	v_mov_b32_e32 v13, v1
	global_load_dword v37, v[20:21], off
	v_lshlrev_b64 v[20:21], 2, v[12:13]
	v_add_co_u32_e32 v38, vcc, v9, v20
	v_addc_co_u32_e32 v39, vcc, v11, v21, vcc
	global_load_dword v38, v[38:39], off
	s_waitcnt vmcnt(1)
	v_subrev_u32_e32 v13, s67, v37
	s_waitcnt vmcnt(0)
	v_subrev_u32_e32 v37, s68, v38
	v_cmp_eq_u32_e32 vcc, v13, v37
	s_and_saveexec_b64 s[54:55], vcc
	s_cbranch_execz .LBB6_11
; %bb.15:                               ;   in Loop: Header=BB6_13 Depth=4
	v_add_co_u32_e32 v18, vcc, v32, v18
	v_addc_co_u32_e32 v19, vcc, v33, v19, vcc
	v_add_co_u32_e32 v20, vcc, v35, v20
	v_addc_co_u32_e32 v21, vcc, v36, v21, vcc
	global_load_dword v18, v[18:19], off
	s_nop 0
	global_load_dword v19, v[20:21], off
	s_waitcnt vmcnt(0)
	v_fmac_f32_e32 v5, v18, v19
	s_branch .LBB6_11
.LBB6_16:                               ;   in Loop: Header=BB6_9 Depth=3
	s_or_b64 exec, exec, s[48:49]
.LBB6_17:                               ;   in Loop: Header=BB6_9 Depth=3
	s_or_b64 exec, exec, s[6:7]
	v_mov_b32_e32 v9, s31
	v_add_co_u32_e32 v16, vcc, s30, v16
	v_addc_co_u32_e32 v17, vcc, v9, v17, vcc
	global_load_dword v9, v[16:17], off
	v_cmp_le_i32_e64 s[6:7], v2, v8
	v_cmp_gt_i32_e32 vcc, v2, v8
	s_waitcnt vmcnt(0)
	v_sub_f32_e32 v5, v9, v5
	s_and_saveexec_b64 s[48:49], vcc
	s_cbranch_execz .LBB6_21
; %bb.18:                               ;   in Loop: Header=BB6_9 Depth=3
	v_mov_b32_e32 v9, s37
	v_add_co_u32_e32 v16, vcc, s36, v14
	v_addc_co_u32_e32 v17, vcc, v9, v15, vcc
	global_load_dword v9, v[16:17], off
	v_mov_b32_e32 v11, 0
	s_waitcnt vmcnt(0)
	v_cmp_lg_f32_e32 vcc, 0, v9
	s_and_saveexec_b64 s[50:51], vcc
; %bb.19:                               ;   in Loop: Header=BB6_9 Depth=3
	v_div_scale_f32 v11, s[52:53], v9, v9, v5
	v_rcp_f32_e32 v13, v11
	v_div_scale_f32 v16, vcc, v5, v9, v5
	v_fma_f32 v17, -v11, v13, 1.0
	v_fmac_f32_e32 v13, v17, v13
	v_mul_f32_e32 v17, v16, v13
	v_fma_f32 v18, -v11, v17, v16
	v_fmac_f32_e32 v17, v18, v13
	v_fma_f32 v11, -v11, v17, v16
	v_div_fmas_f32 v11, v11, v13, v17
	v_div_fixup_f32 v11, v11, v9, v5
; %bb.20:                               ;   in Loop: Header=BB6_9 Depth=3
	s_or_b64 exec, exec, s[50:51]
	v_mov_b32_e32 v5, v11
.LBB6_21:                               ;   in Loop: Header=BB6_9 Depth=3
	s_or_b64 exec, exec, s[48:49]
	v_cmp_class_f32_e64 s[50:51], v5, s70
	s_and_saveexec_b64 s[48:49], s[50:51]
	s_cbranch_execz .LBB6_8
; %bb.22:                               ;   in Loop: Header=BB6_9 Depth=3
	s_mov_b64 s[50:51], 0
                                        ; implicit-def: $vgpr16_vgpr17
	s_and_saveexec_b64 s[52:53], s[6:7]
	s_xor_b64 s[6:7], exec, s[52:53]
	s_cbranch_execnz .LBB6_25
; %bb.23:                               ;   in Loop: Header=BB6_9 Depth=3
	s_andn2_saveexec_b64 s[6:7], s[6:7]
	s_cbranch_execnz .LBB6_38
.LBB6_24:                               ;   in Loop: Header=BB6_9 Depth=3
	s_or_b64 exec, exec, s[6:7]
	s_and_b64 exec, exec, s[50:51]
	s_cbranch_execz .LBB6_8
	s_branch .LBB6_47
.LBB6_25:                               ;   in Loop: Header=BB6_9 Depth=3
	v_cmp_ge_i32_e32 vcc, v2, v8
                                        ; implicit-def: $vgpr16_vgpr17
	s_and_saveexec_b64 s[52:53], vcc
	s_xor_b64 s[52:53], exec, s[52:53]
; %bb.26:                               ;   in Loop: Header=BB6_9 Depth=3
	v_mov_b32_e32 v0, s39
	v_add_co_u32_e32 v16, vcc, s38, v14
	s_mov_b64 s[50:51], exec
	v_addc_co_u32_e32 v17, vcc, v0, v15, vcc
                                        ; implicit-def: $vgpr12
                                        ; implicit-def: $vgpr34
                                        ; implicit-def: $vgpr10
; %bb.27:                               ;   in Loop: Header=BB6_9 Depth=3
	s_andn2_saveexec_b64 s[52:53], s[52:53]
	s_cbranch_execz .LBB6_37
; %bb.28:                               ;   in Loop: Header=BB6_9 Depth=3
	v_cmp_lt_i32_e32 vcc, v12, v34
	s_mov_b64 s[56:57], s[50:51]
                                        ; implicit-def: $vgpr16_vgpr17
	s_and_saveexec_b64 s[54:55], vcc
	s_cbranch_execz .LBB6_36
; %bb.29:                               ;   in Loop: Header=BB6_9 Depth=3
	s_mov_b64 s[58:59], 0
                                        ; implicit-def: $sgpr56_sgpr57
                                        ; implicit-def: $sgpr62_sgpr63
                                        ; implicit-def: $sgpr60_sgpr61
	s_branch .LBB6_31
.LBB6_30:                               ;   in Loop: Header=BB6_31 Depth=4
	s_or_b64 exec, exec, s[64:65]
	s_and_b64 s[64:65], exec, s[62:63]
	s_or_b64 s[58:59], s[64:65], s[58:59]
	s_andn2_b64 s[56:57], s[56:57], exec
	s_and_b64 s[64:65], s[60:61], exec
	s_or_b64 s[56:57], s[56:57], s[64:65]
	s_andn2_b64 exec, exec, s[58:59]
	s_cbranch_execz .LBB6_33
.LBB6_31:                               ;   Parent Loop BB6_3 Depth=1
                                        ;     Parent Loop BB6_5 Depth=2
                                        ;       Parent Loop BB6_9 Depth=3
                                        ; =>      This Inner Loop Header: Depth=4
	v_add_u32_e32 v8, v10, v12
	v_ashrrev_i32_e32 v9, 31, v8
	v_lshlrev_b64 v[8:9], 2, v[8:9]
	v_mov_b32_e32 v0, s13
	v_add_co_u32_e32 v14, vcc, s12, v8
	v_addc_co_u32_e32 v15, vcc, v0, v9, vcc
	global_load_dword v0, v[14:15], off
	s_or_b64 s[60:61], s[60:61], exec
	s_or_b64 s[62:63], s[62:63], exec
	s_waitcnt vmcnt(0)
	v_subrev_u32_e32 v0, s68, v0
	v_cmp_ne_u32_e32 vcc, v0, v2
	s_and_saveexec_b64 s[64:65], vcc
	s_cbranch_execz .LBB6_30
; %bb.32:                               ;   in Loop: Header=BB6_31 Depth=4
	v_add_u32_e32 v12, 1, v12
	v_cmp_ge_i32_e32 vcc, v12, v34
	s_andn2_b64 s[62:63], s[62:63], exec
	s_and_b64 s[72:73], vcc, exec
	s_andn2_b64 s[60:61], s[60:61], exec
	s_or_b64 s[62:63], s[62:63], s[72:73]
	s_branch .LBB6_30
.LBB6_33:                               ;   in Loop: Header=BB6_9 Depth=3
	s_or_b64 exec, exec, s[58:59]
	s_mov_b64 s[58:59], s[50:51]
                                        ; implicit-def: $vgpr16_vgpr17
	s_and_saveexec_b64 s[60:61], s[56:57]
	s_xor_b64 s[56:57], exec, s[60:61]
; %bb.34:                               ;   in Loop: Header=BB6_9 Depth=3
	v_mov_b32_e32 v0, s43
	v_add_co_u32_e32 v16, vcc, s42, v8
	v_addc_co_u32_e32 v17, vcc, v0, v9, vcc
	s_or_b64 s[58:59], s[50:51], exec
; %bb.35:                               ;   in Loop: Header=BB6_9 Depth=3
	s_or_b64 exec, exec, s[56:57]
	s_andn2_b64 s[56:57], s[50:51], exec
	s_and_b64 s[58:59], s[58:59], exec
	s_or_b64 s[56:57], s[56:57], s[58:59]
.LBB6_36:                               ;   in Loop: Header=BB6_9 Depth=3
	s_or_b64 exec, exec, s[54:55]
	s_andn2_b64 s[50:51], s[50:51], exec
	s_and_b64 s[54:55], s[56:57], exec
	s_or_b64 s[50:51], s[50:51], s[54:55]
.LBB6_37:                               ;   in Loop: Header=BB6_9 Depth=3
	s_or_b64 exec, exec, s[52:53]
	s_and_b64 s[50:51], s[50:51], exec
                                        ; implicit-def: $vgpr8_vgpr9
	s_andn2_saveexec_b64 s[6:7], s[6:7]
	s_cbranch_execz .LBB6_24
.LBB6_38:                               ;   in Loop: Header=BB6_9 Depth=3
	v_cmp_lt_i32_e32 vcc, v0, v30
	s_mov_b64 s[54:55], s[50:51]
                                        ; implicit-def: $vgpr16_vgpr17
	s_and_saveexec_b64 s[52:53], vcc
	s_cbranch_execz .LBB6_46
; %bb.39:                               ;   in Loop: Header=BB6_9 Depth=3
	s_mov_b64 s[56:57], 0
                                        ; implicit-def: $sgpr54_sgpr55
                                        ; implicit-def: $sgpr60_sgpr61
                                        ; implicit-def: $sgpr58_sgpr59
	s_branch .LBB6_41
.LBB6_40:                               ;   in Loop: Header=BB6_41 Depth=4
	s_or_b64 exec, exec, s[62:63]
	s_and_b64 s[62:63], exec, s[60:61]
	s_or_b64 s[56:57], s[62:63], s[56:57]
	s_andn2_b64 s[54:55], s[54:55], exec
	s_and_b64 s[62:63], s[58:59], exec
	s_or_b64 s[54:55], s[54:55], s[62:63]
	s_andn2_b64 exec, exec, s[56:57]
	s_cbranch_execz .LBB6_43
.LBB6_41:                               ;   Parent Loop BB6_3 Depth=1
                                        ;     Parent Loop BB6_5 Depth=2
                                        ;       Parent Loop BB6_9 Depth=3
                                        ; =>      This Inner Loop Header: Depth=4
	v_add_u32_e32 v10, v6, v0
	v_ashrrev_i32_e32 v11, 31, v10
	v_lshlrev_b64 v[10:11], 2, v[10:11]
	v_mov_b32_e32 v9, s21
	v_add_co_u32_e32 v12, vcc, s20, v10
	v_addc_co_u32_e32 v13, vcc, v9, v11, vcc
	global_load_dword v9, v[12:13], off
	s_or_b64 s[58:59], s[58:59], exec
	s_or_b64 s[60:61], s[60:61], exec
	s_waitcnt vmcnt(0)
	v_subrev_u32_e32 v9, s67, v9
	v_cmp_ne_u32_e32 vcc, v9, v8
	s_and_saveexec_b64 s[62:63], vcc
	s_cbranch_execz .LBB6_40
; %bb.42:                               ;   in Loop: Header=BB6_41 Depth=4
	v_add_u32_e32 v0, 1, v0
	v_cmp_ge_i32_e32 vcc, v0, v30
	s_andn2_b64 s[60:61], s[60:61], exec
	s_and_b64 s[64:65], vcc, exec
	s_andn2_b64 s[58:59], s[58:59], exec
	s_or_b64 s[60:61], s[60:61], s[64:65]
	s_branch .LBB6_40
.LBB6_43:                               ;   in Loop: Header=BB6_9 Depth=3
	s_or_b64 exec, exec, s[56:57]
	s_mov_b64 s[56:57], s[50:51]
                                        ; implicit-def: $vgpr16_vgpr17
	s_and_saveexec_b64 s[58:59], s[54:55]
	s_xor_b64 s[54:55], exec, s[58:59]
; %bb.44:                               ;   in Loop: Header=BB6_9 Depth=3
	v_mov_b32_e32 v0, s41
	v_add_co_u32_e32 v16, vcc, s40, v10
	v_addc_co_u32_e32 v17, vcc, v0, v11, vcc
	s_or_b64 s[56:57], s[50:51], exec
; %bb.45:                               ;   in Loop: Header=BB6_9 Depth=3
	s_or_b64 exec, exec, s[54:55]
	s_andn2_b64 s[54:55], s[50:51], exec
	s_and_b64 s[56:57], s[56:57], exec
	s_or_b64 s[54:55], s[54:55], s[56:57]
.LBB6_46:                               ;   in Loop: Header=BB6_9 Depth=3
	s_or_b64 exec, exec, s[52:53]
	s_andn2_b64 s[50:51], s[50:51], exec
	s_and_b64 s[52:53], s[54:55], exec
	s_or_b64 s[50:51], s[50:51], s[52:53]
	s_or_b64 exec, exec, s[6:7]
	s_and_b64 exec, exec, s[50:51]
	s_cbranch_execz .LBB6_8
.LBB6_47:                               ;   in Loop: Header=BB6_9 Depth=3
	global_store_dword v[16:17], v5, off
	s_branch .LBB6_8
.LBB6_48:                               ;   in Loop: Header=BB6_3 Depth=1
	s_and_saveexec_b64 s[6:7], s[0:1]
	s_cbranch_execz .LBB6_2
; %bb.49:                               ;   in Loop: Header=BB6_3 Depth=1
	s_mov_b64 s[44:45], 0
	v_mov_b32_e32 v2, v22
	s_branch .LBB6_51
.LBB6_50:                               ;   in Loop: Header=BB6_51 Depth=2
	s_or_b64 exec, exec, s[46:47]
	v_add_u32_e32 v2, 16, v2
	v_cmp_le_u32_e32 vcc, s69, v2
	s_or_b64 s[44:45], vcc, s[44:45]
	s_andn2_b64 exec, exec, s[44:45]
	s_cbranch_execz .LBB6_2
.LBB6_51:                               ;   Parent Loop BB6_3 Depth=1
                                        ; =>  This Loop Header: Depth=2
                                        ;       Child Loop BB6_55 Depth 3
                                        ;       Child Loop BB6_59 Depth 3
	;; [unrolled: 1-line block ×4, first 2 shown]
	v_cmp_gt_i32_e32 vcc, s35, v2
	s_and_saveexec_b64 s[46:47], vcc
	s_cbranch_execz .LBB6_50
; %bb.52:                               ;   in Loop: Header=BB6_51 Depth=2
	v_ashrrev_i32_e32 v3, 31, v2
	v_lshlrev_b64 v[4:5], 2, v[2:3]
	v_mov_b32_e32 v0, s17
	v_add_co_u32_e32 v6, vcc, s16, v4
	v_addc_co_u32_e32 v7, vcc, v0, v5, vcc
	global_load_dword v3, v[6:7], off
	v_mov_b32_e32 v0, s19
	v_add_co_u32_e32 v6, vcc, s18, v4
	v_addc_co_u32_e32 v7, vcc, v0, v5, vcc
	global_load_dword v0, v[6:7], off
	s_waitcnt vmcnt(1)
	v_add_u32_e32 v6, v24, v3
	s_waitcnt vmcnt(0)
	v_subrev_u32_e32 v0, s67, v0
	v_cmp_lt_i32_e32 vcc, v6, v0
	s_and_saveexec_b64 s[48:49], vcc
	s_cbranch_execz .LBB6_60
; %bb.53:                               ;   in Loop: Header=BB6_51 Depth=2
	v_add_u32_e32 v7, v29, v3
	v_max_i32_e32 v7, v7, v0
	v_add_u32_e32 v7, v28, v7
	v_sub_u32_e32 v3, v7, v3
	v_cmp_lt_u32_e32 vcc, 63, v3
	s_mov_b64 s[4:5], -1
	s_and_saveexec_b64 s[50:51], vcc
	s_cbranch_execz .LBB6_57
; %bb.54:                               ;   in Loop: Header=BB6_51 Depth=2
	v_lshrrev_b32_e32 v3, 6, v3
	v_add_u32_e32 v3, 1, v3
	v_and_b32_e32 v10, 0x7fffffe, v3
	v_add_u32_e32 v7, 64, v6
	s_mov_b64 s[52:53], 0
	v_mov_b32_e32 v11, v10
	v_pk_mov_b32 v[8:9], v[6:7], v[6:7] op_sel:[0,1]
.LBB6_55:                               ;   Parent Loop BB6_3 Depth=1
                                        ;     Parent Loop BB6_51 Depth=2
                                        ; =>    This Inner Loop Header: Depth=3
	v_ashrrev_i32_e32 v15, 31, v8
	v_mov_b32_e32 v14, v8
	v_lshlrev_b64 v[14:15], 2, v[14:15]
	v_ashrrev_i32_e32 v13, 31, v9
	v_mov_b32_e32 v12, v9
	v_mov_b32_e32 v7, s41
	v_add_co_u32_e32 v16, vcc, s40, v14
	v_lshlrev_b64 v[12:13], 2, v[12:13]
	v_addc_co_u32_e32 v17, vcc, v7, v15, vcc
	v_add_co_u32_e32 v18, vcc, s40, v12
	v_addc_co_u32_e32 v19, vcc, v7, v13, vcc
	global_load_dword v7, v[16:17], off
	s_nop 0
	global_load_dword v16, v[18:19], off
	v_mov_b32_e32 v17, s23
	v_add_u32_e32 v11, -2, v11
	v_add_co_u32_e64 v14, s[4:5], s22, v14
	v_cmp_eq_u32_e32 vcc, 0, v11
	v_addc_co_u32_e64 v15, s[4:5], v17, v15, s[4:5]
	v_add_u32_e32 v9, 0x80, v9
	v_add_u32_e32 v8, 0x80, v8
	v_add_co_u32_e64 v12, s[4:5], s22, v12
	s_or_b64 s[52:53], vcc, s[52:53]
	v_addc_co_u32_e64 v13, s[4:5], v17, v13, s[4:5]
	s_waitcnt vmcnt(1)
	global_store_dword v[14:15], v7, off
	s_waitcnt vmcnt(1)
	global_store_dword v[12:13], v16, off
	s_andn2_b64 exec, exec, s[52:53]
	s_cbranch_execnz .LBB6_55
; %bb.56:                               ;   in Loop: Header=BB6_51 Depth=2
	s_or_b64 exec, exec, s[52:53]
	v_cmp_ne_u32_e32 vcc, v3, v10
	v_lshl_add_u32 v6, v10, 6, v6
	s_orn2_b64 s[4:5], vcc, exec
.LBB6_57:                               ;   in Loop: Header=BB6_51 Depth=2
	s_or_b64 exec, exec, s[50:51]
	s_and_b64 exec, exec, s[4:5]
	s_cbranch_execz .LBB6_60
; %bb.58:                               ;   in Loop: Header=BB6_51 Depth=2
	v_ashrrev_i32_e32 v7, 31, v6
	v_lshlrev_b64 v[10:11], 2, v[6:7]
	v_mov_b32_e32 v3, s41
	v_add_co_u32_e32 v8, vcc, s40, v10
	v_addc_co_u32_e32 v9, vcc, v3, v11, vcc
	v_mov_b32_e32 v3, s23
	v_add_co_u32_e32 v10, vcc, s22, v10
	v_addc_co_u32_e32 v11, vcc, v3, v11, vcc
	s_mov_b64 s[4:5], 0
.LBB6_59:                               ;   Parent Loop BB6_3 Depth=1
                                        ;     Parent Loop BB6_51 Depth=2
                                        ; =>    This Inner Loop Header: Depth=3
	global_load_dword v3, v[8:9], off
	v_add_co_u32_e32 v8, vcc, 0x100, v8
	v_add_u32_e32 v6, 64, v6
	v_addc_co_u32_e32 v9, vcc, 0, v9, vcc
	v_cmp_ge_i32_e32 vcc, v6, v0
	s_or_b64 s[4:5], vcc, s[4:5]
	s_waitcnt vmcnt(0)
	global_store_dword v[10:11], v3, off
	v_add_co_u32_e32 v10, vcc, 0x100, v10
	v_addc_co_u32_e32 v11, vcc, 0, v11, vcc
	s_andn2_b64 exec, exec, s[4:5]
	s_cbranch_execnz .LBB6_59
.LBB6_60:                               ;   in Loop: Header=BB6_51 Depth=2
	s_or_b64 exec, exec, s[48:49]
	v_mov_b32_e32 v0, s9
	v_add_co_u32_e32 v6, vcc, s8, v4
	v_addc_co_u32_e32 v7, vcc, v0, v5, vcc
	global_load_dword v3, v[6:7], off
	v_mov_b32_e32 v0, s11
	v_add_co_u32_e32 v6, vcc, s10, v4
	v_addc_co_u32_e32 v7, vcc, v0, v5, vcc
	global_load_dword v0, v[6:7], off
	s_waitcnt vmcnt(1)
	v_add_u32_e32 v6, v25, v3
	s_waitcnt vmcnt(0)
	v_subrev_u32_e32 v0, s68, v0
	v_cmp_lt_i32_e32 vcc, v6, v0
	s_and_saveexec_b64 s[48:49], vcc
	s_cbranch_execz .LBB6_68
; %bb.61:                               ;   in Loop: Header=BB6_51 Depth=2
	v_add_u32_e32 v7, v27, v3
	v_max_i32_e32 v7, v7, v0
	v_add_u32_e32 v7, v26, v7
	v_sub_u32_e32 v3, v7, v3
	v_cmp_lt_u32_e32 vcc, 63, v3
	s_mov_b64 s[4:5], -1
	s_and_saveexec_b64 s[50:51], vcc
	s_cbranch_execz .LBB6_65
; %bb.62:                               ;   in Loop: Header=BB6_51 Depth=2
	v_lshrrev_b32_e32 v3, 6, v3
	v_add_u32_e32 v3, 1, v3
	v_and_b32_e32 v10, 0x7fffffe, v3
	v_add_u32_e32 v7, 64, v6
	s_mov_b64 s[52:53], 0
	v_mov_b32_e32 v11, v10
	v_pk_mov_b32 v[8:9], v[6:7], v[6:7] op_sel:[0,1]
.LBB6_63:                               ;   Parent Loop BB6_3 Depth=1
                                        ;     Parent Loop BB6_51 Depth=2
                                        ; =>    This Inner Loop Header: Depth=3
	v_ashrrev_i32_e32 v15, 31, v8
	v_mov_b32_e32 v14, v8
	v_lshlrev_b64 v[14:15], 2, v[14:15]
	v_ashrrev_i32_e32 v13, 31, v9
	v_mov_b32_e32 v12, v9
	v_mov_b32_e32 v7, s43
	v_add_co_u32_e32 v16, vcc, s42, v14
	v_lshlrev_b64 v[12:13], 2, v[12:13]
	v_addc_co_u32_e32 v17, vcc, v7, v15, vcc
	v_add_co_u32_e32 v18, vcc, s42, v12
	v_addc_co_u32_e32 v19, vcc, v7, v13, vcc
	global_load_dword v7, v[16:17], off
	s_nop 0
	global_load_dword v16, v[18:19], off
	v_mov_b32_e32 v17, s15
	v_add_u32_e32 v11, -2, v11
	v_add_co_u32_e64 v14, s[4:5], s14, v14
	v_cmp_eq_u32_e32 vcc, 0, v11
	v_addc_co_u32_e64 v15, s[4:5], v17, v15, s[4:5]
	v_add_u32_e32 v9, 0x80, v9
	v_add_u32_e32 v8, 0x80, v8
	v_add_co_u32_e64 v12, s[4:5], s14, v12
	s_or_b64 s[52:53], vcc, s[52:53]
	v_addc_co_u32_e64 v13, s[4:5], v17, v13, s[4:5]
	s_waitcnt vmcnt(1)
	global_store_dword v[14:15], v7, off
	s_waitcnt vmcnt(1)
	global_store_dword v[12:13], v16, off
	s_andn2_b64 exec, exec, s[52:53]
	s_cbranch_execnz .LBB6_63
; %bb.64:                               ;   in Loop: Header=BB6_51 Depth=2
	s_or_b64 exec, exec, s[52:53]
	v_cmp_ne_u32_e32 vcc, v3, v10
	v_lshl_add_u32 v6, v10, 6, v6
	s_orn2_b64 s[4:5], vcc, exec
.LBB6_65:                               ;   in Loop: Header=BB6_51 Depth=2
	s_or_b64 exec, exec, s[50:51]
	s_and_b64 exec, exec, s[4:5]
	s_cbranch_execz .LBB6_68
; %bb.66:                               ;   in Loop: Header=BB6_51 Depth=2
	v_ashrrev_i32_e32 v7, 31, v6
	v_lshlrev_b64 v[10:11], 2, v[6:7]
	v_mov_b32_e32 v3, s43
	v_add_co_u32_e32 v8, vcc, s42, v10
	v_addc_co_u32_e32 v9, vcc, v3, v11, vcc
	v_mov_b32_e32 v3, s15
	v_add_co_u32_e32 v10, vcc, s14, v10
	v_addc_co_u32_e32 v11, vcc, v3, v11, vcc
	s_mov_b64 s[4:5], 0
.LBB6_67:                               ;   Parent Loop BB6_3 Depth=1
                                        ;     Parent Loop BB6_51 Depth=2
                                        ; =>    This Inner Loop Header: Depth=3
	global_load_dword v3, v[8:9], off
	v_add_co_u32_e32 v8, vcc, 0x100, v8
	v_add_u32_e32 v6, 64, v6
	v_addc_co_u32_e32 v9, vcc, 0, v9, vcc
	v_cmp_ge_i32_e32 vcc, v6, v0
	s_or_b64 s[4:5], vcc, s[4:5]
	s_waitcnt vmcnt(0)
	global_store_dword v[10:11], v3, off
	v_add_co_u32_e32 v10, vcc, 0x100, v10
	v_addc_co_u32_e32 v11, vcc, 0, v11, vcc
	s_andn2_b64 exec, exec, s[4:5]
	s_cbranch_execnz .LBB6_67
.LBB6_68:                               ;   in Loop: Header=BB6_51 Depth=2
	s_or_b64 exec, exec, s[48:49]
	s_and_b64 exec, exec, s[2:3]
	s_cbranch_execz .LBB6_50
; %bb.69:                               ;   in Loop: Header=BB6_51 Depth=2
	v_mov_b32_e32 v0, s39
	v_add_co_u32_e32 v6, vcc, s38, v4
	v_addc_co_u32_e32 v7, vcc, v0, v5, vcc
	global_load_dword v0, v[6:7], off
	v_mov_b32_e32 v3, s37
	v_add_co_u32_e32 v4, vcc, s36, v4
	v_addc_co_u32_e32 v5, vcc, v3, v5, vcc
	s_waitcnt vmcnt(0)
	global_store_dword v[4:5], v0, off
	s_branch .LBB6_50
.LBB6_70:
	s_endpgm
	.section	.rodata,"a",@progbits
	.p2align	6, 0x0
	.amdhsa_kernel _ZN9rocsparseL14kernel_freerunILi1024ELi64EfiiEEvT3_S1_T2_PKS2_S4_PKS1_PKT1_21rocsparse_index_base_S4_S4_S6_PS7_SB_SA_S4_S4_S6_SB_SB_SA_SB_SB_
		.amdhsa_group_segment_fixed_size 0
		.amdhsa_private_segment_fixed_size 0
		.amdhsa_kernarg_size 168
		.amdhsa_user_sgpr_count 6
		.amdhsa_user_sgpr_private_segment_buffer 1
		.amdhsa_user_sgpr_dispatch_ptr 0
		.amdhsa_user_sgpr_queue_ptr 0
		.amdhsa_user_sgpr_kernarg_segment_ptr 1
		.amdhsa_user_sgpr_dispatch_id 0
		.amdhsa_user_sgpr_flat_scratch_init 0
		.amdhsa_user_sgpr_kernarg_preload_length 0
		.amdhsa_user_sgpr_kernarg_preload_offset 0
		.amdhsa_user_sgpr_private_segment_size 0
		.amdhsa_uses_dynamic_stack 0
		.amdhsa_system_sgpr_private_segment_wavefront_offset 0
		.amdhsa_system_sgpr_workgroup_id_x 1
		.amdhsa_system_sgpr_workgroup_id_y 0
		.amdhsa_system_sgpr_workgroup_id_z 0
		.amdhsa_system_sgpr_workgroup_info 0
		.amdhsa_system_vgpr_workitem_id 0
		.amdhsa_next_free_vgpr 40
		.amdhsa_next_free_sgpr 74
		.amdhsa_accum_offset 40
		.amdhsa_reserve_vcc 1
		.amdhsa_reserve_flat_scratch 0
		.amdhsa_float_round_mode_32 0
		.amdhsa_float_round_mode_16_64 0
		.amdhsa_float_denorm_mode_32 3
		.amdhsa_float_denorm_mode_16_64 3
		.amdhsa_dx10_clamp 1
		.amdhsa_ieee_mode 1
		.amdhsa_fp16_overflow 0
		.amdhsa_tg_split 0
		.amdhsa_exception_fp_ieee_invalid_op 0
		.amdhsa_exception_fp_denorm_src 0
		.amdhsa_exception_fp_ieee_div_zero 0
		.amdhsa_exception_fp_ieee_overflow 0
		.amdhsa_exception_fp_ieee_underflow 0
		.amdhsa_exception_fp_ieee_inexact 0
		.amdhsa_exception_int_div_zero 0
	.end_amdhsa_kernel
	.section	.text._ZN9rocsparseL14kernel_freerunILi1024ELi64EfiiEEvT3_S1_T2_PKS2_S4_PKS1_PKT1_21rocsparse_index_base_S4_S4_S6_PS7_SB_SA_S4_S4_S6_SB_SB_SA_SB_SB_,"axG",@progbits,_ZN9rocsparseL14kernel_freerunILi1024ELi64EfiiEEvT3_S1_T2_PKS2_S4_PKS1_PKT1_21rocsparse_index_base_S4_S4_S6_PS7_SB_SA_S4_S4_S6_SB_SB_SA_SB_SB_,comdat
.Lfunc_end6:
	.size	_ZN9rocsparseL14kernel_freerunILi1024ELi64EfiiEEvT3_S1_T2_PKS2_S4_PKS1_PKT1_21rocsparse_index_base_S4_S4_S6_PS7_SB_SA_S4_S4_S6_SB_SB_SA_SB_SB_, .Lfunc_end6-_ZN9rocsparseL14kernel_freerunILi1024ELi64EfiiEEvT3_S1_T2_PKS2_S4_PKS1_PKT1_21rocsparse_index_base_S4_S4_S6_PS7_SB_SA_S4_S4_S6_SB_SB_SA_SB_SB_
                                        ; -- End function
	.section	.AMDGPU.csdata,"",@progbits
; Kernel info:
; codeLenInByte = 2604
; NumSgprs: 78
; NumVgprs: 40
; NumAgprs: 0
; TotalNumVgprs: 40
; ScratchSize: 0
; MemoryBound: 0
; FloatMode: 240
; IeeeMode: 1
; LDSByteSize: 0 bytes/workgroup (compile time only)
; SGPRBlocks: 9
; VGPRBlocks: 4
; NumSGPRsForWavesPerEU: 78
; NumVGPRsForWavesPerEU: 40
; AccumOffset: 40
; Occupancy: 8
; WaveLimiterHint : 1
; COMPUTE_PGM_RSRC2:SCRATCH_EN: 0
; COMPUTE_PGM_RSRC2:USER_SGPR: 6
; COMPUTE_PGM_RSRC2:TRAP_HANDLER: 0
; COMPUTE_PGM_RSRC2:TGID_X_EN: 1
; COMPUTE_PGM_RSRC2:TGID_Y_EN: 0
; COMPUTE_PGM_RSRC2:TGID_Z_EN: 0
; COMPUTE_PGM_RSRC2:TIDIG_COMP_CNT: 0
; COMPUTE_PGM_RSRC3_GFX90A:ACCUM_OFFSET: 9
; COMPUTE_PGM_RSRC3_GFX90A:TG_SPLIT: 0
	.section	.text._ZN9rocsparseL6kernelILi1024ELi1EfiiEEvbbbT3_PS1_NS_15floating_traitsIT1_E6data_tES1_T2_PKS7_S9_PKS1_PKS4_21rocsparse_index_base_S9_S9_SB_PS4_SF_SE_S9_S9_SB_SF_SF_SE_SF_SF_PS6_SG_PKS6_,"axG",@progbits,_ZN9rocsparseL6kernelILi1024ELi1EfiiEEvbbbT3_PS1_NS_15floating_traitsIT1_E6data_tES1_T2_PKS7_S9_PKS1_PKS4_21rocsparse_index_base_S9_S9_SB_PS4_SF_SE_S9_S9_SB_SF_SF_SE_SF_SF_PS6_SG_PKS6_,comdat
	.globl	_ZN9rocsparseL6kernelILi1024ELi1EfiiEEvbbbT3_PS1_NS_15floating_traitsIT1_E6data_tES1_T2_PKS7_S9_PKS1_PKS4_21rocsparse_index_base_S9_S9_SB_PS4_SF_SE_S9_S9_SB_SF_SF_SE_SF_SF_PS6_SG_PKS6_ ; -- Begin function _ZN9rocsparseL6kernelILi1024ELi1EfiiEEvbbbT3_PS1_NS_15floating_traitsIT1_E6data_tES1_T2_PKS7_S9_PKS1_PKS4_21rocsparse_index_base_S9_S9_SB_PS4_SF_SE_S9_S9_SB_SF_SF_SE_SF_SF_PS6_SG_PKS6_
	.p2align	8
	.type	_ZN9rocsparseL6kernelILi1024ELi1EfiiEEvbbbT3_PS1_NS_15floating_traitsIT1_E6data_tES1_T2_PKS7_S9_PKS1_PKS4_21rocsparse_index_base_S9_S9_SB_PS4_SF_SE_S9_S9_SB_SF_SF_SE_SF_SF_PS6_SG_PKS6_,@function
_ZN9rocsparseL6kernelILi1024ELi1EfiiEEvbbbT3_PS1_NS_15floating_traitsIT1_E6data_tES1_T2_PKS7_S9_PKS1_PKS4_21rocsparse_index_base_S9_S9_SB_PS4_SF_SE_S9_S9_SB_SF_SF_SE_SF_SF_PS6_SG_PKS6_: ; @_ZN9rocsparseL6kernelILi1024ELi1EfiiEEvbbbT3_PS1_NS_15floating_traitsIT1_E6data_tES1_T2_PKS7_S9_PKS1_PKS4_21rocsparse_index_base_S9_S9_SB_PS4_SF_SE_S9_S9_SB_SF_SF_SE_SF_SF_PS6_SG_PKS6_
; %bb.0:
	s_load_dword s0, s[4:5], 0x0
	s_load_dwordx2 s[2:3], s[4:5], 0x0
	s_load_dwordx2 s[68:69], s[4:5], 0x10
	s_load_dwordx4 s[20:23], s[4:5], 0xb8
	s_mov_b64 s[16:17], s[4:5]
	s_waitcnt lgkmcnt(0)
	s_bitcmp1_b32 s0, 0
	s_cselect_b64 s[64:65], -1, 0
	s_bitcmp1_b32 s0, 8
	s_cselect_b64 s[34:35], -1, 0
	;; [unrolled: 2-line block ×3, first 2 shown]
	s_lshl_b32 s4, s6, 10
	s_mov_b32 s1, s3
                                        ; implicit-def: $vgpr38 : SGPR spill to VGPR lane
	v_or_b32_e32 v4, s4, v0
	v_writelane_b32 v38, s0, 0
	s_cmp_gt_i32 s3, 0
	v_cmp_gt_i32_e32 vcc, s69, v4
	v_writelane_b32 v38, s1, 1
	s_cselect_b64 s[0:1], -1, 0
	v_lshlrev_b32_e32 v1, 2, v0
	v_mov_b32_e32 v2, 0
	s_and_b64 s[0:1], s[0:1], vcc
	s_mov_b32 s33, 0
	v_mov_b32_e32 v6, 0
	v_mov_b32_e32 v8, 0
	ds_write_b32 v1, v2
	s_waitcnt lgkmcnt(0)
	s_barrier
	s_and_saveexec_b64 s[2:3], s[0:1]
	s_cbranch_execnz .LBB7_3
; %bb.1:
	s_or_b64 exec, exec, s[2:3]
	s_andn2_b64 vcc, exec, s[64:65]
	s_cbranch_vccz .LBB7_159
.LBB7_2:
	v_cmp_eq_u32_e32 vcc, 0, v0
	s_and_b64 s[0:1], vcc, s[34:35]
	s_and_saveexec_b64 s[4:5], s[0:1]
	s_cbranch_execnz .LBB7_183
	s_branch .LBB7_187
.LBB7_3:
	s_load_dwordx8 s[36:43], s[16:17], 0x48
	s_load_dwordx8 s[44:51], s[16:17], 0x20
	v_ashrrev_i32_e32 v5, 31, v4
	v_lshlrev_b64 v[2:3], 2, v[4:5]
	s_load_dwordx2 s[0:1], s[16:17], 0xc8
	s_waitcnt lgkmcnt(0)
	v_mov_b32_e32 v5, s39
	v_add_co_u32_e32 v6, vcc, s38, v2
	v_addc_co_u32_e32 v7, vcc, v5, v3, vcc
	global_load_dword v5, v[6:7], off
	v_mov_b32_e32 v7, s37
	v_add_co_u32_e32 v6, vcc, s36, v2
	v_addc_co_u32_e32 v7, vcc, v7, v3, vcc
	global_load_dword v8, v[6:7], off
	;; [unrolled: 4-line block ×3, first 2 shown]
	v_mov_b32_e32 v6, s47
	v_add_co_u32_e32 v2, vcc, s46, v2
	s_load_dwordx4 s[44:47], s[16:17], 0xa8
	v_addc_co_u32_e32 v3, vcc, v6, v3, vcc
	global_load_dword v12, v[2:3], off
	v_writelane_b32 v38, s2, 2
	v_writelane_b32 v38, s3, 3
	;; [unrolled: 1-line block ×4, first 2 shown]
	s_xor_b64 s[0:1], s[34:35], -1
	s_load_dword s66, s[16:17], 0x40
	s_load_dwordx2 s[76:77], s[16:17], 0x68
	s_load_dword s82, s[16:17], 0x70
	s_load_dwordx2 s[78:79], s[16:17], 0x98
	s_load_dword s83, s[16:17], 0xa0
	v_writelane_b32 v38, s0, 6
	v_writelane_b32 v38, s1, 7
	v_cmp_gt_u32_e64 s[0:1], 64, v0
	v_writelane_b32 v38, s0, 8
	v_writelane_b32 v38, s1, 9
	;; [unrolled: 1-line block ×3, first 2 shown]
	s_load_dwordx8 s[52:59], s[16:17], 0x78
	s_and_b64 s[0:1], s[34:35], s[30:31]
	v_mov_b32_e32 v14, s41
	v_writelane_b32 v38, s17, 11
	s_xor_b64 s[0:1], s[0:1], -1
	s_addk_i32 s4, 0x400
	s_movk_i32 s18, 0x200
	s_movk_i32 s20, 0x100
	;; [unrolled: 1-line block ×3, first 2 shown]
	v_writelane_b32 v38, s0, 12
	v_mov_b32_e32 v15, s43
	v_cmp_gt_u32_e64 s[2:3], 32, v0
	v_cmp_gt_u32_e64 s[6:7], 16, v0
	;; [unrolled: 1-line block ×5, first 2 shown]
	v_cmp_eq_u32_e64 s[14:15], 0, v0
	s_mov_b64 s[80:81], 0
	v_mov_b32_e32 v9, 0
	s_movk_i32 s5, 0x1f8
	v_mov_b32_e32 v3, 0
	v_mov_b32_e32 v6, 0
	;; [unrolled: 1-line block ×3, first 2 shown]
	v_cmp_gt_u32_e64 s[16:17], s4, v4
	v_cmp_gt_u32_e64 s[18:19], s18, v0
	;; [unrolled: 1-line block ×4, first 2 shown]
	v_writelane_b32 v38, s1, 13
	s_waitcnt lgkmcnt(0)
	s_sub_i32 s67, 0, s82
	s_sub_i32 s0, 0, s83
	s_waitcnt vmcnt(2)
	v_subrev_u32_e32 v10, s82, v8
	v_sub_u32_e32 v5, v5, v8
	v_cmp_lt_i32_e64 s[26:27], 0, v5
	s_waitcnt vmcnt(1)
	v_subrev_u32_e32 v7, s66, v11
	s_waitcnt vmcnt(0)
	v_cmp_lt_i32_e64 s[24:25], v11, v12
	v_ashrrev_i32_e32 v11, 31, v10
	v_subrev_u32_e32 v28, s66, v12
	v_lshlrev_b64 v[12:13], 2, v[10:11]
	v_add_co_u32_e32 v11, vcc, s40, v12
	v_addc_co_u32_e32 v29, vcc, v14, v13, vcc
	v_add_co_u32_e32 v30, vcc, s42, v12
	v_addc_co_u32_e32 v31, vcc, v15, v13, vcc
	s_branch .LBB7_5
.LBB7_4:                                ;   in Loop: Header=BB7_5 Depth=1
	s_or_b64 exec, exec, s[60:61]
	s_and_b64 s[28:29], exec, s[84:85]
	s_or_b64 s[80:81], s[28:29], s[80:81]
	s_andn2_b64 exec, exec, s[80:81]
	s_cbranch_execz .LBB7_158
.LBB7_5:                                ; =>This Loop Header: Depth=1
                                        ;     Child Loop BB7_12 Depth 2
                                        ;       Child Loop BB7_16 Depth 3
                                        ;       Child Loop BB7_37 Depth 3
	;; [unrolled: 1-line block ×5, first 2 shown]
                                        ;     Child Loop BB7_129 Depth 2
                                        ;       Child Loop BB7_133 Depth 3
                                        ;       Child Loop BB7_137 Depth 3
	;; [unrolled: 1-line block ×4, first 2 shown]
	v_cndmask_b32_e64 v6, v6, 0, s[34:35]
	v_cndmask_b32_e64 v2, v2, 0, s[30:31]
	s_and_saveexec_b64 s[84:85], s[24:25]
	s_cbranch_execnz .LBB7_9
; %bb.6:                                ;   in Loop: Header=BB7_5 Depth=1
	s_or_b64 exec, exec, s[84:85]
	s_andn2_b64 vcc, exec, s[34:35]
	s_cbranch_vccz .LBB7_84
.LBB7_7:                                ;   in Loop: Header=BB7_5 Depth=1
	s_andn2_b64 vcc, exec, s[30:31]
	s_cbranch_vccz .LBB7_105
.LBB7_8:                                ;   in Loop: Header=BB7_5 Depth=1
	s_and_saveexec_b64 s[28:29], s[16:17]
	s_cbranch_execnz .LBB7_126
	s_branch .LBB7_146
.LBB7_9:                                ;   in Loop: Header=BB7_5 Depth=1
	s_mov_b64 s[86:87], 0
	v_mov_b32_e32 v12, v7
	s_branch .LBB7_12
.LBB7_10:                               ;   in Loop: Header=BB7_12 Depth=2
	s_or_b64 exec, exec, s[60:61]
.LBB7_11:                               ;   in Loop: Header=BB7_12 Depth=2
	s_or_b64 exec, exec, s[28:29]
	v_add_u32_e32 v12, 1, v12
	v_cmp_ge_i32_e32 vcc, v12, v28
	s_or_b64 s[86:87], vcc, s[86:87]
	s_andn2_b64 exec, exec, s[86:87]
	s_cbranch_execz .LBB7_83
.LBB7_12:                               ;   Parent Loop BB7_5 Depth=1
                                        ; =>  This Loop Header: Depth=2
                                        ;       Child Loop BB7_16 Depth 3
                                        ;       Child Loop BB7_37 Depth 3
	;; [unrolled: 1-line block ×5, first 2 shown]
	v_ashrrev_i32_e32 v13, 31, v12
	v_lshlrev_b64 v[22:23], 2, v[12:13]
	v_mov_b32_e32 v8, s49
	v_add_co_u32_e32 v14, vcc, s48, v22
	v_addc_co_u32_e32 v15, vcc, v8, v23, vcc
	global_load_dword v8, v[14:15], off
	v_mov_b32_e32 v13, s53
	v_mov_b32_e32 v21, s55
	s_waitcnt vmcnt(0)
	v_subrev_u32_e32 v16, s66, v8
	v_ashrrev_i32_e32 v17, 31, v16
	v_lshlrev_b64 v[14:15], 2, v[16:17]
	v_add_co_u32_e32 v18, vcc, s52, v14
	v_addc_co_u32_e32 v19, vcc, v13, v15, vcc
	v_add_co_u32_e32 v20, vcc, s54, v14
	v_addc_co_u32_e32 v21, vcc, v21, v15, vcc
	global_load_dword v8, v[18:19], off
	global_load_dword v17, v[20:21], off
	v_mov_b32_e32 v13, 0
	v_mov_b32_e32 v20, 0
	s_waitcnt vmcnt(1)
	v_subrev_u32_e32 v18, s83, v8
	s_waitcnt vmcnt(0)
	v_sub_u32_e32 v32, v17, v8
	v_mov_b32_e32 v8, 0
	s_and_saveexec_b64 s[28:29], s[26:27]
	s_cbranch_execz .LBB7_20
; %bb.13:                               ;   in Loop: Header=BB7_12 Depth=2
	v_ashrrev_i32_e32 v19, 31, v18
	v_lshlrev_b64 v[20:21], 2, v[18:19]
	v_mov_b32_e32 v8, s57
	v_add_co_u32_e32 v17, vcc, s56, v20
	v_addc_co_u32_e32 v19, vcc, v8, v21, vcc
	v_mov_b32_e32 v8, s59
	v_add_co_u32_e32 v33, vcc, s58, v20
	v_addc_co_u32_e32 v34, vcc, v8, v21, vcc
	v_mov_b32_e32 v8, 0
	s_mov_b64 s[88:89], 0
	v_mov_b32_e32 v13, 0
	v_mov_b32_e32 v20, v8
                                        ; implicit-def: $sgpr90_sgpr91
	s_branch .LBB7_16
.LBB7_14:                               ;   in Loop: Header=BB7_16 Depth=3
	s_or_b64 exec, exec, s[62:63]
	v_cmp_le_i32_e32 vcc, v21, v35
	v_addc_co_u32_e32 v8, vcc, 0, v8, vcc
	v_cmp_ge_i32_e32 vcc, v21, v35
	v_addc_co_u32_e32 v20, vcc, 0, v20, vcc
	v_cmp_ge_i32_e32 vcc, v8, v5
	s_andn2_b64 s[62:63], s[90:91], exec
	s_and_b64 s[70:71], vcc, exec
	s_or_b64 s[90:91], s[62:63], s[70:71]
.LBB7_15:                               ;   in Loop: Header=BB7_16 Depth=3
	s_or_b64 exec, exec, s[60:61]
	s_and_b64 s[60:61], exec, s[90:91]
	s_or_b64 s[88:89], s[60:61], s[88:89]
	s_andn2_b64 exec, exec, s[88:89]
	s_cbranch_execz .LBB7_19
.LBB7_16:                               ;   Parent Loop BB7_5 Depth=1
                                        ;     Parent Loop BB7_12 Depth=2
                                        ; =>    This Inner Loop Header: Depth=3
	v_cmp_lt_i32_e32 vcc, v20, v32
	s_or_b64 s[90:91], s[90:91], exec
	s_and_saveexec_b64 s[60:61], vcc
	s_cbranch_execz .LBB7_15
; %bb.17:                               ;   in Loop: Header=BB7_16 Depth=3
	v_lshlrev_b64 v[24:25], 2, v[8:9]
	v_add_co_u32_e32 v26, vcc, v11, v24
	v_addc_co_u32_e32 v27, vcc, v29, v25, vcc
	v_mov_b32_e32 v21, v9
	global_load_dword v35, v[26:27], off
	v_lshlrev_b64 v[26:27], 2, v[20:21]
	v_add_co_u32_e32 v36, vcc, v17, v26
	v_addc_co_u32_e32 v37, vcc, v19, v27, vcc
	global_load_dword v36, v[36:37], off
	s_waitcnt vmcnt(1)
	v_subrev_u32_e32 v21, s82, v35
	s_waitcnt vmcnt(0)
	v_subrev_u32_e32 v35, s83, v36
	v_cmp_eq_u32_e32 vcc, v21, v35
	s_and_saveexec_b64 s[62:63], vcc
	s_cbranch_execz .LBB7_14
; %bb.18:                               ;   in Loop: Header=BB7_16 Depth=3
	v_add_co_u32_e32 v24, vcc, v30, v24
	v_addc_co_u32_e32 v25, vcc, v31, v25, vcc
	v_add_co_u32_e32 v26, vcc, v33, v26
	v_addc_co_u32_e32 v27, vcc, v34, v27, vcc
	global_load_dword v24, v[24:25], off
	s_nop 0
	global_load_dword v25, v[26:27], off
	s_waitcnt vmcnt(0)
	v_fmac_f32_e32 v13, v24, v25
	s_branch .LBB7_14
.LBB7_19:                               ;   in Loop: Header=BB7_12 Depth=2
	s_or_b64 exec, exec, s[88:89]
.LBB7_20:                               ;   in Loop: Header=BB7_12 Depth=2
	s_or_b64 exec, exec, s[28:29]
	v_mov_b32_e32 v17, s51
	v_add_co_u32_e32 v22, vcc, s50, v22
	v_addc_co_u32_e32 v23, vcc, v17, v23, vcc
	global_load_dword v17, v[22:23], off
	v_cmp_le_i32_e64 s[28:29], v4, v16
	v_cmp_gt_i32_e32 vcc, v4, v16
	s_waitcnt vmcnt(0)
	v_sub_f32_e32 v19, v17, v13
	s_and_saveexec_b64 s[60:61], vcc
	s_cbranch_execnz .LBB7_23
; %bb.21:                               ;   in Loop: Header=BB7_12 Depth=2
	s_or_b64 exec, exec, s[60:61]
	v_cmp_class_f32_e64 s[88:89], v19, s5
	s_and_saveexec_b64 s[90:91], s[88:89]
	s_cbranch_execnz .LBB7_26
.LBB7_22:                               ;   in Loop: Header=BB7_12 Depth=2
	s_or_b64 exec, exec, s[90:91]
	s_and_b64 s[60:61], s[88:89], s[30:31]
	s_and_saveexec_b64 s[28:29], s[60:61]
	s_cbranch_execz .LBB7_11
	s_branch .LBB7_61
.LBB7_23:                               ;   in Loop: Header=BB7_12 Depth=2
	v_mov_b32_e32 v21, s45
	v_add_co_u32_e32 v22, vcc, s44, v14
	v_addc_co_u32_e32 v23, vcc, v21, v15, vcc
	global_load_dword v21, v[22:23], off
	v_mov_b32_e32 v22, 0
	s_waitcnt vmcnt(0)
	v_cmp_lg_f32_e32 vcc, 0, v21
	s_and_saveexec_b64 s[62:63], vcc
; %bb.24:                               ;   in Loop: Header=BB7_12 Depth=2
	v_div_scale_f32 v22, s[70:71], v21, v21, v19
	v_rcp_f32_e32 v23, v22
	v_div_scale_f32 v24, vcc, v19, v21, v19
	v_fma_f32 v25, -v22, v23, 1.0
	v_fmac_f32_e32 v23, v25, v23
	v_mul_f32_e32 v25, v24, v23
	v_fma_f32 v26, -v22, v25, v24
	v_fmac_f32_e32 v25, v26, v23
	v_fma_f32 v22, -v22, v25, v24
	v_div_fmas_f32 v22, v22, v23, v25
	v_div_fixup_f32 v22, v22, v21, v19
; %bb.25:                               ;   in Loop: Header=BB7_12 Depth=2
	s_or_b64 exec, exec, s[62:63]
	v_mov_b32_e32 v19, v22
	s_or_b64 exec, exec, s[60:61]
	v_cmp_class_f32_e64 s[88:89], v19, s5
	s_and_saveexec_b64 s[90:91], s[88:89]
	s_cbranch_execz .LBB7_22
.LBB7_26:                               ;   in Loop: Header=BB7_12 Depth=2
	s_and_saveexec_b64 s[60:61], s[28:29]
	s_xor_b64 s[28:29], exec, s[60:61]
	s_cbranch_execz .LBB7_47
; %bb.27:                               ;   in Loop: Header=BB7_12 Depth=2
	v_cmp_ge_i32_e32 vcc, v4, v16
	s_and_saveexec_b64 s[60:61], vcc
	s_xor_b64 s[60:61], exec, s[60:61]
	s_cbranch_execz .LBB7_33
; %bb.28:                               ;   in Loop: Header=BB7_12 Depth=2
	v_mov_b32_e32 v21, s47
	v_add_co_u32_e32 v22, vcc, s46, v14
	v_addc_co_u32_e32 v23, vcc, v21, v15, vcc
	s_andn2_b64 vcc, exec, s[34:35]
	global_store_dword v[22:23], v19, off
	s_cbranch_vccnz .LBB7_32
; %bb.29:                               ;   in Loop: Header=BB7_12 Depth=2
	v_mov_b32_e32 v21, s45
	v_add_co_u32_e32 v22, vcc, s44, v14
	v_addc_co_u32_e32 v23, vcc, v21, v15, vcc
	global_load_dword v21, v[22:23], off
	s_waitcnt vmcnt(0)
	v_sub_f32_e32 v19, v21, v19
	v_cmp_class_f32_e64 s[70:71], v19, s5
	s_and_saveexec_b64 s[62:63], s[70:71]
; %bb.30:                               ;   in Loop: Header=BB7_12 Depth=2
	v_cmp_lt_f32_e64 s[70:71], v6, |v19|
	v_cndmask_b32_e64 v6, v6, |v19|, s[70:71]
; %bb.31:                               ;   in Loop: Header=BB7_12 Depth=2
	s_or_b64 exec, exec, s[62:63]
.LBB7_32:                               ;   in Loop: Header=BB7_12 Depth=2
                                        ; implicit-def: $vgpr19
.LBB7_33:                               ;   in Loop: Header=BB7_12 Depth=2
	s_andn2_saveexec_b64 s[92:93], s[60:61]
	s_cbranch_execz .LBB7_46
; %bb.34:                               ;   in Loop: Header=BB7_12 Depth=2
	v_cmp_lt_i32_e32 vcc, v20, v32
	s_and_saveexec_b64 s[94:95], vcc
	s_cbranch_execz .LBB7_45
; %bb.35:                               ;   in Loop: Header=BB7_12 Depth=2
	s_mov_b64 s[70:71], 0
	v_mov_b32_e32 v21, v20
                                        ; implicit-def: $sgpr74_sgpr75
                                        ; implicit-def: $sgpr62_sgpr63
                                        ; implicit-def: $sgpr60_sgpr61
	s_branch .LBB7_37
.LBB7_36:                               ;   in Loop: Header=BB7_37 Depth=3
	s_or_b64 exec, exec, s[72:73]
	s_and_b64 s[72:73], exec, s[62:63]
	s_or_b64 s[70:71], s[72:73], s[70:71]
	s_andn2_b64 s[72:73], s[74:75], exec
	s_and_b64 s[74:75], s[60:61], exec
	s_or_b64 s[74:75], s[72:73], s[74:75]
	s_andn2_b64 exec, exec, s[70:71]
	s_cbranch_execz .LBB7_39
.LBB7_37:                               ;   Parent Loop BB7_5 Depth=1
                                        ;     Parent Loop BB7_12 Depth=2
                                        ; =>    This Inner Loop Header: Depth=3
	v_add_u32_e32 v22, v18, v21
	v_ashrrev_i32_e32 v23, 31, v22
	v_lshlrev_b64 v[22:23], 2, v[22:23]
	v_mov_b32_e32 v25, s57
	v_add_co_u32_e32 v24, vcc, s56, v22
	v_addc_co_u32_e32 v25, vcc, v25, v23, vcc
	global_load_dword v24, v[24:25], off
	s_or_b64 s[60:61], s[60:61], exec
	s_or_b64 s[62:63], s[62:63], exec
	s_waitcnt vmcnt(0)
	v_subrev_u32_e32 v24, s83, v24
	v_cmp_ne_u32_e32 vcc, v24, v4
	s_and_saveexec_b64 s[72:73], vcc
	s_cbranch_execz .LBB7_36
; %bb.38:                               ;   in Loop: Header=BB7_37 Depth=3
	v_add_u32_e32 v21, 1, v21
	v_cmp_ge_i32_e32 vcc, v21, v32
	s_andn2_b64 s[62:63], s[62:63], exec
	s_and_b64 vcc, vcc, exec
	s_andn2_b64 s[60:61], s[60:61], exec
	s_or_b64 s[62:63], s[62:63], vcc
	s_branch .LBB7_36
.LBB7_39:                               ;   in Loop: Header=BB7_12 Depth=2
	s_or_b64 exec, exec, s[70:71]
	s_and_saveexec_b64 s[60:61], s[74:75]
	s_xor_b64 s[60:61], exec, s[60:61]
	s_cbranch_execz .LBB7_44
; %bb.40:                               ;   in Loop: Header=BB7_12 Depth=2
	v_mov_b32_e32 v21, s79
	v_add_co_u32_e32 v24, vcc, s78, v22
	v_addc_co_u32_e32 v25, vcc, v21, v23, vcc
	s_andn2_b64 vcc, exec, s[34:35]
	global_store_dword v[24:25], v19, off
	s_cbranch_vccnz .LBB7_44
; %bb.41:                               ;   in Loop: Header=BB7_12 Depth=2
	v_mov_b32_e32 v21, s59
	v_add_co_u32_e32 v22, vcc, s58, v22
	v_addc_co_u32_e32 v23, vcc, v21, v23, vcc
	global_load_dword v21, v[22:23], off
	s_waitcnt vmcnt(0)
	v_sub_f32_e32 v19, v21, v19
	v_cmp_class_f32_e64 s[70:71], v19, s5
	s_and_saveexec_b64 s[62:63], s[70:71]
; %bb.42:                               ;   in Loop: Header=BB7_12 Depth=2
	v_cmp_lt_f32_e64 s[70:71], v6, |v19|
	v_cndmask_b32_e64 v6, v6, |v19|, s[70:71]
; %bb.43:                               ;   in Loop: Header=BB7_12 Depth=2
	s_or_b64 exec, exec, s[62:63]
.LBB7_44:                               ;   in Loop: Header=BB7_12 Depth=2
	s_or_b64 exec, exec, s[60:61]
.LBB7_45:                               ;   in Loop: Header=BB7_12 Depth=2
	s_or_b64 exec, exec, s[94:95]
.LBB7_46:                               ;   in Loop: Header=BB7_12 Depth=2
	s_or_b64 exec, exec, s[92:93]
                                        ; implicit-def: $vgpr19
.LBB7_47:                               ;   in Loop: Header=BB7_12 Depth=2
	s_andn2_saveexec_b64 s[28:29], s[28:29]
	s_cbranch_execz .LBB7_60
; %bb.48:                               ;   in Loop: Header=BB7_12 Depth=2
	v_cmp_lt_i32_e32 vcc, v8, v5
	s_and_saveexec_b64 s[92:93], vcc
	s_cbranch_execz .LBB7_59
; %bb.49:                               ;   in Loop: Header=BB7_12 Depth=2
	s_mov_b64 s[94:95], 0
	v_mov_b32_e32 v21, v8
                                        ; implicit-def: $sgpr70_sgpr71
                                        ; implicit-def: $sgpr62_sgpr63
                                        ; implicit-def: $sgpr60_sgpr61
	s_branch .LBB7_51
.LBB7_50:                               ;   in Loop: Header=BB7_51 Depth=3
	s_or_b64 exec, exec, s[74:75]
	s_and_b64 s[72:73], exec, s[62:63]
	s_or_b64 s[94:95], s[72:73], s[94:95]
	s_andn2_b64 s[70:71], s[70:71], exec
	s_and_b64 s[72:73], s[60:61], exec
	s_or_b64 s[70:71], s[70:71], s[72:73]
	s_andn2_b64 exec, exec, s[94:95]
	s_cbranch_execz .LBB7_53
.LBB7_51:                               ;   Parent Loop BB7_5 Depth=1
                                        ;     Parent Loop BB7_12 Depth=2
                                        ; =>    This Inner Loop Header: Depth=3
	v_add_u32_e32 v22, v10, v21
	v_ashrrev_i32_e32 v23, 31, v22
	v_lshlrev_b64 v[22:23], 2, v[22:23]
	v_mov_b32_e32 v25, s41
	v_add_co_u32_e32 v24, vcc, s40, v22
	v_addc_co_u32_e32 v25, vcc, v25, v23, vcc
	global_load_dword v24, v[24:25], off
	s_or_b64 s[60:61], s[60:61], exec
	s_or_b64 s[62:63], s[62:63], exec
	s_waitcnt vmcnt(0)
	v_subrev_u32_e32 v24, s82, v24
	v_cmp_ne_u32_e32 vcc, v24, v16
	s_and_saveexec_b64 s[74:75], vcc
	s_cbranch_execz .LBB7_50
; %bb.52:                               ;   in Loop: Header=BB7_51 Depth=3
	v_add_u32_e32 v21, 1, v21
	v_cmp_ge_i32_e32 vcc, v21, v5
	s_andn2_b64 s[62:63], s[62:63], exec
	s_and_b64 s[72:73], vcc, exec
	s_andn2_b64 s[60:61], s[60:61], exec
	s_or_b64 s[62:63], s[62:63], s[72:73]
	s_branch .LBB7_50
.LBB7_53:                               ;   in Loop: Header=BB7_12 Depth=2
	s_or_b64 exec, exec, s[94:95]
	s_and_saveexec_b64 s[60:61], s[70:71]
	s_xor_b64 s[60:61], exec, s[60:61]
	s_cbranch_execz .LBB7_58
; %bb.54:                               ;   in Loop: Header=BB7_12 Depth=2
	v_mov_b32_e32 v21, s77
	v_add_co_u32_e32 v24, vcc, s76, v22
	v_addc_co_u32_e32 v25, vcc, v21, v23, vcc
	s_andn2_b64 vcc, exec, s[34:35]
	global_store_dword v[24:25], v19, off
	s_cbranch_vccnz .LBB7_58
; %bb.55:                               ;   in Loop: Header=BB7_12 Depth=2
	v_mov_b32_e32 v21, s43
	v_add_co_u32_e32 v22, vcc, s42, v22
	v_addc_co_u32_e32 v23, vcc, v21, v23, vcc
	global_load_dword v21, v[22:23], off
	s_waitcnt vmcnt(0)
	v_sub_f32_e32 v19, v21, v19
	v_cmp_class_f32_e64 s[70:71], v19, s5
	s_and_saveexec_b64 s[62:63], s[70:71]
; %bb.56:                               ;   in Loop: Header=BB7_12 Depth=2
	v_cmp_lt_f32_e64 s[70:71], v6, |v19|
	v_cndmask_b32_e64 v6, v6, |v19|, s[70:71]
; %bb.57:                               ;   in Loop: Header=BB7_12 Depth=2
	s_or_b64 exec, exec, s[62:63]
.LBB7_58:                               ;   in Loop: Header=BB7_12 Depth=2
	s_or_b64 exec, exec, s[60:61]
.LBB7_59:                               ;   in Loop: Header=BB7_12 Depth=2
	s_or_b64 exec, exec, s[92:93]
.LBB7_60:                               ;   in Loop: Header=BB7_12 Depth=2
	s_or_b64 exec, exec, s[28:29]
	s_or_b64 exec, exec, s[90:91]
	s_and_b64 s[60:61], s[88:89], s[30:31]
	s_and_saveexec_b64 s[28:29], s[60:61]
	s_cbranch_execz .LBB7_11
.LBB7_61:                               ;   in Loop: Header=BB7_12 Depth=2
	v_cmp_ge_i32_e32 vcc, v20, v32
	s_and_saveexec_b64 s[60:61], vcc
	s_xor_b64 s[88:89], exec, s[60:61]
	s_cbranch_execnz .LBB7_67
; %bb.62:                               ;   in Loop: Header=BB7_12 Depth=2
	s_andn2_saveexec_b64 s[88:89], s[88:89]
	s_cbranch_execnz .LBB7_76
.LBB7_63:                               ;   in Loop: Header=BB7_12 Depth=2
	s_or_b64 exec, exec, s[88:89]
	v_cmp_eq_u32_e32 vcc, v4, v16
	s_and_saveexec_b64 s[60:61], vcc
	s_cbranch_execz .LBB7_65
.LBB7_64:                               ;   in Loop: Header=BB7_12 Depth=2
	v_mov_b32_e32 v8, s45
	v_add_co_u32_e32 v14, vcc, s44, v14
	v_addc_co_u32_e32 v15, vcc, v8, v15, vcc
	global_load_dword v8, v[14:15], off
	s_waitcnt vmcnt(0)
	v_add_f32_e32 v13, v13, v8
.LBB7_65:                               ;   in Loop: Header=BB7_12 Depth=2
	s_or_b64 exec, exec, s[60:61]
	v_sub_f32_e32 v8, v17, v13
	v_cmp_class_f32_e64 s[62:63], v8, s5
	s_and_saveexec_b64 s[60:61], s[62:63]
	s_cbranch_execz .LBB7_10
; %bb.66:                               ;   in Loop: Header=BB7_12 Depth=2
	v_cmp_lt_f32_e64 s[62:63], v2, |v8|
	v_cndmask_b32_e64 v2, v2, |v8|, s[62:63]
	s_branch .LBB7_10
.LBB7_67:                               ;   in Loop: Header=BB7_12 Depth=2
	v_cmp_lt_i32_e32 vcc, v8, v5
	s_and_saveexec_b64 s[90:91], vcc
	s_cbranch_execz .LBB7_75
; %bb.68:                               ;   in Loop: Header=BB7_12 Depth=2
	s_mov_b64 s[70:71], 0
                                        ; implicit-def: $sgpr74_sgpr75
                                        ; implicit-def: $sgpr62_sgpr63
                                        ; implicit-def: $sgpr60_sgpr61
	s_branch .LBB7_70
.LBB7_69:                               ;   in Loop: Header=BB7_70 Depth=3
	s_or_b64 exec, exec, s[72:73]
	s_and_b64 s[72:73], exec, s[62:63]
	s_or_b64 s[70:71], s[72:73], s[70:71]
	s_andn2_b64 s[72:73], s[74:75], exec
	s_and_b64 s[74:75], s[60:61], exec
	s_or_b64 s[74:75], s[72:73], s[74:75]
	s_andn2_b64 exec, exec, s[70:71]
	s_cbranch_execz .LBB7_72
.LBB7_70:                               ;   Parent Loop BB7_5 Depth=1
                                        ;     Parent Loop BB7_12 Depth=2
                                        ; =>    This Inner Loop Header: Depth=3
	v_add_u32_e32 v18, v10, v8
	v_ashrrev_i32_e32 v19, 31, v18
	v_lshlrev_b64 v[18:19], 2, v[18:19]
	v_mov_b32_e32 v21, s41
	v_add_co_u32_e32 v20, vcc, s40, v18
	v_addc_co_u32_e32 v21, vcc, v21, v19, vcc
	global_load_dword v20, v[20:21], off
	s_or_b64 s[60:61], s[60:61], exec
	s_or_b64 s[62:63], s[62:63], exec
	s_waitcnt vmcnt(0)
	v_subrev_u32_e32 v20, s82, v20
	v_cmp_ne_u32_e32 vcc, v20, v16
	s_and_saveexec_b64 s[72:73], vcc
	s_cbranch_execz .LBB7_69
; %bb.71:                               ;   in Loop: Header=BB7_70 Depth=3
	v_add_u32_e32 v8, 1, v8
	v_cmp_ge_i32_e32 vcc, v8, v5
	s_andn2_b64 s[62:63], s[62:63], exec
	s_and_b64 s[92:93], vcc, exec
	s_andn2_b64 s[60:61], s[60:61], exec
	s_or_b64 s[62:63], s[62:63], s[92:93]
	s_branch .LBB7_69
.LBB7_72:                               ;   in Loop: Header=BB7_12 Depth=2
	s_or_b64 exec, exec, s[70:71]
	s_and_saveexec_b64 s[60:61], s[74:75]
	s_xor_b64 s[60:61], exec, s[60:61]
	s_cbranch_execz .LBB7_74
; %bb.73:                               ;   in Loop: Header=BB7_12 Depth=2
	v_mov_b32_e32 v8, s43
	v_add_co_u32_e32 v18, vcc, s42, v18
	v_addc_co_u32_e32 v19, vcc, v8, v19, vcc
	global_load_dword v8, v[18:19], off
	v_mov_b32_e32 v19, s45
	v_add_co_u32_e32 v18, vcc, s44, v14
	v_addc_co_u32_e32 v19, vcc, v19, v15, vcc
	global_load_dword v18, v[18:19], off
	s_waitcnt vmcnt(0)
	v_fmac_f32_e32 v13, v8, v18
.LBB7_74:                               ;   in Loop: Header=BB7_12 Depth=2
	s_or_b64 exec, exec, s[60:61]
.LBB7_75:                               ;   in Loop: Header=BB7_12 Depth=2
	s_or_b64 exec, exec, s[90:91]
                                        ; implicit-def: $vgpr20
                                        ; implicit-def: $vgpr18
                                        ; implicit-def: $vgpr32
	s_andn2_saveexec_b64 s[88:89], s[88:89]
	s_cbranch_execz .LBB7_63
.LBB7_76:                               ;   in Loop: Header=BB7_12 Depth=2
	s_mov_b64 s[70:71], 0
                                        ; implicit-def: $sgpr74_sgpr75
                                        ; implicit-def: $sgpr62_sgpr63
                                        ; implicit-def: $sgpr60_sgpr61
	s_branch .LBB7_78
.LBB7_77:                               ;   in Loop: Header=BB7_78 Depth=3
	s_or_b64 exec, exec, s[72:73]
	s_and_b64 s[72:73], exec, s[62:63]
	s_or_b64 s[70:71], s[72:73], s[70:71]
	s_andn2_b64 s[72:73], s[74:75], exec
	s_and_b64 s[74:75], s[60:61], exec
	s_or_b64 s[74:75], s[72:73], s[74:75]
	s_andn2_b64 exec, exec, s[70:71]
	s_cbranch_execz .LBB7_80
.LBB7_78:                               ;   Parent Loop BB7_5 Depth=1
                                        ;     Parent Loop BB7_12 Depth=2
                                        ; =>    This Inner Loop Header: Depth=3
	v_add_u32_e32 v22, v18, v20
	v_ashrrev_i32_e32 v23, 31, v22
	v_lshlrev_b64 v[22:23], 2, v[22:23]
	v_mov_b32_e32 v8, s57
	v_add_co_u32_e32 v24, vcc, s56, v22
	v_addc_co_u32_e32 v25, vcc, v8, v23, vcc
	global_load_dword v8, v[24:25], off
	s_or_b64 s[60:61], s[60:61], exec
	s_or_b64 s[62:63], s[62:63], exec
	s_waitcnt vmcnt(0)
	v_subrev_u32_e32 v8, s83, v8
	v_cmp_ne_u32_e32 vcc, v8, v4
	s_and_saveexec_b64 s[72:73], vcc
	s_cbranch_execz .LBB7_77
; %bb.79:                               ;   in Loop: Header=BB7_78 Depth=3
	v_add_u32_e32 v20, 1, v20
	v_cmp_ge_i32_e32 vcc, v20, v32
	s_andn2_b64 s[62:63], s[62:63], exec
	s_and_b64 s[90:91], vcc, exec
	s_andn2_b64 s[60:61], s[60:61], exec
	s_or_b64 s[62:63], s[62:63], s[90:91]
	s_branch .LBB7_77
.LBB7_80:                               ;   in Loop: Header=BB7_12 Depth=2
	s_or_b64 exec, exec, s[70:71]
	s_and_saveexec_b64 s[60:61], s[74:75]
	s_xor_b64 s[60:61], exec, s[60:61]
	s_cbranch_execz .LBB7_82
; %bb.81:                               ;   in Loop: Header=BB7_12 Depth=2
	v_mov_b32_e32 v8, s59
	v_add_co_u32_e32 v18, vcc, s58, v22
	v_addc_co_u32_e32 v19, vcc, v8, v23, vcc
	global_load_dword v8, v[18:19], off
	s_waitcnt vmcnt(0)
	v_add_f32_e32 v13, v13, v8
.LBB7_82:                               ;   in Loop: Header=BB7_12 Depth=2
	s_or_b64 exec, exec, s[60:61]
	s_or_b64 exec, exec, s[88:89]
	v_cmp_eq_u32_e32 vcc, v4, v16
	s_and_saveexec_b64 s[60:61], vcc
	s_cbranch_execnz .LBB7_64
	s_branch .LBB7_65
.LBB7_83:                               ;   in Loop: Header=BB7_5 Depth=1
	s_or_b64 exec, exec, s[86:87]
	s_or_b64 exec, exec, s[84:85]
	s_andn2_b64 vcc, exec, s[34:35]
	s_cbranch_vccnz .LBB7_7
.LBB7_84:                               ;   in Loop: Header=BB7_5 Depth=1
	ds_write_b32 v1, v6
	s_waitcnt lgkmcnt(0)
	s_barrier
	s_and_saveexec_b64 s[28:29], s[18:19]
	s_cbranch_execz .LBB7_86
; %bb.85:                               ;   in Loop: Header=BB7_5 Depth=1
	ds_read2st64_b32 v[12:13], v1 offset1:8
	s_waitcnt lgkmcnt(0)
	v_cmp_lt_f32_e32 vcc, v12, v13
	v_cndmask_b32_e32 v6, v12, v13, vcc
	ds_write_b32 v1, v6
.LBB7_86:                               ;   in Loop: Header=BB7_5 Depth=1
	s_or_b64 exec, exec, s[28:29]
	s_waitcnt lgkmcnt(0)
	s_barrier
	s_and_saveexec_b64 s[28:29], s[20:21]
	s_cbranch_execz .LBB7_88
; %bb.87:                               ;   in Loop: Header=BB7_5 Depth=1
	ds_read2st64_b32 v[12:13], v1 offset1:4
	s_waitcnt lgkmcnt(0)
	v_cmp_lt_f32_e32 vcc, v12, v13
	v_cndmask_b32_e32 v6, v12, v13, vcc
	ds_write_b32 v1, v6
.LBB7_88:                               ;   in Loop: Header=BB7_5 Depth=1
	s_or_b64 exec, exec, s[28:29]
	;; [unrolled: 12-line block ×3, first 2 shown]
	s_waitcnt lgkmcnt(0)
	s_barrier
	s_mov_b64 s[28:29], exec
	v_readlane_b32 s60, v38, 8
	v_readlane_b32 s61, v38, 9
	s_and_b64 s[60:61], s[28:29], s[60:61]
	s_mov_b64 exec, s[60:61]
	s_cbranch_execz .LBB7_92
; %bb.91:                               ;   in Loop: Header=BB7_5 Depth=1
	ds_read2st64_b32 v[12:13], v1 offset1:1
	s_waitcnt lgkmcnt(0)
	v_cmp_lt_f32_e32 vcc, v12, v13
	v_cndmask_b32_e32 v6, v12, v13, vcc
	ds_write_b32 v1, v6
.LBB7_92:                               ;   in Loop: Header=BB7_5 Depth=1
	s_or_b64 exec, exec, s[28:29]
	s_waitcnt lgkmcnt(0)
	s_barrier
	s_and_saveexec_b64 s[28:29], s[2:3]
	s_cbranch_execz .LBB7_94
; %bb.93:                               ;   in Loop: Header=BB7_5 Depth=1
	ds_read2_b32 v[12:13], v1 offset1:32
	s_waitcnt lgkmcnt(0)
	v_cmp_lt_f32_e32 vcc, v12, v13
	v_cndmask_b32_e32 v6, v12, v13, vcc
	ds_write_b32 v1, v6
.LBB7_94:                               ;   in Loop: Header=BB7_5 Depth=1
	s_or_b64 exec, exec, s[28:29]
	s_waitcnt lgkmcnt(0)
	s_barrier
	s_and_saveexec_b64 s[28:29], s[6:7]
	s_cbranch_execz .LBB7_96
; %bb.95:                               ;   in Loop: Header=BB7_5 Depth=1
	ds_read2_b32 v[12:13], v1 offset1:16
	s_waitcnt lgkmcnt(0)
	v_cmp_lt_f32_e32 vcc, v12, v13
	v_cndmask_b32_e32 v6, v12, v13, vcc
	ds_write_b32 v1, v6
.LBB7_96:                               ;   in Loop: Header=BB7_5 Depth=1
	;; [unrolled: 12-line block ×3, first 2 shown]
	s_or_b64 exec, exec, s[28:29]
	s_waitcnt lgkmcnt(0)
	s_barrier
	s_and_saveexec_b64 s[28:29], s[10:11]
	s_cbranch_execz .LBB7_100
; %bb.99:                               ;   in Loop: Header=BB7_5 Depth=1
	ds_read2_b32 v[12:13], v1 offset1:4
	s_waitcnt lgkmcnt(0)
	v_cmp_lt_f32_e32 vcc, v12, v13
	v_cndmask_b32_e32 v6, v12, v13, vcc
	ds_write_b32 v1, v6
.LBB7_100:                              ;   in Loop: Header=BB7_5 Depth=1
	s_or_b64 exec, exec, s[28:29]
	s_waitcnt lgkmcnt(0)
	s_barrier
	s_and_saveexec_b64 s[28:29], s[12:13]
	s_cbranch_execz .LBB7_102
; %bb.101:                              ;   in Loop: Header=BB7_5 Depth=1
	ds_read2_b32 v[12:13], v1 offset1:2
	s_waitcnt lgkmcnt(0)
	v_cmp_lt_f32_e32 vcc, v12, v13
	v_cndmask_b32_e32 v6, v12, v13, vcc
	ds_write_b32 v1, v6
.LBB7_102:                              ;   in Loop: Header=BB7_5 Depth=1
	s_or_b64 exec, exec, s[28:29]
	s_waitcnt lgkmcnt(0)
	s_barrier
	s_and_saveexec_b64 s[28:29], s[14:15]
	s_cbranch_execz .LBB7_104
; %bb.103:                              ;   in Loop: Header=BB7_5 Depth=1
	ds_read_b64 v[12:13], v3
	s_waitcnt lgkmcnt(0)
	v_cmp_lt_f32_e32 vcc, v12, v13
	v_cndmask_b32_e32 v6, v12, v13, vcc
	ds_write_b32 v3, v6
.LBB7_104:                              ;   in Loop: Header=BB7_5 Depth=1
	s_or_b64 exec, exec, s[28:29]
	v_readlane_b32 s28, v38, 4
	v_readlane_b32 s29, v38, 5
	s_waitcnt lgkmcnt(0)
	s_barrier
	ds_read_b32 v6, v3
	s_load_dword s1, s[28:29], 0x0
	s_waitcnt lgkmcnt(0)
	v_div_scale_f32 v8, s[28:29], s1, s1, v6
	v_rcp_f32_e32 v12, v8
	v_div_scale_f32 v13, vcc, v6, s1, v6
	v_fma_f32 v14, -v8, v12, 1.0
	v_fmac_f32_e32 v12, v14, v12
	v_mul_f32_e32 v14, v13, v12
	v_fma_f32 v15, -v8, v14, v13
	v_fmac_f32_e32 v14, v15, v12
	v_fma_f32 v8, -v8, v14, v13
	v_div_fmas_f32 v8, v8, v12, v14
	v_div_fixup_f32 v6, v8, s1, v6
	s_andn2_b64 vcc, exec, s[30:31]
	s_cbranch_vccnz .LBB7_8
.LBB7_105:                              ;   in Loop: Header=BB7_5 Depth=1
	ds_write_b32 v1, v2
	s_waitcnt lgkmcnt(0)
	s_barrier
	s_and_saveexec_b64 s[28:29], s[18:19]
	s_cbranch_execz .LBB7_107
; %bb.106:                              ;   in Loop: Header=BB7_5 Depth=1
	ds_read2st64_b32 v[12:13], v1 offset1:8
	s_waitcnt lgkmcnt(0)
	v_cmp_lt_f32_e32 vcc, v12, v13
	v_cndmask_b32_e32 v2, v12, v13, vcc
	ds_write_b32 v1, v2
.LBB7_107:                              ;   in Loop: Header=BB7_5 Depth=1
	s_or_b64 exec, exec, s[28:29]
	s_waitcnt lgkmcnt(0)
	s_barrier
	s_and_saveexec_b64 s[28:29], s[20:21]
	s_cbranch_execz .LBB7_109
; %bb.108:                              ;   in Loop: Header=BB7_5 Depth=1
	ds_read2st64_b32 v[12:13], v1 offset1:4
	s_waitcnt lgkmcnt(0)
	v_cmp_lt_f32_e32 vcc, v12, v13
	v_cndmask_b32_e32 v2, v12, v13, vcc
	ds_write_b32 v1, v2
.LBB7_109:                              ;   in Loop: Header=BB7_5 Depth=1
	s_or_b64 exec, exec, s[28:29]
	;; [unrolled: 12-line block ×3, first 2 shown]
	s_waitcnt lgkmcnt(0)
	s_barrier
	s_mov_b64 s[28:29], exec
	v_readlane_b32 s60, v38, 8
	v_readlane_b32 s61, v38, 9
	s_and_b64 s[60:61], s[28:29], s[60:61]
	s_mov_b64 exec, s[60:61]
	s_cbranch_execz .LBB7_113
; %bb.112:                              ;   in Loop: Header=BB7_5 Depth=1
	ds_read2st64_b32 v[12:13], v1 offset1:1
	s_waitcnt lgkmcnt(0)
	v_cmp_lt_f32_e32 vcc, v12, v13
	v_cndmask_b32_e32 v2, v12, v13, vcc
	ds_write_b32 v1, v2
.LBB7_113:                              ;   in Loop: Header=BB7_5 Depth=1
	s_or_b64 exec, exec, s[28:29]
	s_waitcnt lgkmcnt(0)
	s_barrier
	s_and_saveexec_b64 s[28:29], s[2:3]
	s_cbranch_execz .LBB7_115
; %bb.114:                              ;   in Loop: Header=BB7_5 Depth=1
	ds_read2_b32 v[12:13], v1 offset1:32
	s_waitcnt lgkmcnt(0)
	v_cmp_lt_f32_e32 vcc, v12, v13
	v_cndmask_b32_e32 v2, v12, v13, vcc
	ds_write_b32 v1, v2
.LBB7_115:                              ;   in Loop: Header=BB7_5 Depth=1
	s_or_b64 exec, exec, s[28:29]
	s_waitcnt lgkmcnt(0)
	s_barrier
	s_and_saveexec_b64 s[28:29], s[6:7]
	s_cbranch_execz .LBB7_117
; %bb.116:                              ;   in Loop: Header=BB7_5 Depth=1
	ds_read2_b32 v[12:13], v1 offset1:16
	s_waitcnt lgkmcnt(0)
	v_cmp_lt_f32_e32 vcc, v12, v13
	v_cndmask_b32_e32 v2, v12, v13, vcc
	ds_write_b32 v1, v2
.LBB7_117:                              ;   in Loop: Header=BB7_5 Depth=1
	;; [unrolled: 12-line block ×5, first 2 shown]
	s_or_b64 exec, exec, s[28:29]
	s_waitcnt lgkmcnt(0)
	s_barrier
	s_and_saveexec_b64 s[28:29], s[14:15]
	s_cbranch_execz .LBB7_125
; %bb.124:                              ;   in Loop: Header=BB7_5 Depth=1
	ds_read_b64 v[12:13], v3
	s_waitcnt lgkmcnt(0)
	v_cmp_lt_f32_e32 vcc, v12, v13
	v_cndmask_b32_e32 v2, v12, v13, vcc
	ds_write_b32 v3, v2
.LBB7_125:                              ;   in Loop: Header=BB7_5 Depth=1
	s_or_b64 exec, exec, s[28:29]
	v_readlane_b32 s28, v38, 4
	v_readlane_b32 s29, v38, 5
	s_waitcnt lgkmcnt(0)
	s_barrier
	ds_read_b32 v2, v3
	s_load_dword s1, s[28:29], 0x0
	s_waitcnt lgkmcnt(0)
	v_div_scale_f32 v8, s[28:29], s1, s1, v2
	v_rcp_f32_e32 v12, v8
	v_div_scale_f32 v13, vcc, v2, s1, v2
	v_fma_f32 v14, -v8, v12, 1.0
	v_fmac_f32_e32 v12, v14, v12
	v_mul_f32_e32 v14, v13, v12
	v_fma_f32 v15, -v8, v14, v13
	v_fmac_f32_e32 v14, v15, v12
	v_fma_f32 v8, -v8, v14, v13
	v_div_fmas_f32 v8, v8, v12, v14
	v_div_fixup_f32 v2, v8, s1, v2
	s_and_saveexec_b64 s[28:29], s[16:17]
	s_cbranch_execz .LBB7_146
.LBB7_126:                              ;   in Loop: Header=BB7_5 Depth=1
	s_mov_b64 s[84:85], 0
	v_mov_b32_e32 v12, v4
	s_branch .LBB7_129
.LBB7_127:                              ;   in Loop: Header=BB7_129 Depth=2
	s_or_b64 exec, exec, s[88:89]
	v_mov_b32_e32 v8, s47
	v_add_co_u32_e32 v16, vcc, s46, v14
	v_addc_co_u32_e32 v17, vcc, v8, v15, vcc
	global_load_dword v8, v[16:17], off
	v_mov_b32_e32 v13, s45
	v_add_co_u32_e32 v14, vcc, s44, v14
	v_addc_co_u32_e32 v15, vcc, v13, v15, vcc
	s_waitcnt vmcnt(0)
	global_store_dword v[14:15], v8, off
.LBB7_128:                              ;   in Loop: Header=BB7_129 Depth=2
	s_or_b64 exec, exec, s[86:87]
	v_add_u32_e32 v12, 0x400, v12
	v_cmp_le_u32_e32 vcc, s4, v12
	s_or_b64 s[84:85], vcc, s[84:85]
	s_andn2_b64 exec, exec, s[84:85]
	s_cbranch_execz .LBB7_146
.LBB7_129:                              ;   Parent Loop BB7_5 Depth=1
                                        ; =>  This Loop Header: Depth=2
                                        ;       Child Loop BB7_133 Depth 3
                                        ;       Child Loop BB7_137 Depth 3
	;; [unrolled: 1-line block ×4, first 2 shown]
	v_cmp_gt_i32_e32 vcc, s69, v12
	s_and_saveexec_b64 s[86:87], vcc
	s_cbranch_execz .LBB7_128
; %bb.130:                              ;   in Loop: Header=BB7_129 Depth=2
	v_ashrrev_i32_e32 v13, 31, v12
	v_lshlrev_b64 v[14:15], 2, v[12:13]
	v_mov_b32_e32 v8, s37
	v_add_co_u32_e32 v16, vcc, s36, v14
	v_addc_co_u32_e32 v17, vcc, v8, v15, vcc
	global_load_dword v18, v[16:17], off
	v_mov_b32_e32 v8, s39
	v_add_co_u32_e32 v16, vcc, s38, v14
	v_addc_co_u32_e32 v17, vcc, v8, v15, vcc
	global_load_dword v8, v[16:17], off
	s_waitcnt vmcnt(0)
	v_cmp_lt_i32_e32 vcc, v18, v8
	s_and_saveexec_b64 s[88:89], vcc
	s_cbranch_execz .LBB7_138
; %bb.131:                              ;   in Loop: Header=BB7_129 Depth=2
	v_subrev_u32_e32 v16, s82, v18
	v_subrev_u32_e32 v8, s82, v8
	v_add_u32_e32 v13, 1, v16
	v_max_i32_e32 v13, v13, v8
	v_add_u32_e32 v13, s82, v13
	v_sub_u32_e32 v13, v13, v18
	v_cmp_lt_u32_e32 vcc, 1, v13
	s_mov_b64 s[62:63], -1
	s_and_saveexec_b64 s[60:61], vcc
	s_cbranch_execz .LBB7_135
; %bb.132:                              ;   in Loop: Header=BB7_129 Depth=2
	v_and_b32_e32 v17, -2, v13
	v_add_u32_e32 v18, s67, v18
	s_mov_b64 s[62:63], 0
	v_mov_b32_e32 v20, v17
.LBB7_133:                              ;   Parent Loop BB7_5 Depth=1
                                        ;     Parent Loop BB7_129 Depth=2
                                        ; =>    This Inner Loop Header: Depth=3
	v_ashrrev_i32_e32 v19, 31, v18
	v_lshlrev_b64 v[22:23], 2, v[18:19]
	v_mov_b32_e32 v19, s77
	v_add_co_u32_e32 v24, vcc, s76, v22
	v_addc_co_u32_e32 v25, vcc, v19, v23, vcc
	global_load_dwordx2 v[24:25], v[24:25], off
	v_add_u32_e32 v20, -2, v20
	v_cmp_eq_u32_e32 vcc, 0, v20
	v_mov_b32_e32 v19, s43
	s_or_b64 s[62:63], vcc, s[62:63]
	v_add_co_u32_e32 v22, vcc, s42, v22
	v_addc_co_u32_e32 v23, vcc, v19, v23, vcc
	v_add_u32_e32 v18, 2, v18
	s_waitcnt vmcnt(0)
	global_store_dwordx2 v[22:23], v[24:25], off
	s_andn2_b64 exec, exec, s[62:63]
	s_cbranch_execnz .LBB7_133
; %bb.134:                              ;   in Loop: Header=BB7_129 Depth=2
	s_or_b64 exec, exec, s[62:63]
	v_cmp_ne_u32_e32 vcc, v13, v17
	v_add_u32_e32 v16, v16, v17
	s_orn2_b64 s[62:63], vcc, exec
.LBB7_135:                              ;   in Loop: Header=BB7_129 Depth=2
	s_or_b64 exec, exec, s[60:61]
	s_and_b64 exec, exec, s[62:63]
	s_cbranch_execz .LBB7_138
; %bb.136:                              ;   in Loop: Header=BB7_129 Depth=2
	v_ashrrev_i32_e32 v17, 31, v16
	v_lshlrev_b64 v[20:21], 2, v[16:17]
	v_mov_b32_e32 v13, s77
	v_add_co_u32_e32 v18, vcc, s76, v20
	v_addc_co_u32_e32 v19, vcc, v13, v21, vcc
	v_mov_b32_e32 v13, s43
	v_add_co_u32_e32 v20, vcc, s42, v20
	v_addc_co_u32_e32 v21, vcc, v13, v21, vcc
	s_mov_b64 s[60:61], 0
.LBB7_137:                              ;   Parent Loop BB7_5 Depth=1
                                        ;     Parent Loop BB7_129 Depth=2
                                        ; =>    This Inner Loop Header: Depth=3
	global_load_dword v13, v[18:19], off
	v_add_co_u32_e32 v18, vcc, 4, v18
	v_add_u32_e32 v16, 1, v16
	v_addc_co_u32_e32 v19, vcc, 0, v19, vcc
	v_cmp_ge_i32_e32 vcc, v16, v8
	s_or_b64 s[60:61], vcc, s[60:61]
	s_waitcnt vmcnt(0)
	global_store_dword v[20:21], v13, off
	v_add_co_u32_e32 v20, vcc, 4, v20
	v_addc_co_u32_e32 v21, vcc, 0, v21, vcc
	s_andn2_b64 exec, exec, s[60:61]
	s_cbranch_execnz .LBB7_137
.LBB7_138:                              ;   in Loop: Header=BB7_129 Depth=2
	s_or_b64 exec, exec, s[88:89]
	v_mov_b32_e32 v8, s53
	v_add_co_u32_e32 v16, vcc, s52, v14
	v_addc_co_u32_e32 v17, vcc, v8, v15, vcc
	global_load_dword v18, v[16:17], off
	v_mov_b32_e32 v8, s55
	v_add_co_u32_e32 v16, vcc, s54, v14
	v_addc_co_u32_e32 v17, vcc, v8, v15, vcc
	global_load_dword v8, v[16:17], off
	s_waitcnt vmcnt(0)
	v_cmp_lt_i32_e32 vcc, v18, v8
	s_and_saveexec_b64 s[88:89], vcc
	s_cbranch_execz .LBB7_127
; %bb.139:                              ;   in Loop: Header=BB7_129 Depth=2
	v_subrev_u32_e32 v16, s83, v18
	v_subrev_u32_e32 v8, s83, v8
	v_add_u32_e32 v13, 1, v16
	v_max_i32_e32 v13, v13, v8
	v_add_u32_e32 v13, s83, v13
	v_sub_u32_e32 v13, v13, v18
	v_cmp_lt_u32_e32 vcc, 1, v13
	s_mov_b64 s[62:63], -1
	s_and_saveexec_b64 s[60:61], vcc
	s_cbranch_execz .LBB7_143
; %bb.140:                              ;   in Loop: Header=BB7_129 Depth=2
	v_and_b32_e32 v17, -2, v13
	v_add_u32_e32 v18, s0, v18
	s_mov_b64 s[62:63], 0
	v_mov_b32_e32 v20, v17
.LBB7_141:                              ;   Parent Loop BB7_5 Depth=1
                                        ;     Parent Loop BB7_129 Depth=2
                                        ; =>    This Inner Loop Header: Depth=3
	v_ashrrev_i32_e32 v19, 31, v18
	v_lshlrev_b64 v[22:23], 2, v[18:19]
	v_mov_b32_e32 v19, s79
	v_add_co_u32_e32 v24, vcc, s78, v22
	v_addc_co_u32_e32 v25, vcc, v19, v23, vcc
	global_load_dwordx2 v[24:25], v[24:25], off
	v_add_u32_e32 v20, -2, v20
	v_cmp_eq_u32_e32 vcc, 0, v20
	v_mov_b32_e32 v19, s59
	s_or_b64 s[62:63], vcc, s[62:63]
	v_add_co_u32_e32 v22, vcc, s58, v22
	v_addc_co_u32_e32 v23, vcc, v19, v23, vcc
	v_add_u32_e32 v18, 2, v18
	s_waitcnt vmcnt(0)
	global_store_dwordx2 v[22:23], v[24:25], off
	s_andn2_b64 exec, exec, s[62:63]
	s_cbranch_execnz .LBB7_141
; %bb.142:                              ;   in Loop: Header=BB7_129 Depth=2
	s_or_b64 exec, exec, s[62:63]
	v_cmp_ne_u32_e32 vcc, v13, v17
	v_add_u32_e32 v16, v16, v17
	s_orn2_b64 s[62:63], vcc, exec
.LBB7_143:                              ;   in Loop: Header=BB7_129 Depth=2
	s_or_b64 exec, exec, s[60:61]
	s_and_b64 exec, exec, s[62:63]
	s_cbranch_execz .LBB7_127
; %bb.144:                              ;   in Loop: Header=BB7_129 Depth=2
	v_ashrrev_i32_e32 v17, 31, v16
	v_lshlrev_b64 v[20:21], 2, v[16:17]
	v_mov_b32_e32 v13, s79
	v_add_co_u32_e32 v18, vcc, s78, v20
	v_addc_co_u32_e32 v19, vcc, v13, v21, vcc
	v_mov_b32_e32 v13, s59
	v_add_co_u32_e32 v20, vcc, s58, v20
	v_addc_co_u32_e32 v21, vcc, v13, v21, vcc
	s_mov_b64 s[60:61], 0
.LBB7_145:                              ;   Parent Loop BB7_5 Depth=1
                                        ;     Parent Loop BB7_129 Depth=2
                                        ; =>    This Inner Loop Header: Depth=3
	global_load_dword v13, v[18:19], off
	v_add_co_u32_e32 v18, vcc, 4, v18
	v_add_u32_e32 v16, 1, v16
	v_addc_co_u32_e32 v19, vcc, 0, v19, vcc
	v_cmp_ge_i32_e32 vcc, v16, v8
	s_or_b64 s[60:61], vcc, s[60:61]
	s_waitcnt vmcnt(0)
	global_store_dword v[20:21], v13, off
	v_add_co_u32_e32 v20, vcc, 4, v20
	v_addc_co_u32_e32 v21, vcc, 0, v21, vcc
	s_andn2_b64 exec, exec, s[60:61]
	s_cbranch_execnz .LBB7_145
	s_branch .LBB7_127
.LBB7_146:                              ;   in Loop: Header=BB7_5 Depth=1
	s_or_b64 exec, exec, s[28:29]
	s_mov_b64 s[84:85], -1
	s_mov_b64 s[28:29], -1
	s_and_b64 vcc, exec, s[64:65]
	s_cbranch_vccz .LBB7_156
; %bb.147:                              ;   in Loop: Header=BB7_5 Depth=1
	v_readlane_b32 s60, v38, 12
	v_readlane_b32 s61, v38, 13
	s_and_b64 vcc, exec, s[60:61]
                                        ; implicit-def: $sgpr60_sgpr61
	s_cbranch_vccz .LBB7_153
; %bb.148:                              ;   in Loop: Header=BB7_5 Depth=1
	v_readlane_b32 s60, v38, 6
	v_readlane_b32 s61, v38, 7
	s_and_b64 vcc, exec, s[60:61]
                                        ; implicit-def: $sgpr60_sgpr61
	s_cbranch_vccz .LBB7_150
; %bb.149:                              ;   in Loop: Header=BB7_5 Depth=1
	v_cmp_ge_f32_e32 vcc, s68, v2
	s_mov_b64 s[28:29], 0
	s_and_b64 s[60:61], vcc, exec
.LBB7_150:                              ;   in Loop: Header=BB7_5 Depth=1
	s_andn2_b64 vcc, exec, s[28:29]
	s_cbranch_vccnz .LBB7_152
; %bb.151:                              ;   in Loop: Header=BB7_5 Depth=1
	v_cmp_ge_f32_e32 vcc, s68, v6
	s_andn2_b64 s[28:29], s[60:61], exec
	s_and_b64 s[60:61], vcc, exec
	s_or_b64 s[60:61], s[28:29], s[60:61]
.LBB7_152:                              ;   in Loop: Header=BB7_5 Depth=1
	s_mov_b64 s[28:29], 0
.LBB7_153:                              ;   in Loop: Header=BB7_5 Depth=1
	s_andn2_b64 vcc, exec, s[28:29]
	s_cbranch_vccnz .LBB7_155
; %bb.154:                              ;   in Loop: Header=BB7_5 Depth=1
	v_cmp_ge_f32_e32 vcc, s68, v6
	v_cmp_ge_f32_e64 s[28:29], s68, v2
	s_and_b64 s[28:29], vcc, s[28:29]
	s_andn2_b64 s[60:61], s[60:61], exec
	s_and_b64 s[28:29], s[28:29], exec
	s_or_b64 s[60:61], s[60:61], s[28:29]
.LBB7_155:                              ;   in Loop: Header=BB7_5 Depth=1
	s_xor_b64 s[28:29], s[60:61], -1
.LBB7_156:                              ;   in Loop: Header=BB7_5 Depth=1
	v_mov_b32_e32 v8, s33
	s_and_saveexec_b64 s[60:61], s[28:29]
	s_cbranch_execz .LBB7_4
; %bb.157:                              ;   in Loop: Header=BB7_5 Depth=1
	v_readlane_b32 s28, v38, 0
	s_add_i32 s33, s33, 1
	v_readlane_b32 s29, v38, 1
	s_cmp_eq_u32 s33, s29
	s_mov_b32 s1, s29
	s_cselect_b64 s[28:29], -1, 0
	v_mov_b32_e32 v8, s1
	s_orn2_b64 s[84:85], s[28:29], exec
	s_branch .LBB7_4
.LBB7_158:
	s_or_b64 exec, exec, s[80:81]
	v_readlane_b32 s16, v38, 10
	v_readlane_b32 s17, v38, 11
	s_load_dwordx4 s[20:23], s[16:17], 0xb8
	v_readlane_b32 s2, v38, 2
	v_readlane_b32 s3, v38, 3
	s_or_b64 exec, exec, s[2:3]
	s_andn2_b64 vcc, exec, s[64:65]
	s_cbranch_vccnz .LBB7_2
.LBB7_159:
	s_movk_i32 s0, 0x200
	v_or_b32_e32 v3, 0x1000, v1
	v_cmp_gt_u32_e32 vcc, s0, v0
	ds_write_b32 v1, v8 offset:4096
	s_waitcnt lgkmcnt(0)
	s_barrier
	s_and_saveexec_b64 s[0:1], vcc
	s_cbranch_execz .LBB7_161
; %bb.160:
	ds_read2st64_b32 v[4:5], v3 offset1:8
	s_waitcnt lgkmcnt(0)
	v_max_i32_e32 v1, v4, v5
	ds_write_b32 v3, v1
.LBB7_161:
	s_or_b64 exec, exec, s[0:1]
	s_movk_i32 s0, 0x100
	v_cmp_gt_u32_e32 vcc, s0, v0
	s_waitcnt lgkmcnt(0)
	s_barrier
	s_and_saveexec_b64 s[0:1], vcc
	s_cbranch_execz .LBB7_163
; %bb.162:
	ds_read2st64_b32 v[4:5], v3 offset1:4
	s_waitcnt lgkmcnt(0)
	v_max_i32_e32 v1, v4, v5
	ds_write_b32 v3, v1
.LBB7_163:
	s_or_b64 exec, exec, s[0:1]
	s_movk_i32 s0, 0x80
	v_cmp_gt_u32_e32 vcc, s0, v0
	s_waitcnt lgkmcnt(0)
	s_barrier
	s_and_saveexec_b64 s[0:1], vcc
	s_cbranch_execz .LBB7_165
; %bb.164:
	ds_read2st64_b32 v[4:5], v3 offset1:2
	s_waitcnt lgkmcnt(0)
	v_max_i32_e32 v1, v4, v5
	ds_write_b32 v3, v1
.LBB7_165:
	s_or_b64 exec, exec, s[0:1]
	v_cmp_gt_u32_e32 vcc, 64, v0
	s_waitcnt lgkmcnt(0)
	s_barrier
	s_and_saveexec_b64 s[0:1], vcc
	s_cbranch_execz .LBB7_167
; %bb.166:
	ds_read2st64_b32 v[4:5], v3 offset1:1
	s_waitcnt lgkmcnt(0)
	v_max_i32_e32 v1, v4, v5
	ds_write_b32 v3, v1
.LBB7_167:
	s_or_b64 exec, exec, s[0:1]
	v_cmp_gt_u32_e32 vcc, 32, v0
	s_waitcnt lgkmcnt(0)
	s_barrier
	s_and_saveexec_b64 s[0:1], vcc
	s_cbranch_execz .LBB7_169
; %bb.168:
	ds_read2_b32 v[4:5], v3 offset1:32
	s_waitcnt lgkmcnt(0)
	v_max_i32_e32 v1, v4, v5
	ds_write_b32 v3, v1
.LBB7_169:
	s_or_b64 exec, exec, s[0:1]
	v_cmp_gt_u32_e32 vcc, 16, v0
	s_waitcnt lgkmcnt(0)
	s_barrier
	s_and_saveexec_b64 s[0:1], vcc
	s_cbranch_execz .LBB7_171
; %bb.170:
	ds_read2_b32 v[4:5], v3 offset1:16
	s_waitcnt lgkmcnt(0)
	v_max_i32_e32 v1, v4, v5
	ds_write_b32 v3, v1
.LBB7_171:
	;; [unrolled: 12-line block ×5, first 2 shown]
	s_or_b64 exec, exec, s[0:1]
	v_cmp_eq_u32_e32 vcc, 0, v0
	s_waitcnt lgkmcnt(0)
	s_barrier
	s_and_saveexec_b64 s[0:1], vcc
	s_cbranch_execz .LBB7_179
; %bb.178:
	v_mov_b32_e32 v1, 0
	ds_read_b64 v[4:5], v1 offset:4096
	s_waitcnt lgkmcnt(0)
	v_max_i32_e32 v3, v4, v5
	ds_write_b32 v1, v3 offset:4096
.LBB7_179:
	s_or_b64 exec, exec, s[0:1]
	s_waitcnt lgkmcnt(0)
	s_barrier
	s_and_saveexec_b64 s[0:1], vcc
	s_cbranch_execz .LBB7_182
; %bb.180:
	v_mbcnt_lo_u32_b32 v1, exec_lo, 0
	v_mbcnt_hi_u32_b32 v1, exec_hi, v1
	v_cmp_eq_u32_e32 vcc, 0, v1
	s_and_b64 exec, exec, vcc
	s_cbranch_execz .LBB7_182
; %bb.181:
	v_mov_b32_e32 v1, 0
	ds_read_b32 v3, v1 offset:4096
	s_load_dwordx2 s[2:3], s[16:17], 0x8
	s_waitcnt lgkmcnt(0)
	v_add_u32_e32 v3, 1, v3
	global_atomic_smax v1, v3, s[2:3]
.LBB7_182:
	s_or_b64 exec, exec, s[0:1]
	v_cmp_eq_u32_e32 vcc, 0, v0
	s_and_b64 s[0:1], vcc, s[34:35]
	s_and_saveexec_b64 s[4:5], s[0:1]
	s_cbranch_execz .LBB7_187
.LBB7_183:
	v_mov_b32_e32 v0, 0
	s_waitcnt lgkmcnt(0)
	global_load_dword v7, v0, s[20:21] glc
	s_brev_b32 s2, 1
	v_cmp_eq_f32_e64 s[0:1], 0, v6
	s_mov_b64 s[6:7], 0
                                        ; implicit-def: $sgpr8_sgpr9
                                        ; implicit-def: $sgpr12_sgpr13
	s_waitcnt vmcnt(0)
	v_cmp_eq_u32_e64 s[10:11], s2, v7
	s_branch .LBB7_185
.LBB7_184:                              ;   in Loop: Header=BB7_185 Depth=1
	s_or_b64 exec, exec, s[14:15]
	s_and_b64 s[2:3], exec, s[8:9]
	s_or_b64 s[6:7], s[2:3], s[6:7]
	s_andn2_b64 s[2:3], s[10:11], exec
	s_and_b64 s[10:11], s[12:13], exec
	s_or_b64 s[10:11], s[2:3], s[10:11]
	s_andn2_b64 exec, exec, s[6:7]
	s_cbranch_execz .LBB7_187
.LBB7_185:                              ; =>This Inner Loop Header: Depth=1
	v_cmp_lt_f32_e64 s[2:3], v7, v6
	s_and_b64 s[14:15], s[0:1], s[10:11]
	s_or_b64 s[2:3], s[2:3], s[14:15]
	s_andn2_b64 s[12:13], s[12:13], exec
	s_or_b64 s[8:9], s[8:9], exec
	s_and_saveexec_b64 s[14:15], s[2:3]
	s_cbranch_execz .LBB7_184
; %bb.186:                              ;   in Loop: Header=BB7_185 Depth=1
	global_atomic_cmpswap v1, v0, v[6:7], s[20:21] glc
	s_andn2_b64 s[12:13], s[12:13], exec
	s_andn2_b64 s[8:9], s[8:9], exec
                                        ; implicit-def: $sgpr10_sgpr11
	s_waitcnt vmcnt(0)
	v_cmp_eq_u32_e64 s[2:3], v1, v7
	v_cndmask_b32_e64 v3, v1, v7, s[2:3]
	v_cmp_class_f32_e64 s[16:17], v3, 32
	s_and_b64 s[2:3], s[2:3], exec
	s_and_b64 s[16:17], s[16:17], exec
	s_or_b64 s[8:9], s[8:9], s[2:3]
	s_or_b64 s[12:13], s[12:13], s[16:17]
	v_mov_b32_e32 v7, v1
	s_branch .LBB7_184
.LBB7_187:
	s_or_b64 exec, exec, s[4:5]
	s_and_b64 s[0:1], vcc, s[30:31]
	s_and_saveexec_b64 s[2:3], s[0:1]
	s_cbranch_execz .LBB7_192
; %bb.188:
	v_mov_b32_e32 v0, 0
	s_waitcnt lgkmcnt(0)
	global_load_dword v3, v0, s[22:23] glc
	s_brev_b32 s0, 1
	v_cmp_eq_f32_e32 vcc, 0, v2
	s_mov_b64 s[2:3], 0
                                        ; implicit-def: $sgpr4_sgpr5
                                        ; implicit-def: $sgpr8_sgpr9
	s_waitcnt vmcnt(0)
	v_cmp_eq_u32_e64 s[6:7], s0, v3
	s_branch .LBB7_190
.LBB7_189:                              ;   in Loop: Header=BB7_190 Depth=1
	s_or_b64 exec, exec, s[10:11]
	s_and_b64 s[0:1], exec, s[4:5]
	s_or_b64 s[2:3], s[0:1], s[2:3]
	s_andn2_b64 s[0:1], s[6:7], exec
	s_and_b64 s[6:7], s[8:9], exec
	s_or_b64 s[6:7], s[0:1], s[6:7]
	s_andn2_b64 exec, exec, s[2:3]
	s_cbranch_execz .LBB7_192
.LBB7_190:                              ; =>This Inner Loop Header: Depth=1
	v_cmp_lt_f32_e64 s[0:1], v3, v2
	s_and_b64 s[10:11], vcc, s[6:7]
	s_or_b64 s[0:1], s[0:1], s[10:11]
	s_andn2_b64 s[8:9], s[8:9], exec
	s_or_b64 s[4:5], s[4:5], exec
	s_and_saveexec_b64 s[10:11], s[0:1]
	s_cbranch_execz .LBB7_189
; %bb.191:                              ;   in Loop: Header=BB7_190 Depth=1
	global_atomic_cmpswap v1, v0, v[2:3], s[22:23] glc
	s_andn2_b64 s[8:9], s[8:9], exec
	s_andn2_b64 s[4:5], s[4:5], exec
                                        ; implicit-def: $sgpr6_sgpr7
	s_waitcnt vmcnt(0)
	v_cmp_eq_u32_e64 s[0:1], v1, v3
	v_cndmask_b32_e64 v3, v1, v3, s[0:1]
	v_cmp_class_f32_e64 s[12:13], v3, 32
	s_and_b64 s[0:1], s[0:1], exec
	s_and_b64 s[12:13], s[12:13], exec
	s_or_b64 s[4:5], s[4:5], s[0:1]
	s_or_b64 s[8:9], s[8:9], s[12:13]
	v_mov_b32_e32 v3, v1
	s_branch .LBB7_189
.LBB7_192:
	s_endpgm
	.section	.rodata,"a",@progbits
	.p2align	6, 0x0
	.amdhsa_kernel _ZN9rocsparseL6kernelILi1024ELi1EfiiEEvbbbT3_PS1_NS_15floating_traitsIT1_E6data_tES1_T2_PKS7_S9_PKS1_PKS4_21rocsparse_index_base_S9_S9_SB_PS4_SF_SE_S9_S9_SB_SF_SF_SE_SF_SF_PS6_SG_PKS6_
		.amdhsa_group_segment_fixed_size 8192
		.amdhsa_private_segment_fixed_size 0
		.amdhsa_kernarg_size 208
		.amdhsa_user_sgpr_count 6
		.amdhsa_user_sgpr_private_segment_buffer 1
		.amdhsa_user_sgpr_dispatch_ptr 0
		.amdhsa_user_sgpr_queue_ptr 0
		.amdhsa_user_sgpr_kernarg_segment_ptr 1
		.amdhsa_user_sgpr_dispatch_id 0
		.amdhsa_user_sgpr_flat_scratch_init 0
		.amdhsa_user_sgpr_kernarg_preload_length 0
		.amdhsa_user_sgpr_kernarg_preload_offset 0
		.amdhsa_user_sgpr_private_segment_size 0
		.amdhsa_uses_dynamic_stack 0
		.amdhsa_system_sgpr_private_segment_wavefront_offset 0
		.amdhsa_system_sgpr_workgroup_id_x 1
		.amdhsa_system_sgpr_workgroup_id_y 0
		.amdhsa_system_sgpr_workgroup_id_z 0
		.amdhsa_system_sgpr_workgroup_info 0
		.amdhsa_system_vgpr_workitem_id 0
		.amdhsa_next_free_vgpr 39
		.amdhsa_next_free_sgpr 96
		.amdhsa_accum_offset 40
		.amdhsa_reserve_vcc 1
		.amdhsa_reserve_flat_scratch 0
		.amdhsa_float_round_mode_32 0
		.amdhsa_float_round_mode_16_64 0
		.amdhsa_float_denorm_mode_32 3
		.amdhsa_float_denorm_mode_16_64 3
		.amdhsa_dx10_clamp 1
		.amdhsa_ieee_mode 1
		.amdhsa_fp16_overflow 0
		.amdhsa_tg_split 0
		.amdhsa_exception_fp_ieee_invalid_op 0
		.amdhsa_exception_fp_denorm_src 0
		.amdhsa_exception_fp_ieee_div_zero 0
		.amdhsa_exception_fp_ieee_overflow 0
		.amdhsa_exception_fp_ieee_underflow 0
		.amdhsa_exception_fp_ieee_inexact 0
		.amdhsa_exception_int_div_zero 0
	.end_amdhsa_kernel
	.section	.text._ZN9rocsparseL6kernelILi1024ELi1EfiiEEvbbbT3_PS1_NS_15floating_traitsIT1_E6data_tES1_T2_PKS7_S9_PKS1_PKS4_21rocsparse_index_base_S9_S9_SB_PS4_SF_SE_S9_S9_SB_SF_SF_SE_SF_SF_PS6_SG_PKS6_,"axG",@progbits,_ZN9rocsparseL6kernelILi1024ELi1EfiiEEvbbbT3_PS1_NS_15floating_traitsIT1_E6data_tES1_T2_PKS7_S9_PKS1_PKS4_21rocsparse_index_base_S9_S9_SB_PS4_SF_SE_S9_S9_SB_SF_SF_SE_SF_SF_PS6_SG_PKS6_,comdat
.Lfunc_end7:
	.size	_ZN9rocsparseL6kernelILi1024ELi1EfiiEEvbbbT3_PS1_NS_15floating_traitsIT1_E6data_tES1_T2_PKS7_S9_PKS1_PKS4_21rocsparse_index_base_S9_S9_SB_PS4_SF_SE_S9_S9_SB_SF_SF_SE_SF_SF_PS6_SG_PKS6_, .Lfunc_end7-_ZN9rocsparseL6kernelILi1024ELi1EfiiEEvbbbT3_PS1_NS_15floating_traitsIT1_E6data_tES1_T2_PKS7_S9_PKS1_PKS4_21rocsparse_index_base_S9_S9_SB_PS4_SF_SE_S9_S9_SB_SF_SF_SE_SF_SF_PS6_SG_PKS6_
                                        ; -- End function
	.section	.AMDGPU.csdata,"",@progbits
; Kernel info:
; codeLenInByte = 5924
; NumSgprs: 100
; NumVgprs: 39
; NumAgprs: 0
; TotalNumVgprs: 39
; ScratchSize: 0
; MemoryBound: 0
; FloatMode: 240
; IeeeMode: 1
; LDSByteSize: 8192 bytes/workgroup (compile time only)
; SGPRBlocks: 12
; VGPRBlocks: 4
; NumSGPRsForWavesPerEU: 100
; NumVGPRsForWavesPerEU: 39
; AccumOffset: 40
; Occupancy: 8
; WaveLimiterHint : 1
; COMPUTE_PGM_RSRC2:SCRATCH_EN: 0
; COMPUTE_PGM_RSRC2:USER_SGPR: 6
; COMPUTE_PGM_RSRC2:TRAP_HANDLER: 0
; COMPUTE_PGM_RSRC2:TGID_X_EN: 1
; COMPUTE_PGM_RSRC2:TGID_Y_EN: 0
; COMPUTE_PGM_RSRC2:TGID_Z_EN: 0
; COMPUTE_PGM_RSRC2:TIDIG_COMP_CNT: 0
; COMPUTE_PGM_RSRC3_GFX90A:ACCUM_OFFSET: 9
; COMPUTE_PGM_RSRC3_GFX90A:TG_SPLIT: 0
	.section	.text._ZN9rocsparseL6kernelILi1024ELi2EfiiEEvbbbT3_PS1_NS_15floating_traitsIT1_E6data_tES1_T2_PKS7_S9_PKS1_PKS4_21rocsparse_index_base_S9_S9_SB_PS4_SF_SE_S9_S9_SB_SF_SF_SE_SF_SF_PS6_SG_PKS6_,"axG",@progbits,_ZN9rocsparseL6kernelILi1024ELi2EfiiEEvbbbT3_PS1_NS_15floating_traitsIT1_E6data_tES1_T2_PKS7_S9_PKS1_PKS4_21rocsparse_index_base_S9_S9_SB_PS4_SF_SE_S9_S9_SB_SF_SF_SE_SF_SF_PS6_SG_PKS6_,comdat
	.globl	_ZN9rocsparseL6kernelILi1024ELi2EfiiEEvbbbT3_PS1_NS_15floating_traitsIT1_E6data_tES1_T2_PKS7_S9_PKS1_PKS4_21rocsparse_index_base_S9_S9_SB_PS4_SF_SE_S9_S9_SB_SF_SF_SE_SF_SF_PS6_SG_PKS6_ ; -- Begin function _ZN9rocsparseL6kernelILi1024ELi2EfiiEEvbbbT3_PS1_NS_15floating_traitsIT1_E6data_tES1_T2_PKS7_S9_PKS1_PKS4_21rocsparse_index_base_S9_S9_SB_PS4_SF_SE_S9_S9_SB_SF_SF_SE_SF_SF_PS6_SG_PKS6_
	.p2align	8
	.type	_ZN9rocsparseL6kernelILi1024ELi2EfiiEEvbbbT3_PS1_NS_15floating_traitsIT1_E6data_tES1_T2_PKS7_S9_PKS1_PKS4_21rocsparse_index_base_S9_S9_SB_PS4_SF_SE_S9_S9_SB_SF_SF_SE_SF_SF_PS6_SG_PKS6_,@function
_ZN9rocsparseL6kernelILi1024ELi2EfiiEEvbbbT3_PS1_NS_15floating_traitsIT1_E6data_tES1_T2_PKS7_S9_PKS1_PKS4_21rocsparse_index_base_S9_S9_SB_PS4_SF_SE_S9_S9_SB_SF_SF_SE_SF_SF_PS6_SG_PKS6_: ; @_ZN9rocsparseL6kernelILi1024ELi2EfiiEEvbbbT3_PS1_NS_15floating_traitsIT1_E6data_tES1_T2_PKS7_S9_PKS1_PKS4_21rocsparse_index_base_S9_S9_SB_PS4_SF_SE_S9_S9_SB_SF_SF_SE_SF_SF_PS6_SG_PKS6_
; %bb.0:
	s_load_dword s0, s[4:5], 0x0
	s_load_dwordx2 s[10:11], s[4:5], 0x0
	s_load_dwordx2 s[72:73], s[4:5], 0x10
	s_load_dwordx4 s[20:23], s[4:5], 0xb8
	v_lshrrev_b32_e32 v3, 1, v0
	s_waitcnt lgkmcnt(0)
	s_bitcmp1_b32 s0, 0
	s_cselect_b64 s[68:69], -1, 0
	s_bitcmp1_b32 s0, 8
	s_cselect_b64 s[34:35], -1, 0
	;; [unrolled: 2-line block ×3, first 2 shown]
	s_lshl_b32 s9, s6, 10
	v_or_b32_e32 v28, s9, v3
	s_cmp_gt_i32 s11, 0
	v_cmp_gt_i32_e32 vcc, s73, v28
	s_cselect_b64 s[0:1], -1, 0
	v_and_b32_e32 v5, 1, v0
	v_lshlrev_b32_e32 v1, 2, v0
	v_mov_b32_e32 v2, 0
	s_and_b64 s[0:1], s[0:1], vcc
	s_mov_b32 s33, 0
	v_mov_b32_e32 v4, 0
	v_mov_b32_e32 v6, 0
	ds_write_b32 v1, v2
	s_waitcnt lgkmcnt(0)
	s_barrier
	s_and_saveexec_b64 s[2:3], s[0:1]
	s_cbranch_execnz .LBB8_3
; %bb.1:
	s_or_b64 exec, exec, s[2:3]
	s_andn2_b64 vcc, exec, s[68:69]
	s_cbranch_vccz .LBB8_164
.LBB8_2:
	v_cmp_eq_u32_e32 vcc, 0, v0
	s_and_b64 s[0:1], vcc, s[34:35]
	s_and_saveexec_b64 s[4:5], s[0:1]
	s_cbranch_execnz .LBB8_188
	s_branch .LBB8_192
.LBB8_3:
	s_load_dwordx2 s[0:1], s[4:5], 0xc8
                                        ; implicit-def: $vgpr48 : SGPR spill to VGPR lane
	s_load_dwordx4 s[64:67], s[4:5], 0xa8
	s_load_dwordx8 s[36:43], s[4:5], 0x78
	s_load_dwordx8 s[44:51], s[4:5], 0x48
	;; [unrolled: 1-line block ×3, first 2 shown]
	v_writelane_b32 v48, s2, 0
	v_writelane_b32 v48, s3, 1
	s_load_dword s6, s[4:5], 0x40
	s_load_dwordx2 s[80:81], s[4:5], 0x68
	s_load_dword s7, s[4:5], 0x70
	s_load_dwordx2 s[82:83], s[4:5], 0x98
	s_waitcnt lgkmcnt(0)
	v_writelane_b32 v48, s0, 2
	v_writelane_b32 v48, s1, 3
	s_xor_b64 s[0:1], s[34:35], -1
	v_writelane_b32 v48, s0, 4
	v_writelane_b32 v48, s1, 5
	;; [unrolled: 1-line block ×3, first 2 shown]
	s_addk_i32 s9, 0x400
	v_writelane_b32 v48, s5, 7
	v_cmp_gt_u32_e64 s[0:1], s9, v28
	v_writelane_b32 v48, s0, 8
	v_writelane_b32 v48, s1, 9
	v_cmp_ne_u32_e64 s[0:1], 0, v5
	v_writelane_b32 v48, s0, 10
	v_writelane_b32 v48, s1, 11
	s_movk_i32 s0, 0x100
	v_cmp_gt_u32_e64 s[0:1], s0, v0
	v_writelane_b32 v48, s0, 12
	s_load_dword s8, s[4:5], 0xa0
	v_writelane_b32 v48, s1, 13
	s_movk_i32 s0, 0x80
	v_cmp_gt_u32_e64 s[0:1], s0, v0
	v_writelane_b32 v48, s0, 14
	v_writelane_b32 v48, s1, 15
	s_and_b64 s[0:1], s[34:35], s[30:31]
	s_xor_b64 s[0:1], s[0:1], -1
	v_not_b32_e32 v2, v5
	v_or_b32_e32 v4, 2, v5
	v_subrev_u32_e32 v29, s6, v5
	v_cmp_eq_u32_e64 s[2:3], 0, v5
	v_lshlrev_b32_e32 v30, 2, v3
	v_cmp_gt_u32_e64 s[12:13], 64, v0
	v_cmp_gt_u32_e64 s[14:15], 32, v0
	;; [unrolled: 1-line block ×6, first 2 shown]
	v_cmp_eq_u32_e64 s[24:25], 0, v0
	v_subrev_u32_e32 v31, s7, v5
	s_waitcnt lgkmcnt(0)
	v_subrev_u32_e32 v32, s8, v5
	v_writelane_b32 v48, s0, 16
	v_add_u32_e32 v33, s8, v2
	v_subrev_u32_e32 v34, s8, v4
	v_add_u32_e32 v35, s7, v2
	v_subrev_u32_e32 v36, s7, v4
	s_mov_b64 s[86:87], 0
	v_mov_b32_e32 v7, 0
	s_movk_i32 s10, 0x1f8
	v_mov_b32_e32 v37, 0
	v_mov_b32_e32 v4, 0
	;; [unrolled: 1-line block ×3, first 2 shown]
	v_writelane_b32 v48, s1, 17
	s_branch .LBB8_5
.LBB8_4:                                ;   in Loop: Header=BB8_5 Depth=1
	s_or_b64 exec, exec, s[0:1]
	s_and_b64 s[0:1], exec, s[28:29]
	s_or_b64 s[86:87], s[0:1], s[86:87]
	s_andn2_b64 exec, exec, s[86:87]
	s_cbranch_execz .LBB8_163
.LBB8_5:                                ; =>This Loop Header: Depth=1
                                        ;     Child Loop BB8_9 Depth 2
                                        ;       Child Loop BB8_14 Depth 3
                                        ;         Child Loop BB8_18 Depth 4
                                        ;         Child Loop BB8_39 Depth 4
	;; [unrolled: 1-line block ×5, first 2 shown]
                                        ;     Child Loop BB8_132 Depth 2
                                        ;       Child Loop BB8_136 Depth 3
                                        ;       Child Loop BB8_140 Depth 3
                                        ;       Child Loop BB8_144 Depth 3
                                        ;       Child Loop BB8_148 Depth 3
	v_cndmask_b32_e64 v4, v4, 0, s[34:35]
	v_cndmask_b32_e64 v2, v2, 0, s[30:31]
	s_mov_b64 s[88:89], -1
	s_mov_b32 s0, 0
	s_branch .LBB8_9
.LBB8_6:                                ;   in Loop: Header=BB8_9 Depth=2
	s_or_b64 exec, exec, s[94:95]
.LBB8_7:                                ;   in Loop: Header=BB8_9 Depth=2
	s_or_b64 exec, exec, s[92:93]
.LBB8_8:                                ;   in Loop: Header=BB8_9 Depth=2
	s_or_b64 exec, exec, s[90:91]
	s_xor_b64 s[4:5], s[88:89], -1
	s_movk_i32 s0, 0x200
	s_mov_b64 s[88:89], 0
	s_and_b64 vcc, exec, s[4:5]
	s_cbranch_vccnz .LBB8_85
.LBB8_9:                                ;   Parent Loop BB8_5 Depth=1
                                        ; =>  This Loop Header: Depth=2
                                        ;       Child Loop BB8_14 Depth 3
                                        ;         Child Loop BB8_18 Depth 4
                                        ;         Child Loop BB8_39 Depth 4
	;; [unrolled: 1-line block ×5, first 2 shown]
	v_or_b32_e32 v8, s0, v28
	v_cmp_gt_i32_e32 vcc, s73, v8
	s_and_saveexec_b64 s[90:91], vcc
	s_cbranch_execz .LBB8_8
; %bb.10:                               ;   in Loop: Header=BB8_9 Depth=2
	v_ashrrev_i32_e32 v9, 31, v8
	v_lshlrev_b64 v[12:13], 2, v[8:9]
	v_mov_b32_e32 v6, s53
	v_add_co_u32_e32 v10, vcc, s52, v12
	v_addc_co_u32_e32 v11, vcc, v6, v13, vcc
	global_load_dword v6, v[10:11], off
	v_mov_b32_e32 v9, s55
	v_add_co_u32_e32 v10, vcc, s54, v12
	v_addc_co_u32_e32 v11, vcc, v9, v13, vcc
	global_load_dword v9, v[10:11], off
	s_waitcnt vmcnt(1)
	v_add_u32_e32 v10, v29, v6
	s_waitcnt vmcnt(0)
	v_subrev_u32_e32 v9, s6, v9
	v_cmp_lt_i32_e32 vcc, v10, v9
	s_and_saveexec_b64 s[92:93], vcc
	s_cbranch_execz .LBB8_7
; %bb.11:                               ;   in Loop: Header=BB8_9 Depth=2
	v_mov_b32_e32 v6, s47
	v_add_co_u32_e32 v14, vcc, s46, v12
	v_addc_co_u32_e32 v15, vcc, v6, v13, vcc
	v_mov_b32_e32 v6, s45
	v_add_co_u32_e32 v12, vcc, s44, v12
	v_addc_co_u32_e32 v13, vcc, v6, v13, vcc
	global_load_dword v6, v[12:13], off
	global_load_dword v11, v[14:15], off
	v_mov_b32_e32 v16, s49
	v_mov_b32_e32 v17, s51
	s_mov_b64 s[94:95], 0
	s_waitcnt vmcnt(1)
	v_subrev_u32_e32 v12, s7, v6
	v_ashrrev_i32_e32 v13, 31, v12
	v_lshlrev_b64 v[14:15], 2, v[12:13]
	v_add_co_u32_e32 v13, vcc, s48, v14
	v_addc_co_u32_e32 v39, vcc, v16, v15, vcc
	s_waitcnt vmcnt(0)
	v_sub_u32_e32 v38, v11, v6
	v_add_co_u32_e32 v40, vcc, s50, v14
	v_cmp_lt_i32_e64 s[26:27], 0, v38
	v_addc_co_u32_e32 v41, vcc, v17, v15, vcc
	s_branch .LBB8_14
.LBB8_12:                               ;   in Loop: Header=BB8_14 Depth=3
	s_or_b64 exec, exec, s[0:1]
.LBB8_13:                               ;   in Loop: Header=BB8_14 Depth=3
	s_or_b64 exec, exec, s[28:29]
	v_add_u32_e32 v10, 2, v10
	v_cmp_ge_i32_e32 vcc, v10, v9
	s_or_b64 s[94:95], vcc, s[94:95]
	s_andn2_b64 exec, exec, s[94:95]
	s_cbranch_execz .LBB8_6
.LBB8_14:                               ;   Parent Loop BB8_5 Depth=1
                                        ;     Parent Loop BB8_9 Depth=2
                                        ; =>    This Loop Header: Depth=3
                                        ;         Child Loop BB8_18 Depth 4
                                        ;         Child Loop BB8_39 Depth 4
	;; [unrolled: 1-line block ×5, first 2 shown]
	v_ashrrev_i32_e32 v11, 31, v10
	v_lshlrev_b64 v[22:23], 2, v[10:11]
	v_mov_b32_e32 v6, s57
	v_add_co_u32_e32 v14, vcc, s56, v22
	v_addc_co_u32_e32 v15, vcc, v6, v23, vcc
	global_load_dword v6, v[14:15], off
	v_mov_b32_e32 v11, s37
	v_mov_b32_e32 v21, s39
	s_waitcnt vmcnt(0)
	v_subrev_u32_e32 v16, s6, v6
	v_ashrrev_i32_e32 v17, 31, v16
	v_lshlrev_b64 v[14:15], 2, v[16:17]
	v_add_co_u32_e32 v18, vcc, s36, v14
	v_addc_co_u32_e32 v19, vcc, v11, v15, vcc
	v_add_co_u32_e32 v20, vcc, s38, v14
	v_addc_co_u32_e32 v21, vcc, v21, v15, vcc
	global_load_dword v6, v[18:19], off
	global_load_dword v17, v[20:21], off
	v_mov_b32_e32 v11, 0
	v_mov_b32_e32 v20, 0
	s_waitcnt vmcnt(1)
	v_subrev_u32_e32 v18, s8, v6
	s_waitcnt vmcnt(0)
	v_sub_u32_e32 v42, v17, v6
	v_mov_b32_e32 v6, 0
	s_and_saveexec_b64 s[28:29], s[26:27]
	s_cbranch_execz .LBB8_22
; %bb.15:                               ;   in Loop: Header=BB8_14 Depth=3
	v_ashrrev_i32_e32 v19, 31, v18
	v_lshlrev_b64 v[20:21], 2, v[18:19]
	v_mov_b32_e32 v6, s41
	v_add_co_u32_e32 v17, vcc, s40, v20
	v_addc_co_u32_e32 v19, vcc, v6, v21, vcc
	v_mov_b32_e32 v6, s43
	v_add_co_u32_e32 v43, vcc, s42, v20
	v_addc_co_u32_e32 v44, vcc, v6, v21, vcc
	v_mov_b32_e32 v6, 0
	s_mov_b64 s[60:61], 0
	v_mov_b32_e32 v11, 0
	v_mov_b32_e32 v20, v6
                                        ; implicit-def: $sgpr62_sgpr63
	s_branch .LBB8_18
.LBB8_16:                               ;   in Loop: Header=BB8_18 Depth=4
	s_or_b64 exec, exec, s[70:71]
	v_cmp_le_i32_e32 vcc, v21, v45
	v_addc_co_u32_e32 v6, vcc, 0, v6, vcc
	v_cmp_ge_i32_e32 vcc, v21, v45
	v_addc_co_u32_e32 v20, vcc, 0, v20, vcc
	v_cmp_ge_i32_e32 vcc, v6, v38
	s_andn2_b64 s[0:1], s[62:63], exec
	s_and_b64 s[62:63], vcc, exec
	s_or_b64 s[62:63], s[0:1], s[62:63]
.LBB8_17:                               ;   in Loop: Header=BB8_18 Depth=4
	s_or_b64 exec, exec, s[4:5]
	s_and_b64 s[0:1], exec, s[62:63]
	s_or_b64 s[60:61], s[0:1], s[60:61]
	s_andn2_b64 exec, exec, s[60:61]
	s_cbranch_execz .LBB8_21
.LBB8_18:                               ;   Parent Loop BB8_5 Depth=1
                                        ;     Parent Loop BB8_9 Depth=2
                                        ;       Parent Loop BB8_14 Depth=3
                                        ; =>      This Inner Loop Header: Depth=4
	v_cmp_lt_i32_e32 vcc, v20, v42
	s_or_b64 s[62:63], s[62:63], exec
	s_and_saveexec_b64 s[4:5], vcc
	s_cbranch_execz .LBB8_17
; %bb.19:                               ;   in Loop: Header=BB8_18 Depth=4
	v_lshlrev_b64 v[24:25], 2, v[6:7]
	v_add_co_u32_e32 v26, vcc, v13, v24
	v_addc_co_u32_e32 v27, vcc, v39, v25, vcc
	v_mov_b32_e32 v21, v7
	global_load_dword v45, v[26:27], off
	v_lshlrev_b64 v[26:27], 2, v[20:21]
	v_add_co_u32_e32 v46, vcc, v17, v26
	v_addc_co_u32_e32 v47, vcc, v19, v27, vcc
	global_load_dword v46, v[46:47], off
	s_waitcnt vmcnt(1)
	v_subrev_u32_e32 v21, s7, v45
	s_waitcnt vmcnt(0)
	v_subrev_u32_e32 v45, s8, v46
	v_cmp_eq_u32_e32 vcc, v21, v45
	s_and_saveexec_b64 s[70:71], vcc
	s_cbranch_execz .LBB8_16
; %bb.20:                               ;   in Loop: Header=BB8_18 Depth=4
	v_add_co_u32_e32 v24, vcc, v40, v24
	v_addc_co_u32_e32 v25, vcc, v41, v25, vcc
	v_add_co_u32_e32 v26, vcc, v43, v26
	v_addc_co_u32_e32 v27, vcc, v44, v27, vcc
	global_load_dword v24, v[24:25], off
	s_nop 0
	global_load_dword v25, v[26:27], off
	s_waitcnt vmcnt(0)
	v_fmac_f32_e32 v11, v24, v25
	s_branch .LBB8_16
.LBB8_21:                               ;   in Loop: Header=BB8_14 Depth=3
	s_or_b64 exec, exec, s[60:61]
.LBB8_22:                               ;   in Loop: Header=BB8_14 Depth=3
	s_or_b64 exec, exec, s[28:29]
	v_mov_b32_e32 v17, s59
	v_add_co_u32_e32 v22, vcc, s58, v22
	v_addc_co_u32_e32 v23, vcc, v17, v23, vcc
	global_load_dword v17, v[22:23], off
	v_cmp_le_i32_e64 s[28:29], v8, v16
	v_cmp_gt_i32_e32 vcc, v8, v16
	s_waitcnt vmcnt(0)
	v_sub_f32_e32 v19, v17, v11
	s_and_saveexec_b64 s[4:5], vcc
	s_cbranch_execnz .LBB8_25
; %bb.23:                               ;   in Loop: Header=BB8_14 Depth=3
	s_or_b64 exec, exec, s[4:5]
	v_cmp_class_f32_e64 s[74:75], v19, s10
	s_and_saveexec_b64 s[78:79], s[74:75]
	s_cbranch_execnz .LBB8_28
.LBB8_24:                               ;   in Loop: Header=BB8_14 Depth=3
	s_or_b64 exec, exec, s[78:79]
	s_and_b64 s[0:1], s[74:75], s[30:31]
	s_and_saveexec_b64 s[28:29], s[0:1]
	s_cbranch_execz .LBB8_13
	s_branch .LBB8_63
.LBB8_25:                               ;   in Loop: Header=BB8_14 Depth=3
	v_mov_b32_e32 v21, s65
	v_add_co_u32_e32 v22, vcc, s64, v14
	v_addc_co_u32_e32 v23, vcc, v21, v15, vcc
	global_load_dword v21, v[22:23], off
	v_mov_b32_e32 v22, 0
	s_waitcnt vmcnt(0)
	v_cmp_lg_f32_e32 vcc, 0, v21
	s_and_saveexec_b64 s[60:61], vcc
; %bb.26:                               ;   in Loop: Header=BB8_14 Depth=3
	v_div_scale_f32 v22, s[0:1], v21, v21, v19
	v_rcp_f32_e32 v23, v22
	v_div_scale_f32 v24, vcc, v19, v21, v19
	v_fma_f32 v25, -v22, v23, 1.0
	v_fmac_f32_e32 v23, v25, v23
	v_mul_f32_e32 v25, v24, v23
	v_fma_f32 v26, -v22, v25, v24
	v_fmac_f32_e32 v25, v26, v23
	v_fma_f32 v22, -v22, v25, v24
	v_div_fmas_f32 v22, v22, v23, v25
	v_div_fixup_f32 v22, v22, v21, v19
; %bb.27:                               ;   in Loop: Header=BB8_14 Depth=3
	s_or_b64 exec, exec, s[60:61]
	v_mov_b32_e32 v19, v22
	s_or_b64 exec, exec, s[4:5]
	v_cmp_class_f32_e64 s[74:75], v19, s10
	s_and_saveexec_b64 s[78:79], s[74:75]
	s_cbranch_execz .LBB8_24
.LBB8_28:                               ;   in Loop: Header=BB8_14 Depth=3
	s_and_saveexec_b64 s[0:1], s[28:29]
	s_xor_b64 s[28:29], exec, s[0:1]
	s_cbranch_execz .LBB8_49
; %bb.29:                               ;   in Loop: Header=BB8_14 Depth=3
	v_cmp_ge_i32_e32 vcc, v8, v16
	s_and_saveexec_b64 s[0:1], vcc
	s_xor_b64 s[4:5], exec, s[0:1]
	s_cbranch_execz .LBB8_35
; %bb.30:                               ;   in Loop: Header=BB8_14 Depth=3
	v_mov_b32_e32 v21, s67
	v_add_co_u32_e32 v22, vcc, s66, v14
	v_addc_co_u32_e32 v23, vcc, v21, v15, vcc
	s_andn2_b64 vcc, exec, s[34:35]
	global_store_dword v[22:23], v19, off
	s_cbranch_vccnz .LBB8_34
; %bb.31:                               ;   in Loop: Header=BB8_14 Depth=3
	v_mov_b32_e32 v21, s65
	v_add_co_u32_e32 v22, vcc, s64, v14
	v_addc_co_u32_e32 v23, vcc, v21, v15, vcc
	global_load_dword v21, v[22:23], off
	s_waitcnt vmcnt(0)
	v_sub_f32_e32 v19, v21, v19
	v_cmp_class_f32_e64 s[60:61], v19, s10
	s_and_saveexec_b64 s[0:1], s[60:61]
; %bb.32:                               ;   in Loop: Header=BB8_14 Depth=3
	v_cmp_lt_f32_e64 s[60:61], v4, |v19|
	v_cndmask_b32_e64 v4, v4, |v19|, s[60:61]
; %bb.33:                               ;   in Loop: Header=BB8_14 Depth=3
	s_or_b64 exec, exec, s[0:1]
.LBB8_34:                               ;   in Loop: Header=BB8_14 Depth=3
                                        ; implicit-def: $vgpr19
.LBB8_35:                               ;   in Loop: Header=BB8_14 Depth=3
	s_andn2_saveexec_b64 s[60:61], s[4:5]
	s_cbranch_execz .LBB8_48
; %bb.36:                               ;   in Loop: Header=BB8_14 Depth=3
	v_cmp_lt_i32_e32 vcc, v20, v42
	s_and_saveexec_b64 s[62:63], vcc
	s_cbranch_execz .LBB8_47
; %bb.37:                               ;   in Loop: Header=BB8_14 Depth=3
	s_mov_b64 s[76:77], 0
	v_mov_b32_e32 v21, v20
                                        ; implicit-def: $sgpr84_sgpr85
                                        ; implicit-def: $sgpr4_sgpr5
                                        ; implicit-def: $sgpr70_sgpr71
	s_branch .LBB8_39
.LBB8_38:                               ;   in Loop: Header=BB8_39 Depth=4
	s_or_b64 exec, exec, s[0:1]
	s_and_b64 s[0:1], exec, s[4:5]
	s_or_b64 s[76:77], s[0:1], s[76:77]
	s_andn2_b64 s[0:1], s[84:85], exec
	s_and_b64 s[84:85], s[70:71], exec
	s_or_b64 s[84:85], s[0:1], s[84:85]
	s_andn2_b64 exec, exec, s[76:77]
	s_cbranch_execz .LBB8_41
.LBB8_39:                               ;   Parent Loop BB8_5 Depth=1
                                        ;     Parent Loop BB8_9 Depth=2
                                        ;       Parent Loop BB8_14 Depth=3
                                        ; =>      This Inner Loop Header: Depth=4
	v_add_u32_e32 v22, v18, v21
	v_ashrrev_i32_e32 v23, 31, v22
	v_lshlrev_b64 v[22:23], 2, v[22:23]
	v_mov_b32_e32 v25, s41
	v_add_co_u32_e32 v24, vcc, s40, v22
	v_addc_co_u32_e32 v25, vcc, v25, v23, vcc
	global_load_dword v24, v[24:25], off
	s_or_b64 s[70:71], s[70:71], exec
	s_or_b64 s[4:5], s[4:5], exec
	s_waitcnt vmcnt(0)
	v_subrev_u32_e32 v24, s8, v24
	v_cmp_ne_u32_e32 vcc, v24, v8
	s_and_saveexec_b64 s[0:1], vcc
	s_cbranch_execz .LBB8_38
; %bb.40:                               ;   in Loop: Header=BB8_39 Depth=4
	v_add_u32_e32 v21, 1, v21
	v_cmp_ge_i32_e32 vcc, v21, v42
	s_andn2_b64 s[4:5], s[4:5], exec
	s_and_b64 vcc, vcc, exec
	s_andn2_b64 s[70:71], s[70:71], exec
	s_or_b64 s[4:5], s[4:5], vcc
	s_branch .LBB8_38
.LBB8_41:                               ;   in Loop: Header=BB8_14 Depth=3
	s_or_b64 exec, exec, s[76:77]
	s_and_saveexec_b64 s[0:1], s[84:85]
	s_xor_b64 s[4:5], exec, s[0:1]
	s_cbranch_execz .LBB8_46
; %bb.42:                               ;   in Loop: Header=BB8_14 Depth=3
	v_mov_b32_e32 v21, s83
	v_add_co_u32_e32 v24, vcc, s82, v22
	v_addc_co_u32_e32 v25, vcc, v21, v23, vcc
	s_andn2_b64 vcc, exec, s[34:35]
	global_store_dword v[24:25], v19, off
	s_cbranch_vccnz .LBB8_46
; %bb.43:                               ;   in Loop: Header=BB8_14 Depth=3
	v_mov_b32_e32 v21, s43
	v_add_co_u32_e32 v22, vcc, s42, v22
	v_addc_co_u32_e32 v23, vcc, v21, v23, vcc
	global_load_dword v21, v[22:23], off
	s_waitcnt vmcnt(0)
	v_sub_f32_e32 v19, v21, v19
	v_cmp_class_f32_e64 s[70:71], v19, s10
	s_and_saveexec_b64 s[0:1], s[70:71]
; %bb.44:                               ;   in Loop: Header=BB8_14 Depth=3
	v_cmp_lt_f32_e64 s[70:71], v4, |v19|
	v_cndmask_b32_e64 v4, v4, |v19|, s[70:71]
; %bb.45:                               ;   in Loop: Header=BB8_14 Depth=3
	s_or_b64 exec, exec, s[0:1]
.LBB8_46:                               ;   in Loop: Header=BB8_14 Depth=3
	s_or_b64 exec, exec, s[4:5]
.LBB8_47:                               ;   in Loop: Header=BB8_14 Depth=3
	s_or_b64 exec, exec, s[62:63]
.LBB8_48:                               ;   in Loop: Header=BB8_14 Depth=3
	s_or_b64 exec, exec, s[60:61]
                                        ; implicit-def: $vgpr19
.LBB8_49:                               ;   in Loop: Header=BB8_14 Depth=3
	s_andn2_saveexec_b64 s[28:29], s[28:29]
	s_cbranch_execz .LBB8_62
; %bb.50:                               ;   in Loop: Header=BB8_14 Depth=3
	v_cmp_lt_i32_e32 vcc, v6, v38
	s_and_saveexec_b64 s[60:61], vcc
	s_cbranch_execz .LBB8_61
; %bb.51:                               ;   in Loop: Header=BB8_14 Depth=3
	s_mov_b64 s[62:63], 0
	v_mov_b32_e32 v21, v6
                                        ; implicit-def: $sgpr76_sgpr77
                                        ; implicit-def: $sgpr4_sgpr5
                                        ; implicit-def: $sgpr70_sgpr71
	s_branch .LBB8_53
.LBB8_52:                               ;   in Loop: Header=BB8_53 Depth=4
	s_or_b64 exec, exec, s[84:85]
	s_and_b64 s[0:1], exec, s[4:5]
	s_or_b64 s[62:63], s[0:1], s[62:63]
	s_andn2_b64 s[0:1], s[76:77], exec
	s_and_b64 s[76:77], s[70:71], exec
	s_or_b64 s[76:77], s[0:1], s[76:77]
	s_andn2_b64 exec, exec, s[62:63]
	s_cbranch_execz .LBB8_55
.LBB8_53:                               ;   Parent Loop BB8_5 Depth=1
                                        ;     Parent Loop BB8_9 Depth=2
                                        ;       Parent Loop BB8_14 Depth=3
                                        ; =>      This Inner Loop Header: Depth=4
	v_add_u32_e32 v22, v12, v21
	v_ashrrev_i32_e32 v23, 31, v22
	v_lshlrev_b64 v[22:23], 2, v[22:23]
	v_mov_b32_e32 v25, s49
	v_add_co_u32_e32 v24, vcc, s48, v22
	v_addc_co_u32_e32 v25, vcc, v25, v23, vcc
	global_load_dword v24, v[24:25], off
	s_or_b64 s[70:71], s[70:71], exec
	s_or_b64 s[4:5], s[4:5], exec
	s_waitcnt vmcnt(0)
	v_subrev_u32_e32 v24, s7, v24
	v_cmp_ne_u32_e32 vcc, v24, v16
	s_and_saveexec_b64 s[84:85], vcc
	s_cbranch_execz .LBB8_52
; %bb.54:                               ;   in Loop: Header=BB8_53 Depth=4
	v_add_u32_e32 v21, 1, v21
	v_cmp_ge_i32_e32 vcc, v21, v38
	s_andn2_b64 s[0:1], s[4:5], exec
	s_and_b64 s[4:5], vcc, exec
	s_andn2_b64 s[70:71], s[70:71], exec
	s_or_b64 s[4:5], s[0:1], s[4:5]
	s_branch .LBB8_52
.LBB8_55:                               ;   in Loop: Header=BB8_14 Depth=3
	s_or_b64 exec, exec, s[62:63]
	s_and_saveexec_b64 s[0:1], s[76:77]
	s_xor_b64 s[4:5], exec, s[0:1]
	s_cbranch_execz .LBB8_60
; %bb.56:                               ;   in Loop: Header=BB8_14 Depth=3
	v_mov_b32_e32 v21, s81
	v_add_co_u32_e32 v24, vcc, s80, v22
	v_addc_co_u32_e32 v25, vcc, v21, v23, vcc
	s_andn2_b64 vcc, exec, s[34:35]
	global_store_dword v[24:25], v19, off
	s_cbranch_vccnz .LBB8_60
; %bb.57:                               ;   in Loop: Header=BB8_14 Depth=3
	v_mov_b32_e32 v21, s51
	v_add_co_u32_e32 v22, vcc, s50, v22
	v_addc_co_u32_e32 v23, vcc, v21, v23, vcc
	global_load_dword v21, v[22:23], off
	s_waitcnt vmcnt(0)
	v_sub_f32_e32 v19, v21, v19
	v_cmp_class_f32_e64 s[62:63], v19, s10
	s_and_saveexec_b64 s[0:1], s[62:63]
; %bb.58:                               ;   in Loop: Header=BB8_14 Depth=3
	v_cmp_lt_f32_e64 s[62:63], v4, |v19|
	v_cndmask_b32_e64 v4, v4, |v19|, s[62:63]
; %bb.59:                               ;   in Loop: Header=BB8_14 Depth=3
	s_or_b64 exec, exec, s[0:1]
.LBB8_60:                               ;   in Loop: Header=BB8_14 Depth=3
	s_or_b64 exec, exec, s[4:5]
.LBB8_61:                               ;   in Loop: Header=BB8_14 Depth=3
	s_or_b64 exec, exec, s[60:61]
.LBB8_62:                               ;   in Loop: Header=BB8_14 Depth=3
	s_or_b64 exec, exec, s[28:29]
	s_or_b64 exec, exec, s[78:79]
	s_and_b64 s[0:1], s[74:75], s[30:31]
	s_and_saveexec_b64 s[28:29], s[0:1]
	s_cbranch_execz .LBB8_13
.LBB8_63:                               ;   in Loop: Header=BB8_14 Depth=3
	v_cmp_ge_i32_e32 vcc, v20, v42
	s_and_saveexec_b64 s[0:1], vcc
	s_xor_b64 s[60:61], exec, s[0:1]
	s_cbranch_execnz .LBB8_69
; %bb.64:                               ;   in Loop: Header=BB8_14 Depth=3
	s_andn2_saveexec_b64 s[60:61], s[60:61]
	s_cbranch_execnz .LBB8_78
.LBB8_65:                               ;   in Loop: Header=BB8_14 Depth=3
	s_or_b64 exec, exec, s[60:61]
	v_cmp_eq_u32_e32 vcc, v8, v16
	s_and_saveexec_b64 s[0:1], vcc
	s_cbranch_execz .LBB8_67
.LBB8_66:                               ;   in Loop: Header=BB8_14 Depth=3
	v_mov_b32_e32 v6, s65
	v_add_co_u32_e32 v14, vcc, s64, v14
	v_addc_co_u32_e32 v15, vcc, v6, v15, vcc
	global_load_dword v6, v[14:15], off
	s_waitcnt vmcnt(0)
	v_add_f32_e32 v11, v11, v6
.LBB8_67:                               ;   in Loop: Header=BB8_14 Depth=3
	s_or_b64 exec, exec, s[0:1]
	v_sub_f32_e32 v6, v17, v11
	v_cmp_class_f32_e64 s[4:5], v6, s10
	s_and_saveexec_b64 s[0:1], s[4:5]
	s_cbranch_execz .LBB8_12
; %bb.68:                               ;   in Loop: Header=BB8_14 Depth=3
	v_cmp_lt_f32_e64 s[4:5], v2, |v6|
	v_cndmask_b32_e64 v2, v2, |v6|, s[4:5]
	s_branch .LBB8_12
.LBB8_69:                               ;   in Loop: Header=BB8_14 Depth=3
	v_cmp_lt_i32_e32 vcc, v6, v38
	s_and_saveexec_b64 s[62:63], vcc
	s_cbranch_execz .LBB8_77
; %bb.70:                               ;   in Loop: Header=BB8_14 Depth=3
	s_mov_b64 s[74:75], 0
                                        ; implicit-def: $sgpr76_sgpr77
                                        ; implicit-def: $sgpr4_sgpr5
                                        ; implicit-def: $sgpr70_sgpr71
	s_branch .LBB8_72
.LBB8_71:                               ;   in Loop: Header=BB8_72 Depth=4
	s_or_b64 exec, exec, s[0:1]
	s_and_b64 s[0:1], exec, s[4:5]
	s_or_b64 s[74:75], s[0:1], s[74:75]
	s_andn2_b64 s[0:1], s[76:77], exec
	s_and_b64 s[76:77], s[70:71], exec
	s_or_b64 s[76:77], s[0:1], s[76:77]
	s_andn2_b64 exec, exec, s[74:75]
	s_cbranch_execz .LBB8_74
.LBB8_72:                               ;   Parent Loop BB8_5 Depth=1
                                        ;     Parent Loop BB8_9 Depth=2
                                        ;       Parent Loop BB8_14 Depth=3
                                        ; =>      This Inner Loop Header: Depth=4
	v_add_u32_e32 v18, v12, v6
	v_ashrrev_i32_e32 v19, 31, v18
	v_lshlrev_b64 v[18:19], 2, v[18:19]
	v_mov_b32_e32 v21, s49
	v_add_co_u32_e32 v20, vcc, s48, v18
	v_addc_co_u32_e32 v21, vcc, v21, v19, vcc
	global_load_dword v20, v[20:21], off
	s_or_b64 s[70:71], s[70:71], exec
	s_or_b64 s[4:5], s[4:5], exec
	s_waitcnt vmcnt(0)
	v_subrev_u32_e32 v20, s7, v20
	v_cmp_ne_u32_e32 vcc, v20, v16
	s_and_saveexec_b64 s[0:1], vcc
	s_cbranch_execz .LBB8_71
; %bb.73:                               ;   in Loop: Header=BB8_72 Depth=4
	v_add_u32_e32 v6, 1, v6
	v_cmp_ge_i32_e32 vcc, v6, v38
	s_andn2_b64 s[4:5], s[4:5], exec
	s_and_b64 s[78:79], vcc, exec
	s_andn2_b64 s[70:71], s[70:71], exec
	s_or_b64 s[4:5], s[4:5], s[78:79]
	s_branch .LBB8_71
.LBB8_74:                               ;   in Loop: Header=BB8_14 Depth=3
	s_or_b64 exec, exec, s[74:75]
	s_and_saveexec_b64 s[0:1], s[76:77]
	s_xor_b64 s[4:5], exec, s[0:1]
	s_cbranch_execz .LBB8_76
; %bb.75:                               ;   in Loop: Header=BB8_14 Depth=3
	v_mov_b32_e32 v6, s51
	v_add_co_u32_e32 v18, vcc, s50, v18
	v_addc_co_u32_e32 v19, vcc, v6, v19, vcc
	global_load_dword v6, v[18:19], off
	v_mov_b32_e32 v19, s65
	v_add_co_u32_e32 v18, vcc, s64, v14
	v_addc_co_u32_e32 v19, vcc, v19, v15, vcc
	global_load_dword v18, v[18:19], off
	s_waitcnt vmcnt(0)
	v_fmac_f32_e32 v11, v6, v18
.LBB8_76:                               ;   in Loop: Header=BB8_14 Depth=3
	s_or_b64 exec, exec, s[4:5]
.LBB8_77:                               ;   in Loop: Header=BB8_14 Depth=3
	s_or_b64 exec, exec, s[62:63]
                                        ; implicit-def: $vgpr20
                                        ; implicit-def: $vgpr18
                                        ; implicit-def: $vgpr42
	s_andn2_saveexec_b64 s[60:61], s[60:61]
	s_cbranch_execz .LBB8_65
.LBB8_78:                               ;   in Loop: Header=BB8_14 Depth=3
	s_mov_b64 s[62:63], 0
                                        ; implicit-def: $sgpr74_sgpr75
                                        ; implicit-def: $sgpr4_sgpr5
                                        ; implicit-def: $sgpr70_sgpr71
	s_branch .LBB8_80
.LBB8_79:                               ;   in Loop: Header=BB8_80 Depth=4
	s_or_b64 exec, exec, s[0:1]
	s_and_b64 s[0:1], exec, s[4:5]
	s_or_b64 s[62:63], s[0:1], s[62:63]
	s_andn2_b64 s[0:1], s[74:75], exec
	s_and_b64 s[74:75], s[70:71], exec
	s_or_b64 s[74:75], s[0:1], s[74:75]
	s_andn2_b64 exec, exec, s[62:63]
	s_cbranch_execz .LBB8_82
.LBB8_80:                               ;   Parent Loop BB8_5 Depth=1
                                        ;     Parent Loop BB8_9 Depth=2
                                        ;       Parent Loop BB8_14 Depth=3
                                        ; =>      This Inner Loop Header: Depth=4
	v_add_u32_e32 v22, v18, v20
	v_ashrrev_i32_e32 v23, 31, v22
	v_lshlrev_b64 v[22:23], 2, v[22:23]
	v_mov_b32_e32 v6, s41
	v_add_co_u32_e32 v24, vcc, s40, v22
	v_addc_co_u32_e32 v25, vcc, v6, v23, vcc
	global_load_dword v6, v[24:25], off
	s_or_b64 s[70:71], s[70:71], exec
	s_or_b64 s[4:5], s[4:5], exec
	s_waitcnt vmcnt(0)
	v_subrev_u32_e32 v6, s8, v6
	v_cmp_ne_u32_e32 vcc, v6, v8
	s_and_saveexec_b64 s[0:1], vcc
	s_cbranch_execz .LBB8_79
; %bb.81:                               ;   in Loop: Header=BB8_80 Depth=4
	v_add_u32_e32 v20, 1, v20
	v_cmp_ge_i32_e32 vcc, v20, v42
	s_andn2_b64 s[4:5], s[4:5], exec
	s_and_b64 s[76:77], vcc, exec
	s_andn2_b64 s[70:71], s[70:71], exec
	s_or_b64 s[4:5], s[4:5], s[76:77]
	s_branch .LBB8_79
.LBB8_82:                               ;   in Loop: Header=BB8_14 Depth=3
	s_or_b64 exec, exec, s[62:63]
	s_and_saveexec_b64 s[0:1], s[74:75]
	s_xor_b64 s[0:1], exec, s[0:1]
	s_cbranch_execz .LBB8_84
; %bb.83:                               ;   in Loop: Header=BB8_14 Depth=3
	v_mov_b32_e32 v6, s43
	v_add_co_u32_e32 v18, vcc, s42, v22
	v_addc_co_u32_e32 v19, vcc, v6, v23, vcc
	global_load_dword v6, v[18:19], off
	s_waitcnt vmcnt(0)
	v_add_f32_e32 v11, v11, v6
.LBB8_84:                               ;   in Loop: Header=BB8_14 Depth=3
	s_or_b64 exec, exec, s[0:1]
	s_or_b64 exec, exec, s[60:61]
	v_cmp_eq_u32_e32 vcc, v8, v16
	s_and_saveexec_b64 s[0:1], vcc
	s_cbranch_execnz .LBB8_66
	s_branch .LBB8_67
.LBB8_85:                               ;   in Loop: Header=BB8_5 Depth=1
	s_and_b64 vcc, exec, s[34:35]
	s_cbranch_vccz .LBB8_107
; %bb.86:                               ;   in Loop: Header=BB8_5 Depth=1
	v_mov_b32_dpp v6, v4 row_shr:1 row_mask:0xf bank_mask:0xf
	s_mov_b64 s[0:1], exec
	v_readlane_b32 s4, v48, 10
	v_readlane_b32 s5, v48, 11
	s_and_b64 s[4:5], s[0:1], s[4:5]
	s_mov_b64 exec, s[4:5]
	s_cbranch_execz .LBB8_88
; %bb.87:                               ;   in Loop: Header=BB8_5 Depth=1
	v_cmp_lt_f32_e32 vcc, v4, v6
	v_cndmask_b32_e32 v4, v4, v6, vcc
	ds_write_b32 v30, v4
.LBB8_88:                               ;   in Loop: Header=BB8_5 Depth=1
	s_or_b64 exec, exec, s[0:1]
	s_waitcnt lgkmcnt(0)
	s_barrier
	s_mov_b64 s[0:1], exec
	v_readlane_b32 s4, v48, 12
	v_readlane_b32 s5, v48, 13
	s_and_b64 s[4:5], s[0:1], s[4:5]
	s_mov_b64 exec, s[4:5]
	s_cbranch_execz .LBB8_90
; %bb.89:                               ;   in Loop: Header=BB8_5 Depth=1
	ds_read2st64_b32 v[8:9], v1 offset1:4
	s_waitcnt lgkmcnt(0)
	v_cmp_lt_f32_e32 vcc, v8, v9
	v_cndmask_b32_e32 v4, v8, v9, vcc
	ds_write_b32 v1, v4
.LBB8_90:                               ;   in Loop: Header=BB8_5 Depth=1
	s_or_b64 exec, exec, s[0:1]
	s_waitcnt lgkmcnt(0)
	s_barrier
	s_mov_b64 s[0:1], exec
	v_readlane_b32 s4, v48, 14
	v_readlane_b32 s5, v48, 15
	s_and_b64 s[4:5], s[0:1], s[4:5]
	s_mov_b64 exec, s[4:5]
	s_cbranch_execz .LBB8_92
; %bb.91:                               ;   in Loop: Header=BB8_5 Depth=1
	ds_read2st64_b32 v[8:9], v1 offset1:2
	s_waitcnt lgkmcnt(0)
	v_cmp_lt_f32_e32 vcc, v8, v9
	v_cndmask_b32_e32 v4, v8, v9, vcc
	ds_write_b32 v1, v4
.LBB8_92:                               ;   in Loop: Header=BB8_5 Depth=1
	s_or_b64 exec, exec, s[0:1]
	s_waitcnt lgkmcnt(0)
	s_barrier
	s_and_saveexec_b64 s[0:1], s[12:13]
	s_cbranch_execz .LBB8_94
; %bb.93:                               ;   in Loop: Header=BB8_5 Depth=1
	ds_read2st64_b32 v[8:9], v1 offset1:1
	s_waitcnt lgkmcnt(0)
	v_cmp_lt_f32_e32 vcc, v8, v9
	v_cndmask_b32_e32 v4, v8, v9, vcc
	ds_write_b32 v1, v4
.LBB8_94:                               ;   in Loop: Header=BB8_5 Depth=1
	s_or_b64 exec, exec, s[0:1]
	s_waitcnt lgkmcnt(0)
	s_barrier
	s_and_saveexec_b64 s[0:1], s[14:15]
	s_cbranch_execz .LBB8_96
; %bb.95:                               ;   in Loop: Header=BB8_5 Depth=1
	ds_read2_b32 v[8:9], v1 offset1:32
	s_waitcnt lgkmcnt(0)
	v_cmp_lt_f32_e32 vcc, v8, v9
	v_cndmask_b32_e32 v4, v8, v9, vcc
	ds_write_b32 v1, v4
.LBB8_96:                               ;   in Loop: Header=BB8_5 Depth=1
	s_or_b64 exec, exec, s[0:1]
	s_waitcnt lgkmcnt(0)
	s_barrier
	s_and_saveexec_b64 s[0:1], s[16:17]
	s_cbranch_execz .LBB8_98
; %bb.97:                               ;   in Loop: Header=BB8_5 Depth=1
	ds_read2_b32 v[8:9], v1 offset1:16
	s_waitcnt lgkmcnt(0)
	v_cmp_lt_f32_e32 vcc, v8, v9
	v_cndmask_b32_e32 v4, v8, v9, vcc
	ds_write_b32 v1, v4
.LBB8_98:                               ;   in Loop: Header=BB8_5 Depth=1
	s_or_b64 exec, exec, s[0:1]
	s_waitcnt lgkmcnt(0)
	s_barrier
	s_and_saveexec_b64 s[0:1], s[18:19]
	s_cbranch_execz .LBB8_100
; %bb.99:                               ;   in Loop: Header=BB8_5 Depth=1
	ds_read2_b32 v[8:9], v1 offset1:8
	s_waitcnt lgkmcnt(0)
	v_cmp_lt_f32_e32 vcc, v8, v9
	v_cndmask_b32_e32 v4, v8, v9, vcc
	ds_write_b32 v1, v4
.LBB8_100:                              ;   in Loop: Header=BB8_5 Depth=1
	s_or_b64 exec, exec, s[0:1]
	s_waitcnt lgkmcnt(0)
	s_barrier
	s_and_saveexec_b64 s[0:1], s[20:21]
	s_cbranch_execz .LBB8_102
; %bb.101:                              ;   in Loop: Header=BB8_5 Depth=1
	ds_read2_b32 v[8:9], v1 offset1:4
	s_waitcnt lgkmcnt(0)
	v_cmp_lt_f32_e32 vcc, v8, v9
	v_cndmask_b32_e32 v4, v8, v9, vcc
	ds_write_b32 v1, v4
.LBB8_102:                              ;   in Loop: Header=BB8_5 Depth=1
	s_or_b64 exec, exec, s[0:1]
	s_waitcnt lgkmcnt(0)
	s_barrier
	s_and_saveexec_b64 s[0:1], s[22:23]
	s_cbranch_execz .LBB8_104
; %bb.103:                              ;   in Loop: Header=BB8_5 Depth=1
	ds_read2_b32 v[8:9], v1 offset1:2
	s_waitcnt lgkmcnt(0)
	v_cmp_lt_f32_e32 vcc, v8, v9
	v_cndmask_b32_e32 v4, v8, v9, vcc
	ds_write_b32 v1, v4
.LBB8_104:                              ;   in Loop: Header=BB8_5 Depth=1
	s_or_b64 exec, exec, s[0:1]
	s_waitcnt lgkmcnt(0)
	s_barrier
	s_and_saveexec_b64 s[0:1], s[24:25]
	s_cbranch_execz .LBB8_106
; %bb.105:                              ;   in Loop: Header=BB8_5 Depth=1
	ds_read_b64 v[8:9], v37
	s_waitcnt lgkmcnt(0)
	v_cmp_lt_f32_e32 vcc, v8, v9
	v_cndmask_b32_e32 v4, v8, v9, vcc
	ds_write_b32 v37, v4
.LBB8_106:                              ;   in Loop: Header=BB8_5 Depth=1
	s_or_b64 exec, exec, s[0:1]
	v_readlane_b32 s0, v48, 2
	v_readlane_b32 s1, v48, 3
	s_waitcnt lgkmcnt(0)
	s_barrier
	ds_read_b32 v4, v37
	s_load_dword s4, s[0:1], 0x0
	s_waitcnt lgkmcnt(0)
	v_div_scale_f32 v6, s[0:1], s4, s4, v4
	v_rcp_f32_e32 v8, v6
	v_div_scale_f32 v9, vcc, v4, s4, v4
	v_fma_f32 v10, -v6, v8, 1.0
	v_fmac_f32_e32 v8, v10, v8
	v_mul_f32_e32 v10, v9, v8
	v_fma_f32 v11, -v6, v10, v9
	v_fmac_f32_e32 v10, v11, v8
	v_fma_f32 v6, -v6, v10, v9
	v_div_fmas_f32 v6, v6, v8, v10
	v_div_fixup_f32 v4, v6, s4, v4
.LBB8_107:                              ;   in Loop: Header=BB8_5 Depth=1
	s_andn2_b64 vcc, exec, s[30:31]
	s_cbranch_vccnz .LBB8_129
; %bb.108:                              ;   in Loop: Header=BB8_5 Depth=1
	v_mov_b32_dpp v6, v2 row_shr:1 row_mask:0xf bank_mask:0xf
	s_mov_b64 s[0:1], exec
	v_readlane_b32 s4, v48, 10
	v_readlane_b32 s5, v48, 11
	s_and_b64 s[4:5], s[0:1], s[4:5]
	s_mov_b64 exec, s[4:5]
	s_cbranch_execz .LBB8_110
; %bb.109:                              ;   in Loop: Header=BB8_5 Depth=1
	v_cmp_lt_f32_e32 vcc, v2, v6
	v_cndmask_b32_e32 v2, v2, v6, vcc
	ds_write_b32 v30, v2
.LBB8_110:                              ;   in Loop: Header=BB8_5 Depth=1
	s_or_b64 exec, exec, s[0:1]
	s_waitcnt lgkmcnt(0)
	s_barrier
	s_mov_b64 s[0:1], exec
	v_readlane_b32 s4, v48, 12
	v_readlane_b32 s5, v48, 13
	s_and_b64 s[4:5], s[0:1], s[4:5]
	s_mov_b64 exec, s[4:5]
	s_cbranch_execz .LBB8_112
; %bb.111:                              ;   in Loop: Header=BB8_5 Depth=1
	ds_read2st64_b32 v[8:9], v1 offset1:4
	s_waitcnt lgkmcnt(0)
	v_cmp_lt_f32_e32 vcc, v8, v9
	v_cndmask_b32_e32 v2, v8, v9, vcc
	ds_write_b32 v1, v2
.LBB8_112:                              ;   in Loop: Header=BB8_5 Depth=1
	s_or_b64 exec, exec, s[0:1]
	s_waitcnt lgkmcnt(0)
	s_barrier
	s_mov_b64 s[0:1], exec
	v_readlane_b32 s4, v48, 14
	v_readlane_b32 s5, v48, 15
	s_and_b64 s[4:5], s[0:1], s[4:5]
	s_mov_b64 exec, s[4:5]
	s_cbranch_execz .LBB8_114
; %bb.113:                              ;   in Loop: Header=BB8_5 Depth=1
	ds_read2st64_b32 v[8:9], v1 offset1:2
	s_waitcnt lgkmcnt(0)
	v_cmp_lt_f32_e32 vcc, v8, v9
	v_cndmask_b32_e32 v2, v8, v9, vcc
	ds_write_b32 v1, v2
.LBB8_114:                              ;   in Loop: Header=BB8_5 Depth=1
	s_or_b64 exec, exec, s[0:1]
	s_waitcnt lgkmcnt(0)
	s_barrier
	s_and_saveexec_b64 s[0:1], s[12:13]
	s_cbranch_execz .LBB8_116
; %bb.115:                              ;   in Loop: Header=BB8_5 Depth=1
	ds_read2st64_b32 v[8:9], v1 offset1:1
	s_waitcnt lgkmcnt(0)
	v_cmp_lt_f32_e32 vcc, v8, v9
	v_cndmask_b32_e32 v2, v8, v9, vcc
	ds_write_b32 v1, v2
.LBB8_116:                              ;   in Loop: Header=BB8_5 Depth=1
	s_or_b64 exec, exec, s[0:1]
	s_waitcnt lgkmcnt(0)
	s_barrier
	s_and_saveexec_b64 s[0:1], s[14:15]
	s_cbranch_execz .LBB8_118
; %bb.117:                              ;   in Loop: Header=BB8_5 Depth=1
	ds_read2_b32 v[8:9], v1 offset1:32
	s_waitcnt lgkmcnt(0)
	v_cmp_lt_f32_e32 vcc, v8, v9
	v_cndmask_b32_e32 v2, v8, v9, vcc
	ds_write_b32 v1, v2
.LBB8_118:                              ;   in Loop: Header=BB8_5 Depth=1
	s_or_b64 exec, exec, s[0:1]
	s_waitcnt lgkmcnt(0)
	s_barrier
	s_and_saveexec_b64 s[0:1], s[16:17]
	s_cbranch_execz .LBB8_120
; %bb.119:                              ;   in Loop: Header=BB8_5 Depth=1
	ds_read2_b32 v[8:9], v1 offset1:16
	s_waitcnt lgkmcnt(0)
	v_cmp_lt_f32_e32 vcc, v8, v9
	v_cndmask_b32_e32 v2, v8, v9, vcc
	ds_write_b32 v1, v2
.LBB8_120:                              ;   in Loop: Header=BB8_5 Depth=1
	;; [unrolled: 12-line block ×5, first 2 shown]
	s_or_b64 exec, exec, s[0:1]
	s_waitcnt lgkmcnt(0)
	s_barrier
	s_and_saveexec_b64 s[0:1], s[24:25]
	s_cbranch_execz .LBB8_128
; %bb.127:                              ;   in Loop: Header=BB8_5 Depth=1
	ds_read_b64 v[8:9], v37
	s_waitcnt lgkmcnt(0)
	v_cmp_lt_f32_e32 vcc, v8, v9
	v_cndmask_b32_e32 v2, v8, v9, vcc
	ds_write_b32 v37, v2
.LBB8_128:                              ;   in Loop: Header=BB8_5 Depth=1
	s_or_b64 exec, exec, s[0:1]
	v_readlane_b32 s0, v48, 2
	v_readlane_b32 s1, v48, 3
	s_waitcnt lgkmcnt(0)
	s_barrier
	ds_read_b32 v2, v37
	s_load_dword s4, s[0:1], 0x0
	s_waitcnt lgkmcnt(0)
	v_div_scale_f32 v6, s[0:1], s4, s4, v2
	v_rcp_f32_e32 v8, v6
	v_div_scale_f32 v9, vcc, v2, s4, v2
	v_fma_f32 v10, -v6, v8, 1.0
	v_fmac_f32_e32 v8, v10, v8
	v_mul_f32_e32 v10, v9, v8
	v_fma_f32 v11, -v6, v10, v9
	v_fmac_f32_e32 v10, v11, v8
	v_fma_f32 v6, -v6, v10, v9
	v_div_fmas_f32 v6, v6, v8, v10
	v_div_fixup_f32 v2, v6, s4, v2
.LBB8_129:                              ;   in Loop: Header=BB8_5 Depth=1
	s_mov_b64 s[26:27], exec
	v_readlane_b32 s0, v48, 8
	v_readlane_b32 s1, v48, 9
	s_and_b64 s[0:1], s[26:27], s[0:1]
	s_mov_b64 exec, s[0:1]
	s_cbranch_execz .LBB8_151
; %bb.130:                              ;   in Loop: Header=BB8_5 Depth=1
	s_mov_b64 s[28:29], 0
	v_mov_b32_e32 v8, v28
	s_branch .LBB8_132
.LBB8_131:                              ;   in Loop: Header=BB8_132 Depth=2
	s_or_b64 exec, exec, s[88:89]
	v_add_u32_e32 v8, 0x200, v8
	v_cmp_le_u32_e32 vcc, s9, v8
	s_or_b64 s[28:29], vcc, s[28:29]
	s_andn2_b64 exec, exec, s[28:29]
	s_cbranch_execz .LBB8_151
.LBB8_132:                              ;   Parent Loop BB8_5 Depth=1
                                        ; =>  This Loop Header: Depth=2
                                        ;       Child Loop BB8_136 Depth 3
                                        ;       Child Loop BB8_140 Depth 3
	;; [unrolled: 1-line block ×4, first 2 shown]
	v_cmp_gt_i32_e32 vcc, s73, v8
	s_and_saveexec_b64 s[88:89], vcc
	s_cbranch_execz .LBB8_131
; %bb.133:                              ;   in Loop: Header=BB8_132 Depth=2
	v_ashrrev_i32_e32 v9, 31, v8
	v_lshlrev_b64 v[10:11], 2, v[8:9]
	v_mov_b32_e32 v6, s45
	v_add_co_u32_e32 v12, vcc, s44, v10
	v_addc_co_u32_e32 v13, vcc, v6, v11, vcc
	global_load_dword v9, v[12:13], off
	v_mov_b32_e32 v6, s47
	v_add_co_u32_e32 v12, vcc, s46, v10
	v_addc_co_u32_e32 v13, vcc, v6, v11, vcc
	global_load_dword v6, v[12:13], off
	s_waitcnt vmcnt(1)
	v_add_u32_e32 v12, v31, v9
	s_waitcnt vmcnt(0)
	v_subrev_u32_e32 v6, s7, v6
	v_cmp_lt_i32_e32 vcc, v12, v6
	s_and_saveexec_b64 s[74:75], vcc
	s_cbranch_execz .LBB8_141
; %bb.134:                              ;   in Loop: Header=BB8_132 Depth=2
	v_add_u32_e32 v13, v36, v9
	v_max_i32_e32 v13, v13, v6
	v_add_u32_e32 v13, v35, v13
	v_sub_u32_e32 v9, v13, v9
	v_cmp_lt_u32_e32 vcc, 1, v9
	s_mov_b64 s[0:1], -1
	s_and_saveexec_b64 s[60:61], vcc
	s_cbranch_execz .LBB8_138
; %bb.135:                              ;   in Loop: Header=BB8_132 Depth=2
	v_lshrrev_b32_e32 v9, 1, v9
	v_add_u32_e32 v9, 1, v9
	v_and_b32_e32 v16, -2, v9
	v_add_u32_e32 v13, 2, v12
	s_mov_b64 s[62:63], 0
	v_mov_b32_e32 v17, v16
	v_pk_mov_b32 v[14:15], v[12:13], v[12:13] op_sel:[0,1]
.LBB8_136:                              ;   Parent Loop BB8_5 Depth=1
                                        ;     Parent Loop BB8_132 Depth=2
                                        ; =>    This Inner Loop Header: Depth=3
	v_ashrrev_i32_e32 v21, 31, v14
	v_mov_b32_e32 v20, v14
	v_lshlrev_b64 v[20:21], 2, v[20:21]
	v_ashrrev_i32_e32 v19, 31, v15
	v_mov_b32_e32 v18, v15
	v_mov_b32_e32 v13, s81
	v_add_co_u32_e32 v22, vcc, s80, v20
	v_lshlrev_b64 v[18:19], 2, v[18:19]
	v_addc_co_u32_e32 v23, vcc, v13, v21, vcc
	v_add_co_u32_e32 v24, vcc, s80, v18
	v_addc_co_u32_e32 v25, vcc, v13, v19, vcc
	global_load_dword v13, v[22:23], off
	s_nop 0
	global_load_dword v22, v[24:25], off
	v_add_u32_e32 v17, -2, v17
	v_cmp_eq_u32_e32 vcc, 0, v17
	v_mov_b32_e32 v23, s51
	s_or_b64 s[62:63], vcc, s[62:63]
	v_add_co_u32_e32 v20, vcc, s50, v20
	v_addc_co_u32_e32 v21, vcc, v23, v21, vcc
	v_add_u32_e32 v15, 4, v15
	v_add_u32_e32 v14, 4, v14
	v_add_co_u32_e32 v18, vcc, s50, v18
	v_addc_co_u32_e32 v19, vcc, v23, v19, vcc
	s_waitcnt vmcnt(1)
	global_store_dword v[20:21], v13, off
	s_waitcnt vmcnt(1)
	global_store_dword v[18:19], v22, off
	s_andn2_b64 exec, exec, s[62:63]
	s_cbranch_execnz .LBB8_136
; %bb.137:                              ;   in Loop: Header=BB8_132 Depth=2
	s_or_b64 exec, exec, s[62:63]
	v_cmp_ne_u32_e32 vcc, v9, v16
	v_lshl_add_u32 v12, v16, 1, v12
	s_orn2_b64 s[0:1], vcc, exec
.LBB8_138:                              ;   in Loop: Header=BB8_132 Depth=2
	s_or_b64 exec, exec, s[60:61]
	s_and_b64 exec, exec, s[0:1]
	s_cbranch_execz .LBB8_141
; %bb.139:                              ;   in Loop: Header=BB8_132 Depth=2
	v_ashrrev_i32_e32 v13, 31, v12
	v_lshlrev_b64 v[16:17], 2, v[12:13]
	v_mov_b32_e32 v9, s81
	v_add_co_u32_e32 v14, vcc, s80, v16
	v_addc_co_u32_e32 v15, vcc, v9, v17, vcc
	v_mov_b32_e32 v9, s51
	v_add_co_u32_e32 v16, vcc, s50, v16
	v_addc_co_u32_e32 v17, vcc, v9, v17, vcc
	s_mov_b64 s[4:5], 0
.LBB8_140:                              ;   Parent Loop BB8_5 Depth=1
                                        ;     Parent Loop BB8_132 Depth=2
                                        ; =>    This Inner Loop Header: Depth=3
	global_load_dword v9, v[14:15], off
	v_add_co_u32_e32 v14, vcc, 8, v14
	v_add_u32_e32 v12, 2, v12
	v_addc_co_u32_e32 v15, vcc, 0, v15, vcc
	v_cmp_ge_i32_e32 vcc, v12, v6
	s_or_b64 s[4:5], vcc, s[4:5]
	s_waitcnt vmcnt(0)
	global_store_dword v[16:17], v9, off
	v_add_co_u32_e32 v16, vcc, 8, v16
	v_addc_co_u32_e32 v17, vcc, 0, v17, vcc
	s_andn2_b64 exec, exec, s[4:5]
	s_cbranch_execnz .LBB8_140
.LBB8_141:                              ;   in Loop: Header=BB8_132 Depth=2
	s_or_b64 exec, exec, s[74:75]
	v_mov_b32_e32 v6, s37
	v_add_co_u32_e32 v12, vcc, s36, v10
	v_addc_co_u32_e32 v13, vcc, v6, v11, vcc
	global_load_dword v9, v[12:13], off
	v_mov_b32_e32 v6, s39
	v_add_co_u32_e32 v12, vcc, s38, v10
	v_addc_co_u32_e32 v13, vcc, v6, v11, vcc
	global_load_dword v6, v[12:13], off
	s_waitcnt vmcnt(1)
	v_add_u32_e32 v12, v32, v9
	s_waitcnt vmcnt(0)
	v_subrev_u32_e32 v6, s8, v6
	v_cmp_lt_i32_e32 vcc, v12, v6
	s_and_saveexec_b64 s[74:75], vcc
	s_cbranch_execz .LBB8_149
; %bb.142:                              ;   in Loop: Header=BB8_132 Depth=2
	v_add_u32_e32 v13, v34, v9
	v_max_i32_e32 v13, v13, v6
	v_add_u32_e32 v13, v33, v13
	v_sub_u32_e32 v9, v13, v9
	v_cmp_lt_u32_e32 vcc, 1, v9
	s_mov_b64 s[0:1], -1
	s_and_saveexec_b64 s[60:61], vcc
	s_cbranch_execz .LBB8_146
; %bb.143:                              ;   in Loop: Header=BB8_132 Depth=2
	v_lshrrev_b32_e32 v9, 1, v9
	v_add_u32_e32 v9, 1, v9
	v_and_b32_e32 v16, -2, v9
	v_add_u32_e32 v13, 2, v12
	s_mov_b64 s[62:63], 0
	v_mov_b32_e32 v17, v16
	v_pk_mov_b32 v[14:15], v[12:13], v[12:13] op_sel:[0,1]
.LBB8_144:                              ;   Parent Loop BB8_5 Depth=1
                                        ;     Parent Loop BB8_132 Depth=2
                                        ; =>    This Inner Loop Header: Depth=3
	v_ashrrev_i32_e32 v21, 31, v14
	v_mov_b32_e32 v20, v14
	v_lshlrev_b64 v[20:21], 2, v[20:21]
	v_ashrrev_i32_e32 v19, 31, v15
	v_mov_b32_e32 v18, v15
	v_mov_b32_e32 v13, s83
	v_add_co_u32_e32 v22, vcc, s82, v20
	v_lshlrev_b64 v[18:19], 2, v[18:19]
	v_addc_co_u32_e32 v23, vcc, v13, v21, vcc
	v_add_co_u32_e32 v24, vcc, s82, v18
	v_addc_co_u32_e32 v25, vcc, v13, v19, vcc
	global_load_dword v13, v[22:23], off
	s_nop 0
	global_load_dword v22, v[24:25], off
	v_add_u32_e32 v17, -2, v17
	v_cmp_eq_u32_e32 vcc, 0, v17
	v_mov_b32_e32 v23, s43
	s_or_b64 s[62:63], vcc, s[62:63]
	v_add_co_u32_e32 v20, vcc, s42, v20
	v_addc_co_u32_e32 v21, vcc, v23, v21, vcc
	v_add_u32_e32 v15, 4, v15
	v_add_u32_e32 v14, 4, v14
	v_add_co_u32_e32 v18, vcc, s42, v18
	v_addc_co_u32_e32 v19, vcc, v23, v19, vcc
	s_waitcnt vmcnt(1)
	global_store_dword v[20:21], v13, off
	s_waitcnt vmcnt(1)
	global_store_dword v[18:19], v22, off
	s_andn2_b64 exec, exec, s[62:63]
	s_cbranch_execnz .LBB8_144
; %bb.145:                              ;   in Loop: Header=BB8_132 Depth=2
	s_or_b64 exec, exec, s[62:63]
	v_cmp_ne_u32_e32 vcc, v9, v16
	v_lshl_add_u32 v12, v16, 1, v12
	s_orn2_b64 s[0:1], vcc, exec
.LBB8_146:                              ;   in Loop: Header=BB8_132 Depth=2
	s_or_b64 exec, exec, s[60:61]
	s_and_b64 exec, exec, s[0:1]
	s_cbranch_execz .LBB8_149
; %bb.147:                              ;   in Loop: Header=BB8_132 Depth=2
	v_ashrrev_i32_e32 v13, 31, v12
	v_lshlrev_b64 v[16:17], 2, v[12:13]
	v_mov_b32_e32 v9, s83
	v_add_co_u32_e32 v14, vcc, s82, v16
	v_addc_co_u32_e32 v15, vcc, v9, v17, vcc
	v_mov_b32_e32 v9, s43
	v_add_co_u32_e32 v16, vcc, s42, v16
	v_addc_co_u32_e32 v17, vcc, v9, v17, vcc
	s_mov_b64 s[4:5], 0
.LBB8_148:                              ;   Parent Loop BB8_5 Depth=1
                                        ;     Parent Loop BB8_132 Depth=2
                                        ; =>    This Inner Loop Header: Depth=3
	global_load_dword v9, v[14:15], off
	v_add_co_u32_e32 v14, vcc, 8, v14
	v_add_u32_e32 v12, 2, v12
	v_addc_co_u32_e32 v15, vcc, 0, v15, vcc
	v_cmp_ge_i32_e32 vcc, v12, v6
	s_or_b64 s[4:5], vcc, s[4:5]
	s_waitcnt vmcnt(0)
	global_store_dword v[16:17], v9, off
	v_add_co_u32_e32 v16, vcc, 8, v16
	v_addc_co_u32_e32 v17, vcc, 0, v17, vcc
	s_andn2_b64 exec, exec, s[4:5]
	s_cbranch_execnz .LBB8_148
.LBB8_149:                              ;   in Loop: Header=BB8_132 Depth=2
	s_or_b64 exec, exec, s[74:75]
	s_and_b64 exec, exec, s[2:3]
	s_cbranch_execz .LBB8_131
; %bb.150:                              ;   in Loop: Header=BB8_132 Depth=2
	v_mov_b32_e32 v6, s67
	v_add_co_u32_e32 v12, vcc, s66, v10
	v_addc_co_u32_e32 v13, vcc, v6, v11, vcc
	global_load_dword v6, v[12:13], off
	v_mov_b32_e32 v9, s65
	v_add_co_u32_e32 v10, vcc, s64, v10
	v_addc_co_u32_e32 v11, vcc, v9, v11, vcc
	s_waitcnt vmcnt(0)
	global_store_dword v[10:11], v6, off
	s_branch .LBB8_131
.LBB8_151:                              ;   in Loop: Header=BB8_5 Depth=1
	s_or_b64 exec, exec, s[26:27]
	s_mov_b64 s[28:29], -1
	s_and_b64 vcc, exec, s[68:69]
	s_cbranch_vccz .LBB8_161
; %bb.152:                              ;   in Loop: Header=BB8_5 Depth=1
	v_readlane_b32 s4, v48, 16
	v_readlane_b32 s5, v48, 17
	s_mov_b64 s[0:1], -1
	s_and_b64 vcc, exec, s[4:5]
                                        ; implicit-def: $sgpr4_sgpr5
	s_cbranch_vccz .LBB8_158
; %bb.153:                              ;   in Loop: Header=BB8_5 Depth=1
	v_readlane_b32 s4, v48, 4
	v_readlane_b32 s5, v48, 5
	s_and_b64 vcc, exec, s[4:5]
                                        ; implicit-def: $sgpr4_sgpr5
	s_cbranch_vccz .LBB8_155
; %bb.154:                              ;   in Loop: Header=BB8_5 Depth=1
	v_cmp_ge_f32_e32 vcc, s72, v2
	s_mov_b64 s[0:1], 0
	s_and_b64 s[4:5], vcc, exec
.LBB8_155:                              ;   in Loop: Header=BB8_5 Depth=1
	s_andn2_b64 vcc, exec, s[0:1]
	s_cbranch_vccnz .LBB8_157
; %bb.156:                              ;   in Loop: Header=BB8_5 Depth=1
	v_cmp_ge_f32_e32 vcc, s72, v4
	s_andn2_b64 s[0:1], s[4:5], exec
	s_and_b64 s[4:5], vcc, exec
	s_or_b64 s[4:5], s[0:1], s[4:5]
.LBB8_157:                              ;   in Loop: Header=BB8_5 Depth=1
	s_mov_b64 s[0:1], 0
.LBB8_158:                              ;   in Loop: Header=BB8_5 Depth=1
	s_andn2_b64 vcc, exec, s[0:1]
	s_cbranch_vccnz .LBB8_160
; %bb.159:                              ;   in Loop: Header=BB8_5 Depth=1
	v_cmp_ge_f32_e32 vcc, s72, v4
	v_cmp_ge_f32_e64 s[26:27], s72, v2
	s_and_b64 s[0:1], vcc, s[26:27]
	s_andn2_b64 s[4:5], s[4:5], exec
	s_and_b64 s[0:1], s[0:1], exec
	s_or_b64 s[4:5], s[4:5], s[0:1]
.LBB8_160:                              ;   in Loop: Header=BB8_5 Depth=1
	s_xor_b64 s[4:5], s[4:5], -1
	v_mov_b32_e32 v6, s33
	s_and_saveexec_b64 s[0:1], s[4:5]
	s_cbranch_execz .LBB8_4
	s_branch .LBB8_162
.LBB8_161:                              ;   in Loop: Header=BB8_5 Depth=1
	s_mov_b64 s[4:5], -1
	v_mov_b32_e32 v6, s33
	s_and_saveexec_b64 s[0:1], s[4:5]
	s_cbranch_execz .LBB8_4
.LBB8_162:                              ;   in Loop: Header=BB8_5 Depth=1
	s_add_i32 s33, s33, 1
	s_cmp_eq_u32 s33, s11
	s_cselect_b64 s[4:5], -1, 0
	v_mov_b32_e32 v6, s11
	s_orn2_b64 s[28:29], s[4:5], exec
	s_branch .LBB8_4
.LBB8_163:
	s_or_b64 exec, exec, s[86:87]
	v_readlane_b32 s4, v48, 6
	v_readlane_b32 s5, v48, 7
	s_load_dwordx4 s[20:23], s[4:5], 0xb8
	v_readlane_b32 s2, v48, 0
	v_readlane_b32 s3, v48, 1
	s_or_b64 exec, exec, s[2:3]
	s_andn2_b64 vcc, exec, s[68:69]
	s_cbranch_vccnz .LBB8_2
.LBB8_164:
	v_mov_b32_dpp v7, v6 row_shr:1 row_mask:0xf bank_mask:0xf
	v_cmp_ne_u32_e32 vcc, 0, v5
	s_and_saveexec_b64 s[0:1], vcc
	s_cbranch_execz .LBB8_166
; %bb.165:
	v_lshlrev_b32_e32 v3, 2, v3
	v_max_i32_e32 v5, v6, v7
	ds_write_b32 v3, v5 offset:2048
.LBB8_166:
	s_or_b64 exec, exec, s[0:1]
	s_movk_i32 s0, 0x100
	v_cmp_gt_u32_e32 vcc, s0, v0
	s_waitcnt lgkmcnt(0)
	s_barrier
	s_and_saveexec_b64 s[0:1], vcc
	s_cbranch_execz .LBB8_168
; %bb.167:
	ds_read2st64_b32 v[6:7], v1 offset0:8 offset1:12
	s_waitcnt lgkmcnt(0)
	v_max_i32_e32 v3, v6, v7
	ds_write_b32 v1, v3 offset:2048
.LBB8_168:
	s_or_b64 exec, exec, s[0:1]
	s_movk_i32 s0, 0x80
	v_cmp_gt_u32_e32 vcc, s0, v0
	s_waitcnt lgkmcnt(0)
	s_barrier
	s_and_saveexec_b64 s[0:1], vcc
	s_cbranch_execz .LBB8_170
; %bb.169:
	ds_read2st64_b32 v[6:7], v1 offset0:8 offset1:10
	s_waitcnt lgkmcnt(0)
	v_max_i32_e32 v3, v6, v7
	ds_write_b32 v1, v3 offset:2048
.LBB8_170:
	s_or_b64 exec, exec, s[0:1]
	v_cmp_gt_u32_e32 vcc, 64, v0
	s_waitcnt lgkmcnt(0)
	s_barrier
	s_and_saveexec_b64 s[0:1], vcc
	s_cbranch_execz .LBB8_172
; %bb.171:
	ds_read2st64_b32 v[6:7], v1 offset0:8 offset1:9
	s_waitcnt lgkmcnt(0)
	v_max_i32_e32 v3, v6, v7
	ds_write_b32 v1, v3 offset:2048
.LBB8_172:
	s_or_b64 exec, exec, s[0:1]
	v_cmp_gt_u32_e32 vcc, 32, v0
	s_waitcnt lgkmcnt(0)
	s_barrier
	s_and_saveexec_b64 s[0:1], vcc
	s_cbranch_execz .LBB8_174
; %bb.173:
	v_add_u32_e32 v3, 0x800, v1
	ds_read2_b32 v[6:7], v3 offset1:32
	s_waitcnt lgkmcnt(0)
	v_max_i32_e32 v3, v6, v7
	ds_write_b32 v1, v3 offset:2048
.LBB8_174:
	s_or_b64 exec, exec, s[0:1]
	v_cmp_gt_u32_e32 vcc, 16, v0
	s_waitcnt lgkmcnt(0)
	s_barrier
	s_and_saveexec_b64 s[0:1], vcc
	s_cbranch_execz .LBB8_176
; %bb.175:
	v_add_u32_e32 v3, 0x800, v1
	ds_read2_b32 v[6:7], v3 offset1:16
	s_waitcnt lgkmcnt(0)
	v_max_i32_e32 v3, v6, v7
	ds_write_b32 v1, v3 offset:2048
.LBB8_176:
	;; [unrolled: 13-line block ×5, first 2 shown]
	s_or_b64 exec, exec, s[0:1]
	v_cmp_eq_u32_e32 vcc, 0, v0
	s_waitcnt lgkmcnt(0)
	s_barrier
	s_and_saveexec_b64 s[0:1], vcc
	s_cbranch_execz .LBB8_184
; %bb.183:
	v_mov_b32_e32 v1, 0
	ds_read_b64 v[6:7], v1 offset:2048
	s_waitcnt lgkmcnt(0)
	v_max_i32_e32 v3, v6, v7
	ds_write_b32 v1, v3 offset:2048
.LBB8_184:
	s_or_b64 exec, exec, s[0:1]
	s_waitcnt lgkmcnt(0)
	s_barrier
	s_and_saveexec_b64 s[0:1], vcc
	s_cbranch_execz .LBB8_187
; %bb.185:
	v_mbcnt_lo_u32_b32 v1, exec_lo, 0
	v_mbcnt_hi_u32_b32 v1, exec_hi, v1
	v_cmp_eq_u32_e32 vcc, 0, v1
	s_and_b64 exec, exec, vcc
	s_cbranch_execz .LBB8_187
; %bb.186:
	v_mov_b32_e32 v1, 0
	ds_read_b32 v3, v1 offset:2048
	s_load_dwordx2 s[2:3], s[4:5], 0x8
	s_waitcnt lgkmcnt(0)
	v_add_u32_e32 v3, 1, v3
	global_atomic_smax v1, v3, s[2:3]
.LBB8_187:
	s_or_b64 exec, exec, s[0:1]
	v_cmp_eq_u32_e32 vcc, 0, v0
	s_and_b64 s[0:1], vcc, s[34:35]
	s_and_saveexec_b64 s[4:5], s[0:1]
	s_cbranch_execz .LBB8_192
.LBB8_188:
	v_mov_b32_e32 v0, 0
	s_waitcnt lgkmcnt(0)
	global_load_dword v5, v0, s[20:21] glc
	s_brev_b32 s2, 1
	v_cmp_eq_f32_e64 s[0:1], 0, v4
	s_mov_b64 s[6:7], 0
                                        ; implicit-def: $sgpr8_sgpr9
                                        ; implicit-def: $sgpr12_sgpr13
	s_waitcnt vmcnt(0)
	v_cmp_eq_u32_e64 s[10:11], s2, v5
	s_branch .LBB8_190
.LBB8_189:                              ;   in Loop: Header=BB8_190 Depth=1
	s_or_b64 exec, exec, s[14:15]
	s_and_b64 s[2:3], exec, s[8:9]
	s_or_b64 s[6:7], s[2:3], s[6:7]
	s_andn2_b64 s[2:3], s[10:11], exec
	s_and_b64 s[10:11], s[12:13], exec
	s_or_b64 s[10:11], s[2:3], s[10:11]
	s_andn2_b64 exec, exec, s[6:7]
	s_cbranch_execz .LBB8_192
.LBB8_190:                              ; =>This Inner Loop Header: Depth=1
	v_cmp_lt_f32_e64 s[2:3], v5, v4
	s_and_b64 s[14:15], s[0:1], s[10:11]
	s_or_b64 s[2:3], s[2:3], s[14:15]
	s_andn2_b64 s[12:13], s[12:13], exec
	s_or_b64 s[8:9], s[8:9], exec
	s_and_saveexec_b64 s[14:15], s[2:3]
	s_cbranch_execz .LBB8_189
; %bb.191:                              ;   in Loop: Header=BB8_190 Depth=1
	global_atomic_cmpswap v1, v0, v[4:5], s[20:21] glc
	s_andn2_b64 s[12:13], s[12:13], exec
	s_andn2_b64 s[8:9], s[8:9], exec
                                        ; implicit-def: $sgpr10_sgpr11
	s_waitcnt vmcnt(0)
	v_cmp_eq_u32_e64 s[2:3], v1, v5
	v_cndmask_b32_e64 v3, v1, v5, s[2:3]
	v_cmp_class_f32_e64 s[16:17], v3, 32
	s_and_b64 s[2:3], s[2:3], exec
	s_and_b64 s[16:17], s[16:17], exec
	s_or_b64 s[8:9], s[8:9], s[2:3]
	s_or_b64 s[12:13], s[12:13], s[16:17]
	v_mov_b32_e32 v5, v1
	s_branch .LBB8_189
.LBB8_192:
	s_or_b64 exec, exec, s[4:5]
	s_and_b64 s[0:1], vcc, s[30:31]
	s_and_saveexec_b64 s[2:3], s[0:1]
	s_cbranch_execz .LBB8_197
; %bb.193:
	v_mov_b32_e32 v0, 0
	s_waitcnt lgkmcnt(0)
	global_load_dword v3, v0, s[22:23] glc
	s_brev_b32 s0, 1
	v_cmp_eq_f32_e32 vcc, 0, v2
	s_mov_b64 s[2:3], 0
                                        ; implicit-def: $sgpr4_sgpr5
                                        ; implicit-def: $sgpr8_sgpr9
	s_waitcnt vmcnt(0)
	v_cmp_eq_u32_e64 s[6:7], s0, v3
	s_branch .LBB8_195
.LBB8_194:                              ;   in Loop: Header=BB8_195 Depth=1
	s_or_b64 exec, exec, s[10:11]
	s_and_b64 s[0:1], exec, s[4:5]
	s_or_b64 s[2:3], s[0:1], s[2:3]
	s_andn2_b64 s[0:1], s[6:7], exec
	s_and_b64 s[6:7], s[8:9], exec
	s_or_b64 s[6:7], s[0:1], s[6:7]
	s_andn2_b64 exec, exec, s[2:3]
	s_cbranch_execz .LBB8_197
.LBB8_195:                              ; =>This Inner Loop Header: Depth=1
	v_cmp_lt_f32_e64 s[0:1], v3, v2
	s_and_b64 s[10:11], vcc, s[6:7]
	s_or_b64 s[0:1], s[0:1], s[10:11]
	s_andn2_b64 s[8:9], s[8:9], exec
	s_or_b64 s[4:5], s[4:5], exec
	s_and_saveexec_b64 s[10:11], s[0:1]
	s_cbranch_execz .LBB8_194
; %bb.196:                              ;   in Loop: Header=BB8_195 Depth=1
	global_atomic_cmpswap v1, v0, v[2:3], s[22:23] glc
	s_andn2_b64 s[8:9], s[8:9], exec
	s_andn2_b64 s[4:5], s[4:5], exec
                                        ; implicit-def: $sgpr6_sgpr7
	s_waitcnt vmcnt(0)
	v_cmp_eq_u32_e64 s[0:1], v1, v3
	v_cndmask_b32_e64 v3, v1, v3, s[0:1]
	v_cmp_class_f32_e64 s[12:13], v3, 32
	s_and_b64 s[0:1], s[0:1], exec
	s_and_b64 s[12:13], s[12:13], exec
	s_or_b64 s[4:5], s[4:5], s[0:1]
	s_or_b64 s[8:9], s[8:9], s[12:13]
	v_mov_b32_e32 v3, v1
	s_branch .LBB8_194
.LBB8_197:
	s_endpgm
	.section	.rodata,"a",@progbits
	.p2align	6, 0x0
	.amdhsa_kernel _ZN9rocsparseL6kernelILi1024ELi2EfiiEEvbbbT3_PS1_NS_15floating_traitsIT1_E6data_tES1_T2_PKS7_S9_PKS1_PKS4_21rocsparse_index_base_S9_S9_SB_PS4_SF_SE_S9_S9_SB_SF_SF_SE_SF_SF_PS6_SG_PKS6_
		.amdhsa_group_segment_fixed_size 4096
		.amdhsa_private_segment_fixed_size 0
		.amdhsa_kernarg_size 208
		.amdhsa_user_sgpr_count 6
		.amdhsa_user_sgpr_private_segment_buffer 1
		.amdhsa_user_sgpr_dispatch_ptr 0
		.amdhsa_user_sgpr_queue_ptr 0
		.amdhsa_user_sgpr_kernarg_segment_ptr 1
		.amdhsa_user_sgpr_dispatch_id 0
		.amdhsa_user_sgpr_flat_scratch_init 0
		.amdhsa_user_sgpr_kernarg_preload_length 0
		.amdhsa_user_sgpr_kernarg_preload_offset 0
		.amdhsa_user_sgpr_private_segment_size 0
		.amdhsa_uses_dynamic_stack 0
		.amdhsa_system_sgpr_private_segment_wavefront_offset 0
		.amdhsa_system_sgpr_workgroup_id_x 1
		.amdhsa_system_sgpr_workgroup_id_y 0
		.amdhsa_system_sgpr_workgroup_id_z 0
		.amdhsa_system_sgpr_workgroup_info 0
		.amdhsa_system_vgpr_workitem_id 0
		.amdhsa_next_free_vgpr 49
		.amdhsa_next_free_sgpr 96
		.amdhsa_accum_offset 52
		.amdhsa_reserve_vcc 1
		.amdhsa_reserve_flat_scratch 0
		.amdhsa_float_round_mode_32 0
		.amdhsa_float_round_mode_16_64 0
		.amdhsa_float_denorm_mode_32 3
		.amdhsa_float_denorm_mode_16_64 3
		.amdhsa_dx10_clamp 1
		.amdhsa_ieee_mode 1
		.amdhsa_fp16_overflow 0
		.amdhsa_tg_split 0
		.amdhsa_exception_fp_ieee_invalid_op 0
		.amdhsa_exception_fp_denorm_src 0
		.amdhsa_exception_fp_ieee_div_zero 0
		.amdhsa_exception_fp_ieee_overflow 0
		.amdhsa_exception_fp_ieee_underflow 0
		.amdhsa_exception_fp_ieee_inexact 0
		.amdhsa_exception_int_div_zero 0
	.end_amdhsa_kernel
	.section	.text._ZN9rocsparseL6kernelILi1024ELi2EfiiEEvbbbT3_PS1_NS_15floating_traitsIT1_E6data_tES1_T2_PKS7_S9_PKS1_PKS4_21rocsparse_index_base_S9_S9_SB_PS4_SF_SE_S9_S9_SB_SF_SF_SE_SF_SF_PS6_SG_PKS6_,"axG",@progbits,_ZN9rocsparseL6kernelILi1024ELi2EfiiEEvbbbT3_PS1_NS_15floating_traitsIT1_E6data_tES1_T2_PKS7_S9_PKS1_PKS4_21rocsparse_index_base_S9_S9_SB_PS4_SF_SE_S9_S9_SB_SF_SF_SE_SF_SF_PS6_SG_PKS6_,comdat
.Lfunc_end8:
	.size	_ZN9rocsparseL6kernelILi1024ELi2EfiiEEvbbbT3_PS1_NS_15floating_traitsIT1_E6data_tES1_T2_PKS7_S9_PKS1_PKS4_21rocsparse_index_base_S9_S9_SB_PS4_SF_SE_S9_S9_SB_SF_SF_SE_SF_SF_PS6_SG_PKS6_, .Lfunc_end8-_ZN9rocsparseL6kernelILi1024ELi2EfiiEEvbbbT3_PS1_NS_15floating_traitsIT1_E6data_tES1_T2_PKS7_S9_PKS1_PKS4_21rocsparse_index_base_S9_S9_SB_PS4_SF_SE_S9_S9_SB_SF_SF_SE_SF_SF_PS6_SG_PKS6_
                                        ; -- End function
	.section	.AMDGPU.csdata,"",@progbits
; Kernel info:
; codeLenInByte = 6284
; NumSgprs: 100
; NumVgprs: 49
; NumAgprs: 0
; TotalNumVgprs: 49
; ScratchSize: 0
; MemoryBound: 0
; FloatMode: 240
; IeeeMode: 1
; LDSByteSize: 4096 bytes/workgroup (compile time only)
; SGPRBlocks: 12
; VGPRBlocks: 6
; NumSGPRsForWavesPerEU: 100
; NumVGPRsForWavesPerEU: 49
; AccumOffset: 52
; Occupancy: 8
; WaveLimiterHint : 1
; COMPUTE_PGM_RSRC2:SCRATCH_EN: 0
; COMPUTE_PGM_RSRC2:USER_SGPR: 6
; COMPUTE_PGM_RSRC2:TRAP_HANDLER: 0
; COMPUTE_PGM_RSRC2:TGID_X_EN: 1
; COMPUTE_PGM_RSRC2:TGID_Y_EN: 0
; COMPUTE_PGM_RSRC2:TGID_Z_EN: 0
; COMPUTE_PGM_RSRC2:TIDIG_COMP_CNT: 0
; COMPUTE_PGM_RSRC3_GFX90A:ACCUM_OFFSET: 12
; COMPUTE_PGM_RSRC3_GFX90A:TG_SPLIT: 0
	.section	.text._ZN9rocsparseL6kernelILi1024ELi4EfiiEEvbbbT3_PS1_NS_15floating_traitsIT1_E6data_tES1_T2_PKS7_S9_PKS1_PKS4_21rocsparse_index_base_S9_S9_SB_PS4_SF_SE_S9_S9_SB_SF_SF_SE_SF_SF_PS6_SG_PKS6_,"axG",@progbits,_ZN9rocsparseL6kernelILi1024ELi4EfiiEEvbbbT3_PS1_NS_15floating_traitsIT1_E6data_tES1_T2_PKS7_S9_PKS1_PKS4_21rocsparse_index_base_S9_S9_SB_PS4_SF_SE_S9_S9_SB_SF_SF_SE_SF_SF_PS6_SG_PKS6_,comdat
	.globl	_ZN9rocsparseL6kernelILi1024ELi4EfiiEEvbbbT3_PS1_NS_15floating_traitsIT1_E6data_tES1_T2_PKS7_S9_PKS1_PKS4_21rocsparse_index_base_S9_S9_SB_PS4_SF_SE_S9_S9_SB_SF_SF_SE_SF_SF_PS6_SG_PKS6_ ; -- Begin function _ZN9rocsparseL6kernelILi1024ELi4EfiiEEvbbbT3_PS1_NS_15floating_traitsIT1_E6data_tES1_T2_PKS7_S9_PKS1_PKS4_21rocsparse_index_base_S9_S9_SB_PS4_SF_SE_S9_S9_SB_SF_SF_SE_SF_SF_PS6_SG_PKS6_
	.p2align	8
	.type	_ZN9rocsparseL6kernelILi1024ELi4EfiiEEvbbbT3_PS1_NS_15floating_traitsIT1_E6data_tES1_T2_PKS7_S9_PKS1_PKS4_21rocsparse_index_base_S9_S9_SB_PS4_SF_SE_S9_S9_SB_SF_SF_SE_SF_SF_PS6_SG_PKS6_,@function
_ZN9rocsparseL6kernelILi1024ELi4EfiiEEvbbbT3_PS1_NS_15floating_traitsIT1_E6data_tES1_T2_PKS7_S9_PKS1_PKS4_21rocsparse_index_base_S9_S9_SB_PS4_SF_SE_S9_S9_SB_SF_SF_SE_SF_SF_PS6_SG_PKS6_: ; @_ZN9rocsparseL6kernelILi1024ELi4EfiiEEvbbbT3_PS1_NS_15floating_traitsIT1_E6data_tES1_T2_PKS7_S9_PKS1_PKS4_21rocsparse_index_base_S9_S9_SB_PS4_SF_SE_S9_S9_SB_SF_SF_SE_SF_SF_PS6_SG_PKS6_
; %bb.0:
	s_load_dword s0, s[4:5], 0x0
	s_load_dwordx2 s[8:9], s[4:5], 0x0
	s_load_dwordx2 s[70:71], s[4:5], 0x10
	s_load_dwordx4 s[20:23], s[4:5], 0xb8
	v_lshrrev_b32_e32 v3, 2, v0
	s_waitcnt lgkmcnt(0)
	s_bitcmp1_b32 s0, 0
	s_cselect_b64 s[66:67], -1, 0
	s_bitcmp1_b32 s0, 8
	s_cselect_b64 s[64:65], -1, 0
	;; [unrolled: 2-line block ×3, first 2 shown]
	s_lshl_b32 s1, s6, 10
	s_mov_b32 s3, s9
                                        ; implicit-def: $vgpr48 : SGPR spill to VGPR lane
	v_or_b32_e32 v28, s1, v3
	v_writelane_b32 v48, s2, 0
	s_cmp_gt_i32 s9, 0
	v_cmp_gt_i32_e32 vcc, s71, v28
	v_writelane_b32 v48, s3, 1
	s_cselect_b64 s[2:3], -1, 0
	v_and_b32_e32 v5, 3, v0
	v_lshlrev_b32_e32 v1, 2, v0
	v_mov_b32_e32 v2, 0
	s_and_b64 s[2:3], s[2:3], vcc
	s_mov_b32 s6, 0
	v_mov_b32_e32 v4, 0
	v_mov_b32_e32 v6, 0
	ds_write_b32 v1, v2
	s_waitcnt lgkmcnt(0)
	s_barrier
	s_and_saveexec_b64 s[8:9], s[2:3]
	s_cbranch_execnz .LBB9_3
; %bb.1:
	s_or_b64 exec, exec, s[8:9]
	s_andn2_b64 vcc, exec, s[66:67]
	s_cbranch_vccz .LBB9_160
.LBB9_2:
	v_cmp_eq_u32_e32 vcc, 0, v0
	s_and_b64 s[0:1], vcc, s[64:65]
	s_and_saveexec_b64 s[4:5], s[0:1]
	s_cbranch_execnz .LBB9_182
	s_branch .LBB9_186
.LBB9_3:
	s_load_dwordx2 s[2:3], s[4:5], 0xc8
	v_writelane_b32 v48, s8, 2
	v_writelane_b32 v48, s9, 3
	s_load_dwordx4 s[60:63], s[4:5], 0xa8
	s_load_dwordx8 s[36:43], s[4:5], 0x78
	s_load_dwordx8 s[44:51], s[4:5], 0x48
	;; [unrolled: 1-line block ×3, first 2 shown]
	s_load_dword s33, s[4:5], 0x40
	s_load_dwordx2 s[78:79], s[4:5], 0x68
	s_load_dword s7, s[4:5], 0x70
	s_load_dwordx2 s[80:81], s[4:5], 0x98
	s_waitcnt lgkmcnt(0)
	v_writelane_b32 v48, s2, 4
	v_writelane_b32 v48, s3, 5
	s_xor_b64 s[2:3], s[64:65], -1
	v_writelane_b32 v48, s2, 6
	v_writelane_b32 v48, s3, 7
	;; [unrolled: 1-line block ×3, first 2 shown]
	s_addk_i32 s1, 0x400
	v_writelane_b32 v48, s5, 9
	v_cmp_gt_u32_e64 s[2:3], s1, v28
	v_writelane_b32 v48, s2, 10
	v_writelane_b32 v48, s3, 11
	v_cmp_eq_u32_e64 s[2:3], 3, v5
	s_load_dword s0, s[4:5], 0xa0
	v_writelane_b32 v48, s2, 12
	v_writelane_b32 v48, s3, 13
	s_movk_i32 s2, 0x80
	v_cmp_gt_u32_e64 s[4:5], s2, v0
	s_and_b64 s[2:3], s[64:65], s[34:35]
	s_xor_b64 s[2:3], s[2:3], -1
	v_writelane_b32 v48, s2, 14
	v_not_b32_e32 v2, v5
	v_or_b32_e32 v4, 4, v5
	v_subrev_u32_e32 v29, s33, v5
	v_lshlrev_b32_e32 v30, 2, v3
	v_cmp_gt_u32_e64 s[8:9], 64, v0
	v_cmp_gt_u32_e64 s[10:11], 32, v0
	v_cmp_gt_u32_e64 s[12:13], 16, v0
	v_cmp_gt_u32_e64 s[14:15], 8, v0
	v_cmp_gt_u32_e64 s[16:17], 4, v0
	v_cmp_gt_u32_e64 s[18:19], 2, v0
	v_cmp_eq_u32_e64 s[20:21], 0, v0
	v_subrev_u32_e32 v31, s7, v5
	s_waitcnt lgkmcnt(0)
	v_subrev_u32_e32 v32, s0, v5
	v_cmp_eq_u32_e64 s[22:23], 0, v5
	v_writelane_b32 v48, s3, 15
	v_add_u32_e32 v33, s0, v2
	v_subrev_u32_e32 v34, s0, v4
	v_add_u32_e32 v35, s7, v2
	v_subrev_u32_e32 v36, s7, v4
	s_mov_b64 s[84:85], 0
	v_mov_b32_e32 v7, 0
	s_movk_i32 s2, 0x1f8
	v_mov_b32_e32 v37, 0
	v_mov_b32_e32 v4, 0
	v_mov_b32_e32 v2, 0
	s_branch .LBB9_5
.LBB9_4:                                ;   in Loop: Header=BB9_5 Depth=1
	s_or_b64 exec, exec, s[28:29]
	s_and_b64 s[24:25], exec, s[26:27]
	s_or_b64 s[84:85], s[24:25], s[84:85]
	s_andn2_b64 exec, exec, s[84:85]
	s_cbranch_execz .LBB9_159
.LBB9_5:                                ; =>This Loop Header: Depth=1
                                        ;     Child Loop BB9_9 Depth 2
                                        ;       Child Loop BB9_14 Depth 3
                                        ;         Child Loop BB9_18 Depth 4
                                        ;         Child Loop BB9_39 Depth 4
	;; [unrolled: 1-line block ×5, first 2 shown]
                                        ;     Child Loop BB9_128 Depth 2
                                        ;       Child Loop BB9_132 Depth 3
                                        ;       Child Loop BB9_136 Depth 3
	;; [unrolled: 1-line block ×4, first 2 shown]
	v_cndmask_b32_e64 v4, v4, 0, s[64:65]
	v_cndmask_b32_e64 v2, v2, 0, s[34:35]
	s_mov_b32 s3, 0
	s_branch .LBB9_9
.LBB9_6:                                ;   in Loop: Header=BB9_9 Depth=2
	s_or_b64 exec, exec, s[90:91]
.LBB9_7:                                ;   in Loop: Header=BB9_9 Depth=2
	s_or_b64 exec, exec, s[88:89]
.LBB9_8:                                ;   in Loop: Header=BB9_9 Depth=2
	s_or_b64 exec, exec, s[86:87]
	s_add_i32 s3, s3, 1
	s_cmp_eq_u32 s3, 4
	s_cbranch_scc1 .LBB9_85
.LBB9_9:                                ;   Parent Loop BB9_5 Depth=1
                                        ; =>  This Loop Header: Depth=2
                                        ;       Child Loop BB9_14 Depth 3
                                        ;         Child Loop BB9_18 Depth 4
                                        ;         Child Loop BB9_39 Depth 4
	;; [unrolled: 1-line block ×5, first 2 shown]
	v_lshl_add_u32 v8, s3, 8, v28
	v_cmp_gt_i32_e32 vcc, s71, v8
	s_and_saveexec_b64 s[86:87], vcc
	s_cbranch_execz .LBB9_8
; %bb.10:                               ;   in Loop: Header=BB9_9 Depth=2
	v_ashrrev_i32_e32 v9, 31, v8
	v_lshlrev_b64 v[12:13], 2, v[8:9]
	v_mov_b32_e32 v6, s53
	v_add_co_u32_e32 v10, vcc, s52, v12
	v_addc_co_u32_e32 v11, vcc, v6, v13, vcc
	global_load_dword v6, v[10:11], off
	v_mov_b32_e32 v9, s55
	v_add_co_u32_e32 v10, vcc, s54, v12
	v_addc_co_u32_e32 v11, vcc, v9, v13, vcc
	global_load_dword v9, v[10:11], off
	s_waitcnt vmcnt(1)
	v_add_u32_e32 v10, v29, v6
	s_waitcnt vmcnt(0)
	v_subrev_u32_e32 v9, s33, v9
	v_cmp_lt_i32_e32 vcc, v10, v9
	s_and_saveexec_b64 s[88:89], vcc
	s_cbranch_execz .LBB9_7
; %bb.11:                               ;   in Loop: Header=BB9_9 Depth=2
	v_mov_b32_e32 v6, s47
	v_add_co_u32_e32 v14, vcc, s46, v12
	v_addc_co_u32_e32 v15, vcc, v6, v13, vcc
	v_mov_b32_e32 v6, s45
	v_add_co_u32_e32 v12, vcc, s44, v12
	v_addc_co_u32_e32 v13, vcc, v6, v13, vcc
	global_load_dword v6, v[12:13], off
	global_load_dword v11, v[14:15], off
	v_mov_b32_e32 v16, s49
	v_mov_b32_e32 v17, s51
	s_mov_b64 s[90:91], 0
	s_waitcnt vmcnt(1)
	v_subrev_u32_e32 v12, s7, v6
	v_ashrrev_i32_e32 v13, 31, v12
	v_lshlrev_b64 v[14:15], 2, v[12:13]
	v_add_co_u32_e32 v13, vcc, s48, v14
	v_addc_co_u32_e32 v39, vcc, v16, v15, vcc
	s_waitcnt vmcnt(0)
	v_sub_u32_e32 v38, v11, v6
	v_add_co_u32_e32 v40, vcc, s50, v14
	v_cmp_lt_i32_e64 s[24:25], 0, v38
	v_addc_co_u32_e32 v41, vcc, v17, v15, vcc
	s_branch .LBB9_14
.LBB9_12:                               ;   in Loop: Header=BB9_14 Depth=3
	s_or_b64 exec, exec, s[28:29]
.LBB9_13:                               ;   in Loop: Header=BB9_14 Depth=3
	s_or_b64 exec, exec, s[26:27]
	v_add_u32_e32 v10, 4, v10
	v_cmp_ge_i32_e32 vcc, v10, v9
	s_or_b64 s[90:91], vcc, s[90:91]
	s_andn2_b64 exec, exec, s[90:91]
	s_cbranch_execz .LBB9_6
.LBB9_14:                               ;   Parent Loop BB9_5 Depth=1
                                        ;     Parent Loop BB9_9 Depth=2
                                        ; =>    This Loop Header: Depth=3
                                        ;         Child Loop BB9_18 Depth 4
                                        ;         Child Loop BB9_39 Depth 4
	;; [unrolled: 1-line block ×5, first 2 shown]
	v_ashrrev_i32_e32 v11, 31, v10
	v_lshlrev_b64 v[22:23], 2, v[10:11]
	v_mov_b32_e32 v6, s57
	v_add_co_u32_e32 v14, vcc, s56, v22
	v_addc_co_u32_e32 v15, vcc, v6, v23, vcc
	global_load_dword v6, v[14:15], off
	v_mov_b32_e32 v11, s37
	v_mov_b32_e32 v21, s39
	s_waitcnt vmcnt(0)
	v_subrev_u32_e32 v16, s33, v6
	v_ashrrev_i32_e32 v17, 31, v16
	v_lshlrev_b64 v[14:15], 2, v[16:17]
	v_add_co_u32_e32 v18, vcc, s36, v14
	v_addc_co_u32_e32 v19, vcc, v11, v15, vcc
	v_add_co_u32_e32 v20, vcc, s38, v14
	v_addc_co_u32_e32 v21, vcc, v21, v15, vcc
	global_load_dword v6, v[18:19], off
	global_load_dword v17, v[20:21], off
	v_mov_b32_e32 v11, 0
	v_mov_b32_e32 v20, 0
	s_waitcnt vmcnt(1)
	v_subrev_u32_e32 v18, s0, v6
	s_waitcnt vmcnt(0)
	v_sub_u32_e32 v42, v17, v6
	v_mov_b32_e32 v6, 0
	s_and_saveexec_b64 s[26:27], s[24:25]
	s_cbranch_execz .LBB9_22
; %bb.15:                               ;   in Loop: Header=BB9_14 Depth=3
	v_ashrrev_i32_e32 v19, 31, v18
	v_lshlrev_b64 v[20:21], 2, v[18:19]
	v_mov_b32_e32 v6, s41
	v_add_co_u32_e32 v17, vcc, s40, v20
	v_addc_co_u32_e32 v19, vcc, v6, v21, vcc
	v_mov_b32_e32 v6, s43
	v_add_co_u32_e32 v43, vcc, s42, v20
	v_addc_co_u32_e32 v44, vcc, v6, v21, vcc
	v_mov_b32_e32 v6, 0
	s_mov_b64 s[72:73], 0
	v_mov_b32_e32 v11, 0
	v_mov_b32_e32 v20, v6
                                        ; implicit-def: $sgpr76_sgpr77
	s_branch .LBB9_18
.LBB9_16:                               ;   in Loop: Header=BB9_18 Depth=4
	s_or_b64 exec, exec, s[30:31]
	v_cmp_le_i32_e32 vcc, v21, v45
	v_addc_co_u32_e32 v6, vcc, 0, v6, vcc
	v_cmp_ge_i32_e32 vcc, v21, v45
	v_addc_co_u32_e32 v20, vcc, 0, v20, vcc
	v_cmp_ge_i32_e32 vcc, v6, v38
	s_andn2_b64 s[30:31], s[76:77], exec
	s_and_b64 s[68:69], vcc, exec
	s_or_b64 s[76:77], s[30:31], s[68:69]
.LBB9_17:                               ;   in Loop: Header=BB9_18 Depth=4
	s_or_b64 exec, exec, s[28:29]
	s_and_b64 s[28:29], exec, s[76:77]
	s_or_b64 s[72:73], s[28:29], s[72:73]
	s_andn2_b64 exec, exec, s[72:73]
	s_cbranch_execz .LBB9_21
.LBB9_18:                               ;   Parent Loop BB9_5 Depth=1
                                        ;     Parent Loop BB9_9 Depth=2
                                        ;       Parent Loop BB9_14 Depth=3
                                        ; =>      This Inner Loop Header: Depth=4
	v_cmp_lt_i32_e32 vcc, v20, v42
	s_or_b64 s[76:77], s[76:77], exec
	s_and_saveexec_b64 s[28:29], vcc
	s_cbranch_execz .LBB9_17
; %bb.19:                               ;   in Loop: Header=BB9_18 Depth=4
	v_lshlrev_b64 v[24:25], 2, v[6:7]
	v_add_co_u32_e32 v26, vcc, v13, v24
	v_addc_co_u32_e32 v27, vcc, v39, v25, vcc
	v_mov_b32_e32 v21, v7
	global_load_dword v45, v[26:27], off
	v_lshlrev_b64 v[26:27], 2, v[20:21]
	v_add_co_u32_e32 v46, vcc, v17, v26
	v_addc_co_u32_e32 v47, vcc, v19, v27, vcc
	global_load_dword v46, v[46:47], off
	s_waitcnt vmcnt(1)
	v_subrev_u32_e32 v21, s7, v45
	s_waitcnt vmcnt(0)
	v_subrev_u32_e32 v45, s0, v46
	v_cmp_eq_u32_e32 vcc, v21, v45
	s_and_saveexec_b64 s[30:31], vcc
	s_cbranch_execz .LBB9_16
; %bb.20:                               ;   in Loop: Header=BB9_18 Depth=4
	v_add_co_u32_e32 v24, vcc, v40, v24
	v_addc_co_u32_e32 v25, vcc, v41, v25, vcc
	v_add_co_u32_e32 v26, vcc, v43, v26
	v_addc_co_u32_e32 v27, vcc, v44, v27, vcc
	global_load_dword v24, v[24:25], off
	s_nop 0
	global_load_dword v25, v[26:27], off
	s_waitcnt vmcnt(0)
	v_fmac_f32_e32 v11, v24, v25
	s_branch .LBB9_16
.LBB9_21:                               ;   in Loop: Header=BB9_14 Depth=3
	s_or_b64 exec, exec, s[72:73]
.LBB9_22:                               ;   in Loop: Header=BB9_14 Depth=3
	s_or_b64 exec, exec, s[26:27]
	v_mov_b32_e32 v17, s59
	v_add_co_u32_e32 v22, vcc, s58, v22
	v_addc_co_u32_e32 v23, vcc, v17, v23, vcc
	global_load_dword v17, v[22:23], off
	v_cmp_le_i32_e64 s[26:27], v8, v16
	v_cmp_gt_i32_e32 vcc, v8, v16
	s_waitcnt vmcnt(0)
	v_sub_f32_e32 v19, v17, v11
	s_and_saveexec_b64 s[28:29], vcc
	s_cbranch_execnz .LBB9_25
; %bb.23:                               ;   in Loop: Header=BB9_14 Depth=3
	s_or_b64 exec, exec, s[28:29]
	v_cmp_class_f32_e64 s[92:93], v19, s2
	s_and_saveexec_b64 s[94:95], s[92:93]
	s_cbranch_execnz .LBB9_28
.LBB9_24:                               ;   in Loop: Header=BB9_14 Depth=3
	s_or_b64 exec, exec, s[94:95]
	s_and_b64 s[28:29], s[92:93], s[34:35]
	s_and_saveexec_b64 s[26:27], s[28:29]
	s_cbranch_execz .LBB9_13
	s_branch .LBB9_63
.LBB9_25:                               ;   in Loop: Header=BB9_14 Depth=3
	v_mov_b32_e32 v21, s61
	v_add_co_u32_e32 v22, vcc, s60, v14
	v_addc_co_u32_e32 v23, vcc, v21, v15, vcc
	global_load_dword v21, v[22:23], off
	v_mov_b32_e32 v22, 0
	s_waitcnt vmcnt(0)
	v_cmp_lg_f32_e32 vcc, 0, v21
	s_and_saveexec_b64 s[30:31], vcc
; %bb.26:                               ;   in Loop: Header=BB9_14 Depth=3
	v_div_scale_f32 v22, s[68:69], v21, v21, v19
	v_rcp_f32_e32 v23, v22
	v_div_scale_f32 v24, vcc, v19, v21, v19
	v_fma_f32 v25, -v22, v23, 1.0
	v_fmac_f32_e32 v23, v25, v23
	v_mul_f32_e32 v25, v24, v23
	v_fma_f32 v26, -v22, v25, v24
	v_fmac_f32_e32 v25, v26, v23
	v_fma_f32 v22, -v22, v25, v24
	v_div_fmas_f32 v22, v22, v23, v25
	v_div_fixup_f32 v22, v22, v21, v19
; %bb.27:                               ;   in Loop: Header=BB9_14 Depth=3
	s_or_b64 exec, exec, s[30:31]
	v_mov_b32_e32 v19, v22
	s_or_b64 exec, exec, s[28:29]
	v_cmp_class_f32_e64 s[92:93], v19, s2
	s_and_saveexec_b64 s[94:95], s[92:93]
	s_cbranch_execz .LBB9_24
.LBB9_28:                               ;   in Loop: Header=BB9_14 Depth=3
	s_and_saveexec_b64 s[28:29], s[26:27]
	s_xor_b64 s[26:27], exec, s[28:29]
	s_cbranch_execz .LBB9_49
; %bb.29:                               ;   in Loop: Header=BB9_14 Depth=3
	v_cmp_ge_i32_e32 vcc, v8, v16
	s_and_saveexec_b64 s[28:29], vcc
	s_xor_b64 s[28:29], exec, s[28:29]
	s_cbranch_execz .LBB9_35
; %bb.30:                               ;   in Loop: Header=BB9_14 Depth=3
	v_mov_b32_e32 v21, s63
	v_add_co_u32_e32 v22, vcc, s62, v14
	v_addc_co_u32_e32 v23, vcc, v21, v15, vcc
	s_andn2_b64 vcc, exec, s[64:65]
	global_store_dword v[22:23], v19, off
	s_cbranch_vccnz .LBB9_34
; %bb.31:                               ;   in Loop: Header=BB9_14 Depth=3
	v_mov_b32_e32 v21, s61
	v_add_co_u32_e32 v22, vcc, s60, v14
	v_addc_co_u32_e32 v23, vcc, v21, v15, vcc
	global_load_dword v21, v[22:23], off
	s_waitcnt vmcnt(0)
	v_sub_f32_e32 v19, v21, v19
	v_cmp_class_f32_e64 s[68:69], v19, s2
	s_and_saveexec_b64 s[30:31], s[68:69]
; %bb.32:                               ;   in Loop: Header=BB9_14 Depth=3
	v_cmp_lt_f32_e64 s[68:69], v4, |v19|
	v_cndmask_b32_e64 v4, v4, |v19|, s[68:69]
; %bb.33:                               ;   in Loop: Header=BB9_14 Depth=3
	s_or_b64 exec, exec, s[30:31]
.LBB9_34:                               ;   in Loop: Header=BB9_14 Depth=3
                                        ; implicit-def: $vgpr19
.LBB9_35:                               ;   in Loop: Header=BB9_14 Depth=3
	s_andn2_saveexec_b64 s[72:73], s[28:29]
	s_cbranch_execz .LBB9_48
; %bb.36:                               ;   in Loop: Header=BB9_14 Depth=3
	v_cmp_lt_i32_e32 vcc, v20, v42
	s_and_saveexec_b64 s[76:77], vcc
	s_cbranch_execz .LBB9_47
; %bb.37:                               ;   in Loop: Header=BB9_14 Depth=3
	s_mov_b64 s[28:29], 0
	v_mov_b32_e32 v21, v20
                                        ; implicit-def: $sgpr30_sgpr31
                                        ; implicit-def: $sgpr82_sgpr83
                                        ; implicit-def: $sgpr74_sgpr75
	s_branch .LBB9_39
.LBB9_38:                               ;   in Loop: Header=BB9_39 Depth=4
	s_or_b64 exec, exec, s[68:69]
	s_and_b64 s[68:69], exec, s[82:83]
	s_or_b64 s[28:29], s[68:69], s[28:29]
	s_andn2_b64 s[30:31], s[30:31], exec
	s_and_b64 s[68:69], s[74:75], exec
	s_or_b64 s[30:31], s[30:31], s[68:69]
	s_andn2_b64 exec, exec, s[28:29]
	s_cbranch_execz .LBB9_41
.LBB9_39:                               ;   Parent Loop BB9_5 Depth=1
                                        ;     Parent Loop BB9_9 Depth=2
                                        ;       Parent Loop BB9_14 Depth=3
                                        ; =>      This Inner Loop Header: Depth=4
	v_add_u32_e32 v22, v18, v21
	v_ashrrev_i32_e32 v23, 31, v22
	v_lshlrev_b64 v[22:23], 2, v[22:23]
	v_mov_b32_e32 v25, s41
	v_add_co_u32_e32 v24, vcc, s40, v22
	v_addc_co_u32_e32 v25, vcc, v25, v23, vcc
	global_load_dword v24, v[24:25], off
	s_or_b64 s[74:75], s[74:75], exec
	s_or_b64 s[82:83], s[82:83], exec
	s_waitcnt vmcnt(0)
	v_subrev_u32_e32 v24, s0, v24
	v_cmp_ne_u32_e32 vcc, v24, v8
	s_and_saveexec_b64 s[68:69], vcc
	s_cbranch_execz .LBB9_38
; %bb.40:                               ;   in Loop: Header=BB9_39 Depth=4
	v_add_u32_e32 v21, 1, v21
	v_cmp_ge_i32_e32 vcc, v21, v42
	s_andn2_b64 s[82:83], s[82:83], exec
	s_and_b64 vcc, vcc, exec
	s_andn2_b64 s[74:75], s[74:75], exec
	s_or_b64 s[82:83], s[82:83], vcc
	s_branch .LBB9_38
.LBB9_41:                               ;   in Loop: Header=BB9_14 Depth=3
	s_or_b64 exec, exec, s[28:29]
	s_and_saveexec_b64 s[28:29], s[30:31]
	s_xor_b64 s[28:29], exec, s[28:29]
	s_cbranch_execz .LBB9_46
; %bb.42:                               ;   in Loop: Header=BB9_14 Depth=3
	v_mov_b32_e32 v21, s81
	v_add_co_u32_e32 v24, vcc, s80, v22
	v_addc_co_u32_e32 v25, vcc, v21, v23, vcc
	s_andn2_b64 vcc, exec, s[64:65]
	global_store_dword v[24:25], v19, off
	s_cbranch_vccnz .LBB9_46
; %bb.43:                               ;   in Loop: Header=BB9_14 Depth=3
	v_mov_b32_e32 v21, s43
	v_add_co_u32_e32 v22, vcc, s42, v22
	v_addc_co_u32_e32 v23, vcc, v21, v23, vcc
	global_load_dword v21, v[22:23], off
	s_waitcnt vmcnt(0)
	v_sub_f32_e32 v19, v21, v19
	v_cmp_class_f32_e64 s[68:69], v19, s2
	s_and_saveexec_b64 s[30:31], s[68:69]
; %bb.44:                               ;   in Loop: Header=BB9_14 Depth=3
	v_cmp_lt_f32_e64 s[68:69], v4, |v19|
	v_cndmask_b32_e64 v4, v4, |v19|, s[68:69]
; %bb.45:                               ;   in Loop: Header=BB9_14 Depth=3
	s_or_b64 exec, exec, s[30:31]
.LBB9_46:                               ;   in Loop: Header=BB9_14 Depth=3
	s_or_b64 exec, exec, s[28:29]
.LBB9_47:                               ;   in Loop: Header=BB9_14 Depth=3
	s_or_b64 exec, exec, s[76:77]
.LBB9_48:                               ;   in Loop: Header=BB9_14 Depth=3
	s_or_b64 exec, exec, s[72:73]
                                        ; implicit-def: $vgpr19
.LBB9_49:                               ;   in Loop: Header=BB9_14 Depth=3
	s_andn2_saveexec_b64 s[26:27], s[26:27]
	s_cbranch_execz .LBB9_62
; %bb.50:                               ;   in Loop: Header=BB9_14 Depth=3
	v_cmp_lt_i32_e32 vcc, v6, v38
	s_and_saveexec_b64 s[72:73], vcc
	s_cbranch_execz .LBB9_61
; %bb.51:                               ;   in Loop: Header=BB9_14 Depth=3
	s_mov_b64 s[76:77], 0
	v_mov_b32_e32 v21, v6
                                        ; implicit-def: $sgpr28_sgpr29
                                        ; implicit-def: $sgpr74_sgpr75
                                        ; implicit-def: $sgpr30_sgpr31
	s_branch .LBB9_53
.LBB9_52:                               ;   in Loop: Header=BB9_53 Depth=4
	s_or_b64 exec, exec, s[82:83]
	s_and_b64 s[68:69], exec, s[74:75]
	s_or_b64 s[76:77], s[68:69], s[76:77]
	s_andn2_b64 s[28:29], s[28:29], exec
	s_and_b64 s[68:69], s[30:31], exec
	s_or_b64 s[28:29], s[28:29], s[68:69]
	s_andn2_b64 exec, exec, s[76:77]
	s_cbranch_execz .LBB9_55
.LBB9_53:                               ;   Parent Loop BB9_5 Depth=1
                                        ;     Parent Loop BB9_9 Depth=2
                                        ;       Parent Loop BB9_14 Depth=3
                                        ; =>      This Inner Loop Header: Depth=4
	v_add_u32_e32 v22, v12, v21
	v_ashrrev_i32_e32 v23, 31, v22
	v_lshlrev_b64 v[22:23], 2, v[22:23]
	v_mov_b32_e32 v25, s49
	v_add_co_u32_e32 v24, vcc, s48, v22
	v_addc_co_u32_e32 v25, vcc, v25, v23, vcc
	global_load_dword v24, v[24:25], off
	s_or_b64 s[30:31], s[30:31], exec
	s_or_b64 s[74:75], s[74:75], exec
	s_waitcnt vmcnt(0)
	v_subrev_u32_e32 v24, s7, v24
	v_cmp_ne_u32_e32 vcc, v24, v16
	s_and_saveexec_b64 s[82:83], vcc
	s_cbranch_execz .LBB9_52
; %bb.54:                               ;   in Loop: Header=BB9_53 Depth=4
	v_add_u32_e32 v21, 1, v21
	v_cmp_ge_i32_e32 vcc, v21, v38
	s_andn2_b64 s[68:69], s[74:75], exec
	s_and_b64 s[74:75], vcc, exec
	s_andn2_b64 s[30:31], s[30:31], exec
	s_or_b64 s[74:75], s[68:69], s[74:75]
	s_branch .LBB9_52
.LBB9_55:                               ;   in Loop: Header=BB9_14 Depth=3
	s_or_b64 exec, exec, s[76:77]
	s_and_saveexec_b64 s[30:31], s[28:29]
	s_xor_b64 s[28:29], exec, s[30:31]
	s_cbranch_execz .LBB9_60
; %bb.56:                               ;   in Loop: Header=BB9_14 Depth=3
	v_mov_b32_e32 v21, s79
	v_add_co_u32_e32 v24, vcc, s78, v22
	v_addc_co_u32_e32 v25, vcc, v21, v23, vcc
	s_andn2_b64 vcc, exec, s[64:65]
	global_store_dword v[24:25], v19, off
	s_cbranch_vccnz .LBB9_60
; %bb.57:                               ;   in Loop: Header=BB9_14 Depth=3
	v_mov_b32_e32 v21, s51
	v_add_co_u32_e32 v22, vcc, s50, v22
	v_addc_co_u32_e32 v23, vcc, v21, v23, vcc
	global_load_dword v21, v[22:23], off
	s_waitcnt vmcnt(0)
	v_sub_f32_e32 v19, v21, v19
	v_cmp_class_f32_e64 s[68:69], v19, s2
	s_and_saveexec_b64 s[30:31], s[68:69]
; %bb.58:                               ;   in Loop: Header=BB9_14 Depth=3
	v_cmp_lt_f32_e64 s[68:69], v4, |v19|
	v_cndmask_b32_e64 v4, v4, |v19|, s[68:69]
; %bb.59:                               ;   in Loop: Header=BB9_14 Depth=3
	s_or_b64 exec, exec, s[30:31]
.LBB9_60:                               ;   in Loop: Header=BB9_14 Depth=3
	s_or_b64 exec, exec, s[28:29]
.LBB9_61:                               ;   in Loop: Header=BB9_14 Depth=3
	s_or_b64 exec, exec, s[72:73]
.LBB9_62:                               ;   in Loop: Header=BB9_14 Depth=3
	s_or_b64 exec, exec, s[26:27]
	s_or_b64 exec, exec, s[94:95]
	s_and_b64 s[28:29], s[92:93], s[34:35]
	s_and_saveexec_b64 s[26:27], s[28:29]
	s_cbranch_execz .LBB9_13
.LBB9_63:                               ;   in Loop: Header=BB9_14 Depth=3
	v_cmp_ge_i32_e32 vcc, v20, v42
	s_and_saveexec_b64 s[28:29], vcc
	s_xor_b64 s[72:73], exec, s[28:29]
	s_cbranch_execnz .LBB9_69
; %bb.64:                               ;   in Loop: Header=BB9_14 Depth=3
	s_andn2_saveexec_b64 s[72:73], s[72:73]
	s_cbranch_execnz .LBB9_78
.LBB9_65:                               ;   in Loop: Header=BB9_14 Depth=3
	s_or_b64 exec, exec, s[72:73]
	v_cmp_eq_u32_e32 vcc, v8, v16
	s_and_saveexec_b64 s[28:29], vcc
	s_cbranch_execz .LBB9_67
.LBB9_66:                               ;   in Loop: Header=BB9_14 Depth=3
	v_mov_b32_e32 v6, s61
	v_add_co_u32_e32 v14, vcc, s60, v14
	v_addc_co_u32_e32 v15, vcc, v6, v15, vcc
	global_load_dword v6, v[14:15], off
	s_waitcnt vmcnt(0)
	v_add_f32_e32 v11, v11, v6
.LBB9_67:                               ;   in Loop: Header=BB9_14 Depth=3
	s_or_b64 exec, exec, s[28:29]
	v_sub_f32_e32 v6, v17, v11
	v_cmp_class_f32_e64 s[30:31], v6, s2
	s_and_saveexec_b64 s[28:29], s[30:31]
	s_cbranch_execz .LBB9_12
; %bb.68:                               ;   in Loop: Header=BB9_14 Depth=3
	v_cmp_lt_f32_e64 s[30:31], v2, |v6|
	v_cndmask_b32_e64 v2, v2, |v6|, s[30:31]
	s_branch .LBB9_12
.LBB9_69:                               ;   in Loop: Header=BB9_14 Depth=3
	v_cmp_lt_i32_e32 vcc, v6, v38
	s_and_saveexec_b64 s[76:77], vcc
	s_cbranch_execz .LBB9_77
; %bb.70:                               ;   in Loop: Header=BB9_14 Depth=3
	s_mov_b64 s[28:29], 0
                                        ; implicit-def: $sgpr30_sgpr31
                                        ; implicit-def: $sgpr82_sgpr83
                                        ; implicit-def: $sgpr74_sgpr75
	s_branch .LBB9_72
.LBB9_71:                               ;   in Loop: Header=BB9_72 Depth=4
	s_or_b64 exec, exec, s[68:69]
	s_and_b64 s[68:69], exec, s[82:83]
	s_or_b64 s[28:29], s[68:69], s[28:29]
	s_andn2_b64 s[30:31], s[30:31], exec
	s_and_b64 s[68:69], s[74:75], exec
	s_or_b64 s[30:31], s[30:31], s[68:69]
	s_andn2_b64 exec, exec, s[28:29]
	s_cbranch_execz .LBB9_74
.LBB9_72:                               ;   Parent Loop BB9_5 Depth=1
                                        ;     Parent Loop BB9_9 Depth=2
                                        ;       Parent Loop BB9_14 Depth=3
                                        ; =>      This Inner Loop Header: Depth=4
	v_add_u32_e32 v18, v12, v6
	v_ashrrev_i32_e32 v19, 31, v18
	v_lshlrev_b64 v[18:19], 2, v[18:19]
	v_mov_b32_e32 v21, s49
	v_add_co_u32_e32 v20, vcc, s48, v18
	v_addc_co_u32_e32 v21, vcc, v21, v19, vcc
	global_load_dword v20, v[20:21], off
	s_or_b64 s[74:75], s[74:75], exec
	s_or_b64 s[82:83], s[82:83], exec
	s_waitcnt vmcnt(0)
	v_subrev_u32_e32 v20, s7, v20
	v_cmp_ne_u32_e32 vcc, v20, v16
	s_and_saveexec_b64 s[68:69], vcc
	s_cbranch_execz .LBB9_71
; %bb.73:                               ;   in Loop: Header=BB9_72 Depth=4
	v_add_u32_e32 v6, 1, v6
	v_cmp_ge_i32_e32 vcc, v6, v38
	s_andn2_b64 s[82:83], s[82:83], exec
	s_and_b64 s[92:93], vcc, exec
	s_andn2_b64 s[74:75], s[74:75], exec
	s_or_b64 s[82:83], s[82:83], s[92:93]
	s_branch .LBB9_71
.LBB9_74:                               ;   in Loop: Header=BB9_14 Depth=3
	s_or_b64 exec, exec, s[28:29]
	s_and_saveexec_b64 s[28:29], s[30:31]
	s_xor_b64 s[28:29], exec, s[28:29]
	s_cbranch_execz .LBB9_76
; %bb.75:                               ;   in Loop: Header=BB9_14 Depth=3
	v_mov_b32_e32 v6, s51
	v_add_co_u32_e32 v18, vcc, s50, v18
	v_addc_co_u32_e32 v19, vcc, v6, v19, vcc
	global_load_dword v6, v[18:19], off
	v_mov_b32_e32 v19, s61
	v_add_co_u32_e32 v18, vcc, s60, v14
	v_addc_co_u32_e32 v19, vcc, v19, v15, vcc
	global_load_dword v18, v[18:19], off
	s_waitcnt vmcnt(0)
	v_fmac_f32_e32 v11, v6, v18
.LBB9_76:                               ;   in Loop: Header=BB9_14 Depth=3
	s_or_b64 exec, exec, s[28:29]
.LBB9_77:                               ;   in Loop: Header=BB9_14 Depth=3
	s_or_b64 exec, exec, s[76:77]
                                        ; implicit-def: $vgpr20
                                        ; implicit-def: $vgpr18
                                        ; implicit-def: $vgpr42
	s_andn2_saveexec_b64 s[72:73], s[72:73]
	s_cbranch_execz .LBB9_65
.LBB9_78:                               ;   in Loop: Header=BB9_14 Depth=3
	s_mov_b64 s[28:29], 0
                                        ; implicit-def: $sgpr30_sgpr31
                                        ; implicit-def: $sgpr76_sgpr77
                                        ; implicit-def: $sgpr74_sgpr75
	s_branch .LBB9_80
.LBB9_79:                               ;   in Loop: Header=BB9_80 Depth=4
	s_or_b64 exec, exec, s[68:69]
	s_and_b64 s[68:69], exec, s[76:77]
	s_or_b64 s[28:29], s[68:69], s[28:29]
	s_andn2_b64 s[30:31], s[30:31], exec
	s_and_b64 s[68:69], s[74:75], exec
	s_or_b64 s[30:31], s[30:31], s[68:69]
	s_andn2_b64 exec, exec, s[28:29]
	s_cbranch_execz .LBB9_82
.LBB9_80:                               ;   Parent Loop BB9_5 Depth=1
                                        ;     Parent Loop BB9_9 Depth=2
                                        ;       Parent Loop BB9_14 Depth=3
                                        ; =>      This Inner Loop Header: Depth=4
	v_add_u32_e32 v22, v18, v20
	v_ashrrev_i32_e32 v23, 31, v22
	v_lshlrev_b64 v[22:23], 2, v[22:23]
	v_mov_b32_e32 v6, s41
	v_add_co_u32_e32 v24, vcc, s40, v22
	v_addc_co_u32_e32 v25, vcc, v6, v23, vcc
	global_load_dword v6, v[24:25], off
	s_or_b64 s[74:75], s[74:75], exec
	s_or_b64 s[76:77], s[76:77], exec
	s_waitcnt vmcnt(0)
	v_subrev_u32_e32 v6, s0, v6
	v_cmp_ne_u32_e32 vcc, v6, v8
	s_and_saveexec_b64 s[68:69], vcc
	s_cbranch_execz .LBB9_79
; %bb.81:                               ;   in Loop: Header=BB9_80 Depth=4
	v_add_u32_e32 v20, 1, v20
	v_cmp_ge_i32_e32 vcc, v20, v42
	s_andn2_b64 s[76:77], s[76:77], exec
	s_and_b64 s[82:83], vcc, exec
	s_andn2_b64 s[74:75], s[74:75], exec
	s_or_b64 s[76:77], s[76:77], s[82:83]
	s_branch .LBB9_79
.LBB9_82:                               ;   in Loop: Header=BB9_14 Depth=3
	s_or_b64 exec, exec, s[28:29]
	s_and_saveexec_b64 s[28:29], s[30:31]
	s_xor_b64 s[28:29], exec, s[28:29]
	s_cbranch_execz .LBB9_84
; %bb.83:                               ;   in Loop: Header=BB9_14 Depth=3
	v_mov_b32_e32 v6, s43
	v_add_co_u32_e32 v18, vcc, s42, v22
	v_addc_co_u32_e32 v19, vcc, v6, v23, vcc
	global_load_dword v6, v[18:19], off
	s_waitcnt vmcnt(0)
	v_add_f32_e32 v11, v11, v6
.LBB9_84:                               ;   in Loop: Header=BB9_14 Depth=3
	s_or_b64 exec, exec, s[28:29]
	s_or_b64 exec, exec, s[72:73]
	v_cmp_eq_u32_e32 vcc, v8, v16
	s_and_saveexec_b64 s[28:29], vcc
	s_cbranch_execnz .LBB9_66
	s_branch .LBB9_67
.LBB9_85:                               ;   in Loop: Header=BB9_5 Depth=1
	s_and_b64 vcc, exec, s[64:65]
	s_cbranch_vccz .LBB9_105
; %bb.86:                               ;   in Loop: Header=BB9_5 Depth=1
	v_mov_b32_dpp v6, v4 row_shr:1 row_mask:0xf bank_mask:0xf
	v_cmp_lt_f32_e32 vcc, v4, v6
	v_cndmask_b32_e32 v4, v4, v6, vcc
	s_nop 1
	v_mov_b32_dpp v6, v4 row_shr:2 row_mask:0xf bank_mask:0xf
	s_mov_b64 s[24:25], exec
	v_readlane_b32 s26, v48, 12
	v_readlane_b32 s27, v48, 13
	s_and_b64 s[26:27], s[24:25], s[26:27]
	s_mov_b64 exec, s[26:27]
	s_cbranch_execz .LBB9_88
; %bb.87:                               ;   in Loop: Header=BB9_5 Depth=1
	v_cmp_lt_f32_e32 vcc, v4, v6
	v_cndmask_b32_e32 v4, v4, v6, vcc
	ds_write_b32 v30, v4
.LBB9_88:                               ;   in Loop: Header=BB9_5 Depth=1
	s_or_b64 exec, exec, s[24:25]
	s_waitcnt lgkmcnt(0)
	s_barrier
	s_and_saveexec_b64 s[24:25], s[4:5]
	s_cbranch_execz .LBB9_90
; %bb.89:                               ;   in Loop: Header=BB9_5 Depth=1
	ds_read2st64_b32 v[8:9], v1 offset1:2
	s_waitcnt lgkmcnt(0)
	v_cmp_lt_f32_e32 vcc, v8, v9
	v_cndmask_b32_e32 v4, v8, v9, vcc
	ds_write_b32 v1, v4
.LBB9_90:                               ;   in Loop: Header=BB9_5 Depth=1
	s_or_b64 exec, exec, s[24:25]
	s_waitcnt lgkmcnt(0)
	s_barrier
	s_and_saveexec_b64 s[24:25], s[8:9]
	s_cbranch_execz .LBB9_92
; %bb.91:                               ;   in Loop: Header=BB9_5 Depth=1
	ds_read2st64_b32 v[8:9], v1 offset1:1
	s_waitcnt lgkmcnt(0)
	v_cmp_lt_f32_e32 vcc, v8, v9
	v_cndmask_b32_e32 v4, v8, v9, vcc
	ds_write_b32 v1, v4
.LBB9_92:                               ;   in Loop: Header=BB9_5 Depth=1
	s_or_b64 exec, exec, s[24:25]
	s_waitcnt lgkmcnt(0)
	s_barrier
	s_and_saveexec_b64 s[24:25], s[10:11]
	s_cbranch_execz .LBB9_94
; %bb.93:                               ;   in Loop: Header=BB9_5 Depth=1
	ds_read2_b32 v[8:9], v1 offset1:32
	s_waitcnt lgkmcnt(0)
	v_cmp_lt_f32_e32 vcc, v8, v9
	v_cndmask_b32_e32 v4, v8, v9, vcc
	ds_write_b32 v1, v4
.LBB9_94:                               ;   in Loop: Header=BB9_5 Depth=1
	s_or_b64 exec, exec, s[24:25]
	s_waitcnt lgkmcnt(0)
	s_barrier
	s_and_saveexec_b64 s[24:25], s[12:13]
	s_cbranch_execz .LBB9_96
; %bb.95:                               ;   in Loop: Header=BB9_5 Depth=1
	ds_read2_b32 v[8:9], v1 offset1:16
	s_waitcnt lgkmcnt(0)
	v_cmp_lt_f32_e32 vcc, v8, v9
	v_cndmask_b32_e32 v4, v8, v9, vcc
	ds_write_b32 v1, v4
.LBB9_96:                               ;   in Loop: Header=BB9_5 Depth=1
	;; [unrolled: 12-line block ×3, first 2 shown]
	s_or_b64 exec, exec, s[24:25]
	s_waitcnt lgkmcnt(0)
	s_barrier
	s_and_saveexec_b64 s[24:25], s[16:17]
	s_cbranch_execz .LBB9_100
; %bb.99:                               ;   in Loop: Header=BB9_5 Depth=1
	ds_read2_b32 v[8:9], v1 offset1:4
	s_waitcnt lgkmcnt(0)
	v_cmp_lt_f32_e32 vcc, v8, v9
	v_cndmask_b32_e32 v4, v8, v9, vcc
	ds_write_b32 v1, v4
.LBB9_100:                              ;   in Loop: Header=BB9_5 Depth=1
	s_or_b64 exec, exec, s[24:25]
	s_waitcnt lgkmcnt(0)
	s_barrier
	s_and_saveexec_b64 s[24:25], s[18:19]
	s_cbranch_execz .LBB9_102
; %bb.101:                              ;   in Loop: Header=BB9_5 Depth=1
	ds_read2_b32 v[8:9], v1 offset1:2
	s_waitcnt lgkmcnt(0)
	v_cmp_lt_f32_e32 vcc, v8, v9
	v_cndmask_b32_e32 v4, v8, v9, vcc
	ds_write_b32 v1, v4
.LBB9_102:                              ;   in Loop: Header=BB9_5 Depth=1
	s_or_b64 exec, exec, s[24:25]
	s_waitcnt lgkmcnt(0)
	s_barrier
	s_and_saveexec_b64 s[24:25], s[20:21]
	s_cbranch_execz .LBB9_104
; %bb.103:                              ;   in Loop: Header=BB9_5 Depth=1
	ds_read_b64 v[8:9], v37
	s_waitcnt lgkmcnt(0)
	v_cmp_lt_f32_e32 vcc, v8, v9
	v_cndmask_b32_e32 v4, v8, v9, vcc
	ds_write_b32 v37, v4
.LBB9_104:                              ;   in Loop: Header=BB9_5 Depth=1
	s_or_b64 exec, exec, s[24:25]
	v_readlane_b32 s24, v48, 4
	v_readlane_b32 s25, v48, 5
	s_waitcnt lgkmcnt(0)
	s_barrier
	ds_read_b32 v4, v37
	s_load_dword s3, s[24:25], 0x0
	s_waitcnt lgkmcnt(0)
	v_div_scale_f32 v6, s[24:25], s3, s3, v4
	v_rcp_f32_e32 v8, v6
	v_div_scale_f32 v9, vcc, v4, s3, v4
	v_fma_f32 v10, -v6, v8, 1.0
	v_fmac_f32_e32 v8, v10, v8
	v_mul_f32_e32 v10, v9, v8
	v_fma_f32 v11, -v6, v10, v9
	v_fmac_f32_e32 v10, v11, v8
	v_fma_f32 v6, -v6, v10, v9
	v_div_fmas_f32 v6, v6, v8, v10
	v_div_fixup_f32 v4, v6, s3, v4
.LBB9_105:                              ;   in Loop: Header=BB9_5 Depth=1
	s_andn2_b64 vcc, exec, s[34:35]
	s_cbranch_vccnz .LBB9_125
; %bb.106:                              ;   in Loop: Header=BB9_5 Depth=1
	v_mov_b32_dpp v6, v2 row_shr:1 row_mask:0xf bank_mask:0xf
	v_cmp_lt_f32_e32 vcc, v2, v6
	v_cndmask_b32_e32 v2, v2, v6, vcc
	s_nop 1
	v_mov_b32_dpp v6, v2 row_shr:2 row_mask:0xf bank_mask:0xf
	s_mov_b64 s[24:25], exec
	v_readlane_b32 s26, v48, 12
	v_readlane_b32 s27, v48, 13
	s_and_b64 s[26:27], s[24:25], s[26:27]
	s_mov_b64 exec, s[26:27]
	s_cbranch_execz .LBB9_108
; %bb.107:                              ;   in Loop: Header=BB9_5 Depth=1
	v_cmp_lt_f32_e32 vcc, v2, v6
	v_cndmask_b32_e32 v2, v2, v6, vcc
	ds_write_b32 v30, v2
.LBB9_108:                              ;   in Loop: Header=BB9_5 Depth=1
	s_or_b64 exec, exec, s[24:25]
	s_waitcnt lgkmcnt(0)
	s_barrier
	s_and_saveexec_b64 s[24:25], s[4:5]
	s_cbranch_execz .LBB9_110
; %bb.109:                              ;   in Loop: Header=BB9_5 Depth=1
	ds_read2st64_b32 v[8:9], v1 offset1:2
	s_waitcnt lgkmcnt(0)
	v_cmp_lt_f32_e32 vcc, v8, v9
	v_cndmask_b32_e32 v2, v8, v9, vcc
	ds_write_b32 v1, v2
.LBB9_110:                              ;   in Loop: Header=BB9_5 Depth=1
	s_or_b64 exec, exec, s[24:25]
	s_waitcnt lgkmcnt(0)
	s_barrier
	s_and_saveexec_b64 s[24:25], s[8:9]
	s_cbranch_execz .LBB9_112
; %bb.111:                              ;   in Loop: Header=BB9_5 Depth=1
	ds_read2st64_b32 v[8:9], v1 offset1:1
	s_waitcnt lgkmcnt(0)
	v_cmp_lt_f32_e32 vcc, v8, v9
	v_cndmask_b32_e32 v2, v8, v9, vcc
	ds_write_b32 v1, v2
.LBB9_112:                              ;   in Loop: Header=BB9_5 Depth=1
	s_or_b64 exec, exec, s[24:25]
	s_waitcnt lgkmcnt(0)
	s_barrier
	s_and_saveexec_b64 s[24:25], s[10:11]
	s_cbranch_execz .LBB9_114
; %bb.113:                              ;   in Loop: Header=BB9_5 Depth=1
	ds_read2_b32 v[8:9], v1 offset1:32
	s_waitcnt lgkmcnt(0)
	v_cmp_lt_f32_e32 vcc, v8, v9
	v_cndmask_b32_e32 v2, v8, v9, vcc
	ds_write_b32 v1, v2
.LBB9_114:                              ;   in Loop: Header=BB9_5 Depth=1
	s_or_b64 exec, exec, s[24:25]
	s_waitcnt lgkmcnt(0)
	s_barrier
	s_and_saveexec_b64 s[24:25], s[12:13]
	s_cbranch_execz .LBB9_116
; %bb.115:                              ;   in Loop: Header=BB9_5 Depth=1
	ds_read2_b32 v[8:9], v1 offset1:16
	s_waitcnt lgkmcnt(0)
	v_cmp_lt_f32_e32 vcc, v8, v9
	v_cndmask_b32_e32 v2, v8, v9, vcc
	ds_write_b32 v1, v2
.LBB9_116:                              ;   in Loop: Header=BB9_5 Depth=1
	;; [unrolled: 12-line block ×5, first 2 shown]
	s_or_b64 exec, exec, s[24:25]
	s_waitcnt lgkmcnt(0)
	s_barrier
	s_and_saveexec_b64 s[24:25], s[20:21]
	s_cbranch_execz .LBB9_124
; %bb.123:                              ;   in Loop: Header=BB9_5 Depth=1
	ds_read_b64 v[8:9], v37
	s_waitcnt lgkmcnt(0)
	v_cmp_lt_f32_e32 vcc, v8, v9
	v_cndmask_b32_e32 v2, v8, v9, vcc
	ds_write_b32 v37, v2
.LBB9_124:                              ;   in Loop: Header=BB9_5 Depth=1
	s_or_b64 exec, exec, s[24:25]
	v_readlane_b32 s24, v48, 4
	v_readlane_b32 s25, v48, 5
	s_waitcnt lgkmcnt(0)
	s_barrier
	ds_read_b32 v2, v37
	s_load_dword s3, s[24:25], 0x0
	s_waitcnt lgkmcnt(0)
	v_div_scale_f32 v6, s[24:25], s3, s3, v2
	v_rcp_f32_e32 v8, v6
	v_div_scale_f32 v9, vcc, v2, s3, v2
	v_fma_f32 v10, -v6, v8, 1.0
	v_fmac_f32_e32 v8, v10, v8
	v_mul_f32_e32 v10, v9, v8
	v_fma_f32 v11, -v6, v10, v9
	v_fmac_f32_e32 v10, v11, v8
	v_fma_f32 v6, -v6, v10, v9
	v_div_fmas_f32 v6, v6, v8, v10
	v_div_fixup_f32 v2, v6, s3, v2
.LBB9_125:                              ;   in Loop: Header=BB9_5 Depth=1
	s_mov_b64 s[24:25], exec
	v_readlane_b32 s26, v48, 10
	v_readlane_b32 s27, v48, 11
	s_and_b64 s[26:27], s[24:25], s[26:27]
	s_mov_b64 exec, s[26:27]
	s_cbranch_execz .LBB9_147
; %bb.126:                              ;   in Loop: Header=BB9_5 Depth=1
	s_mov_b64 s[26:27], 0
	v_mov_b32_e32 v8, v28
	s_branch .LBB9_128
.LBB9_127:                              ;   in Loop: Header=BB9_128 Depth=2
	s_or_b64 exec, exec, s[86:87]
	v_add_u32_e32 v8, 0x100, v8
	v_cmp_le_u32_e32 vcc, s1, v8
	s_or_b64 s[26:27], vcc, s[26:27]
	s_andn2_b64 exec, exec, s[26:27]
	s_cbranch_execz .LBB9_147
.LBB9_128:                              ;   Parent Loop BB9_5 Depth=1
                                        ; =>  This Loop Header: Depth=2
                                        ;       Child Loop BB9_132 Depth 3
                                        ;       Child Loop BB9_136 Depth 3
	;; [unrolled: 1-line block ×4, first 2 shown]
	v_cmp_gt_i32_e32 vcc, s71, v8
	s_and_saveexec_b64 s[86:87], vcc
	s_cbranch_execz .LBB9_127
; %bb.129:                              ;   in Loop: Header=BB9_128 Depth=2
	v_ashrrev_i32_e32 v9, 31, v8
	v_lshlrev_b64 v[10:11], 2, v[8:9]
	v_mov_b32_e32 v6, s45
	v_add_co_u32_e32 v12, vcc, s44, v10
	v_addc_co_u32_e32 v13, vcc, v6, v11, vcc
	global_load_dword v9, v[12:13], off
	v_mov_b32_e32 v6, s47
	v_add_co_u32_e32 v12, vcc, s46, v10
	v_addc_co_u32_e32 v13, vcc, v6, v11, vcc
	global_load_dword v6, v[12:13], off
	s_waitcnt vmcnt(1)
	v_add_u32_e32 v12, v31, v9
	s_waitcnt vmcnt(0)
	v_subrev_u32_e32 v6, s7, v6
	v_cmp_lt_i32_e32 vcc, v12, v6
	s_and_saveexec_b64 s[88:89], vcc
	s_cbranch_execz .LBB9_137
; %bb.130:                              ;   in Loop: Header=BB9_128 Depth=2
	v_add_u32_e32 v13, v36, v9
	v_max_i32_e32 v13, v13, v6
	v_add_u32_e32 v13, v35, v13
	v_sub_u32_e32 v9, v13, v9
	v_cmp_lt_u32_e32 vcc, 3, v9
	s_mov_b64 s[28:29], -1
	s_and_saveexec_b64 s[72:73], vcc
	s_cbranch_execz .LBB9_134
; %bb.131:                              ;   in Loop: Header=BB9_128 Depth=2
	v_lshrrev_b32_e32 v9, 2, v9
	v_add_u32_e32 v9, 1, v9
	v_and_b32_e32 v16, 0x7ffffffe, v9
	v_add_u32_e32 v13, 4, v12
	s_mov_b64 s[28:29], 0
	v_mov_b32_e32 v17, v16
	v_pk_mov_b32 v[14:15], v[12:13], v[12:13] op_sel:[0,1]
.LBB9_132:                              ;   Parent Loop BB9_5 Depth=1
                                        ;     Parent Loop BB9_128 Depth=2
                                        ; =>    This Inner Loop Header: Depth=3
	v_ashrrev_i32_e32 v21, 31, v14
	v_mov_b32_e32 v20, v14
	v_lshlrev_b64 v[20:21], 2, v[20:21]
	v_ashrrev_i32_e32 v19, 31, v15
	v_mov_b32_e32 v18, v15
	v_mov_b32_e32 v13, s79
	v_add_co_u32_e32 v22, vcc, s78, v20
	v_lshlrev_b64 v[18:19], 2, v[18:19]
	v_addc_co_u32_e32 v23, vcc, v13, v21, vcc
	v_add_co_u32_e32 v24, vcc, s78, v18
	v_addc_co_u32_e32 v25, vcc, v13, v19, vcc
	global_load_dword v13, v[22:23], off
	s_nop 0
	global_load_dword v22, v[24:25], off
	v_add_u32_e32 v17, -2, v17
	v_cmp_eq_u32_e32 vcc, 0, v17
	v_mov_b32_e32 v23, s51
	s_or_b64 s[28:29], vcc, s[28:29]
	v_add_co_u32_e32 v20, vcc, s50, v20
	v_addc_co_u32_e32 v21, vcc, v23, v21, vcc
	v_add_u32_e32 v15, 8, v15
	v_add_u32_e32 v14, 8, v14
	v_add_co_u32_e32 v18, vcc, s50, v18
	v_addc_co_u32_e32 v19, vcc, v23, v19, vcc
	s_waitcnt vmcnt(1)
	global_store_dword v[20:21], v13, off
	s_waitcnt vmcnt(1)
	global_store_dword v[18:19], v22, off
	s_andn2_b64 exec, exec, s[28:29]
	s_cbranch_execnz .LBB9_132
; %bb.133:                              ;   in Loop: Header=BB9_128 Depth=2
	s_or_b64 exec, exec, s[28:29]
	v_cmp_ne_u32_e32 vcc, v9, v16
	v_lshl_add_u32 v12, v16, 2, v12
	s_orn2_b64 s[28:29], vcc, exec
.LBB9_134:                              ;   in Loop: Header=BB9_128 Depth=2
	s_or_b64 exec, exec, s[72:73]
	s_and_b64 exec, exec, s[28:29]
	s_cbranch_execz .LBB9_137
; %bb.135:                              ;   in Loop: Header=BB9_128 Depth=2
	v_ashrrev_i32_e32 v13, 31, v12
	v_lshlrev_b64 v[16:17], 2, v[12:13]
	v_mov_b32_e32 v9, s79
	v_add_co_u32_e32 v14, vcc, s78, v16
	v_addc_co_u32_e32 v15, vcc, v9, v17, vcc
	v_mov_b32_e32 v9, s51
	v_add_co_u32_e32 v16, vcc, s50, v16
	v_addc_co_u32_e32 v17, vcc, v9, v17, vcc
	s_mov_b64 s[28:29], 0
.LBB9_136:                              ;   Parent Loop BB9_5 Depth=1
                                        ;     Parent Loop BB9_128 Depth=2
                                        ; =>    This Inner Loop Header: Depth=3
	global_load_dword v9, v[14:15], off
	v_add_co_u32_e32 v14, vcc, 16, v14
	v_add_u32_e32 v12, 4, v12
	v_addc_co_u32_e32 v15, vcc, 0, v15, vcc
	v_cmp_ge_i32_e32 vcc, v12, v6
	s_or_b64 s[28:29], vcc, s[28:29]
	s_waitcnt vmcnt(0)
	global_store_dword v[16:17], v9, off
	v_add_co_u32_e32 v16, vcc, 16, v16
	v_addc_co_u32_e32 v17, vcc, 0, v17, vcc
	s_andn2_b64 exec, exec, s[28:29]
	s_cbranch_execnz .LBB9_136
.LBB9_137:                              ;   in Loop: Header=BB9_128 Depth=2
	s_or_b64 exec, exec, s[88:89]
	v_mov_b32_e32 v6, s37
	v_add_co_u32_e32 v12, vcc, s36, v10
	v_addc_co_u32_e32 v13, vcc, v6, v11, vcc
	global_load_dword v9, v[12:13], off
	v_mov_b32_e32 v6, s39
	v_add_co_u32_e32 v12, vcc, s38, v10
	v_addc_co_u32_e32 v13, vcc, v6, v11, vcc
	global_load_dword v6, v[12:13], off
	s_waitcnt vmcnt(1)
	v_add_u32_e32 v12, v32, v9
	s_waitcnt vmcnt(0)
	v_subrev_u32_e32 v6, s0, v6
	v_cmp_lt_i32_e32 vcc, v12, v6
	s_and_saveexec_b64 s[88:89], vcc
	s_cbranch_execz .LBB9_145
; %bb.138:                              ;   in Loop: Header=BB9_128 Depth=2
	v_add_u32_e32 v13, v34, v9
	v_max_i32_e32 v13, v13, v6
	v_add_u32_e32 v13, v33, v13
	v_sub_u32_e32 v9, v13, v9
	v_cmp_lt_u32_e32 vcc, 3, v9
	s_mov_b64 s[28:29], -1
	s_and_saveexec_b64 s[72:73], vcc
	s_cbranch_execz .LBB9_142
; %bb.139:                              ;   in Loop: Header=BB9_128 Depth=2
	v_lshrrev_b32_e32 v9, 2, v9
	v_add_u32_e32 v9, 1, v9
	v_and_b32_e32 v16, 0x7ffffffe, v9
	v_add_u32_e32 v13, 4, v12
	s_mov_b64 s[28:29], 0
	v_mov_b32_e32 v17, v16
	v_pk_mov_b32 v[14:15], v[12:13], v[12:13] op_sel:[0,1]
.LBB9_140:                              ;   Parent Loop BB9_5 Depth=1
                                        ;     Parent Loop BB9_128 Depth=2
                                        ; =>    This Inner Loop Header: Depth=3
	v_ashrrev_i32_e32 v21, 31, v14
	v_mov_b32_e32 v20, v14
	v_lshlrev_b64 v[20:21], 2, v[20:21]
	v_ashrrev_i32_e32 v19, 31, v15
	v_mov_b32_e32 v18, v15
	v_mov_b32_e32 v13, s81
	v_add_co_u32_e32 v22, vcc, s80, v20
	v_lshlrev_b64 v[18:19], 2, v[18:19]
	v_addc_co_u32_e32 v23, vcc, v13, v21, vcc
	v_add_co_u32_e32 v24, vcc, s80, v18
	v_addc_co_u32_e32 v25, vcc, v13, v19, vcc
	global_load_dword v13, v[22:23], off
	s_nop 0
	global_load_dword v22, v[24:25], off
	v_add_u32_e32 v17, -2, v17
	v_cmp_eq_u32_e32 vcc, 0, v17
	v_mov_b32_e32 v23, s43
	s_or_b64 s[28:29], vcc, s[28:29]
	v_add_co_u32_e32 v20, vcc, s42, v20
	v_addc_co_u32_e32 v21, vcc, v23, v21, vcc
	v_add_u32_e32 v15, 8, v15
	v_add_u32_e32 v14, 8, v14
	v_add_co_u32_e32 v18, vcc, s42, v18
	v_addc_co_u32_e32 v19, vcc, v23, v19, vcc
	s_waitcnt vmcnt(1)
	global_store_dword v[20:21], v13, off
	s_waitcnt vmcnt(1)
	global_store_dword v[18:19], v22, off
	s_andn2_b64 exec, exec, s[28:29]
	s_cbranch_execnz .LBB9_140
; %bb.141:                              ;   in Loop: Header=BB9_128 Depth=2
	s_or_b64 exec, exec, s[28:29]
	v_cmp_ne_u32_e32 vcc, v9, v16
	v_lshl_add_u32 v12, v16, 2, v12
	s_orn2_b64 s[28:29], vcc, exec
.LBB9_142:                              ;   in Loop: Header=BB9_128 Depth=2
	s_or_b64 exec, exec, s[72:73]
	s_and_b64 exec, exec, s[28:29]
	s_cbranch_execz .LBB9_145
; %bb.143:                              ;   in Loop: Header=BB9_128 Depth=2
	v_ashrrev_i32_e32 v13, 31, v12
	v_lshlrev_b64 v[16:17], 2, v[12:13]
	v_mov_b32_e32 v9, s81
	v_add_co_u32_e32 v14, vcc, s80, v16
	v_addc_co_u32_e32 v15, vcc, v9, v17, vcc
	v_mov_b32_e32 v9, s43
	v_add_co_u32_e32 v16, vcc, s42, v16
	v_addc_co_u32_e32 v17, vcc, v9, v17, vcc
	s_mov_b64 s[28:29], 0
.LBB9_144:                              ;   Parent Loop BB9_5 Depth=1
                                        ;     Parent Loop BB9_128 Depth=2
                                        ; =>    This Inner Loop Header: Depth=3
	global_load_dword v9, v[14:15], off
	v_add_co_u32_e32 v14, vcc, 16, v14
	v_add_u32_e32 v12, 4, v12
	v_addc_co_u32_e32 v15, vcc, 0, v15, vcc
	v_cmp_ge_i32_e32 vcc, v12, v6
	s_or_b64 s[28:29], vcc, s[28:29]
	s_waitcnt vmcnt(0)
	global_store_dword v[16:17], v9, off
	v_add_co_u32_e32 v16, vcc, 16, v16
	v_addc_co_u32_e32 v17, vcc, 0, v17, vcc
	s_andn2_b64 exec, exec, s[28:29]
	s_cbranch_execnz .LBB9_144
.LBB9_145:                              ;   in Loop: Header=BB9_128 Depth=2
	s_or_b64 exec, exec, s[88:89]
	s_and_b64 exec, exec, s[22:23]
	s_cbranch_execz .LBB9_127
; %bb.146:                              ;   in Loop: Header=BB9_128 Depth=2
	v_mov_b32_e32 v6, s63
	v_add_co_u32_e32 v12, vcc, s62, v10
	v_addc_co_u32_e32 v13, vcc, v6, v11, vcc
	global_load_dword v6, v[12:13], off
	v_mov_b32_e32 v9, s61
	v_add_co_u32_e32 v10, vcc, s60, v10
	v_addc_co_u32_e32 v11, vcc, v9, v11, vcc
	s_waitcnt vmcnt(0)
	global_store_dword v[10:11], v6, off
	s_branch .LBB9_127
.LBB9_147:                              ;   in Loop: Header=BB9_5 Depth=1
	s_or_b64 exec, exec, s[24:25]
	s_mov_b64 s[26:27], -1
	s_mov_b64 s[24:25], -1
	s_and_b64 vcc, exec, s[66:67]
	s_cbranch_vccz .LBB9_157
; %bb.148:                              ;   in Loop: Header=BB9_5 Depth=1
	v_readlane_b32 s28, v48, 14
	v_readlane_b32 s29, v48, 15
	s_and_b64 vcc, exec, s[28:29]
                                        ; implicit-def: $sgpr28_sgpr29
	s_cbranch_vccz .LBB9_154
; %bb.149:                              ;   in Loop: Header=BB9_5 Depth=1
	v_readlane_b32 s28, v48, 6
	v_readlane_b32 s29, v48, 7
	s_and_b64 vcc, exec, s[28:29]
                                        ; implicit-def: $sgpr28_sgpr29
	s_cbranch_vccz .LBB9_151
; %bb.150:                              ;   in Loop: Header=BB9_5 Depth=1
	v_cmp_ge_f32_e32 vcc, s70, v2
	s_mov_b64 s[24:25], 0
	s_and_b64 s[28:29], vcc, exec
.LBB9_151:                              ;   in Loop: Header=BB9_5 Depth=1
	s_andn2_b64 vcc, exec, s[24:25]
	s_cbranch_vccnz .LBB9_153
; %bb.152:                              ;   in Loop: Header=BB9_5 Depth=1
	v_cmp_ge_f32_e32 vcc, s70, v4
	s_andn2_b64 s[24:25], s[28:29], exec
	s_and_b64 s[28:29], vcc, exec
	s_or_b64 s[28:29], s[24:25], s[28:29]
.LBB9_153:                              ;   in Loop: Header=BB9_5 Depth=1
	s_mov_b64 s[24:25], 0
.LBB9_154:                              ;   in Loop: Header=BB9_5 Depth=1
	s_andn2_b64 vcc, exec, s[24:25]
	s_cbranch_vccnz .LBB9_156
; %bb.155:                              ;   in Loop: Header=BB9_5 Depth=1
	v_cmp_ge_f32_e32 vcc, s70, v4
	v_cmp_ge_f32_e64 s[24:25], s70, v2
	s_and_b64 s[24:25], vcc, s[24:25]
	s_andn2_b64 s[28:29], s[28:29], exec
	s_and_b64 s[24:25], s[24:25], exec
	s_or_b64 s[28:29], s[28:29], s[24:25]
.LBB9_156:                              ;   in Loop: Header=BB9_5 Depth=1
	s_xor_b64 s[24:25], s[28:29], -1
.LBB9_157:                              ;   in Loop: Header=BB9_5 Depth=1
	v_mov_b32_e32 v6, s6
	s_and_saveexec_b64 s[28:29], s[24:25]
	s_cbranch_execz .LBB9_4
; %bb.158:                              ;   in Loop: Header=BB9_5 Depth=1
	v_readlane_b32 s24, v48, 0
	s_add_i32 s6, s6, 1
	v_readlane_b32 s25, v48, 1
	s_cmp_eq_u32 s6, s25
	s_mov_b32 s3, s25
	s_cselect_b64 s[24:25], -1, 0
	v_mov_b32_e32 v6, s3
	s_orn2_b64 s[26:27], s[24:25], exec
	s_branch .LBB9_4
.LBB9_159:
	s_or_b64 exec, exec, s[84:85]
	v_readlane_b32 s4, v48, 8
	v_readlane_b32 s5, v48, 9
	s_load_dwordx4 s[20:23], s[4:5], 0xb8
	v_readlane_b32 s8, v48, 2
	v_readlane_b32 s9, v48, 3
	s_or_b64 exec, exec, s[8:9]
	s_andn2_b64 vcc, exec, s[66:67]
	s_cbranch_vccnz .LBB9_2
.LBB9_160:
	v_mov_b32_dpp v7, v6 row_shr:1 row_mask:0xf bank_mask:0xf
	v_max_i32_e32 v6, v6, v7
	v_cmp_eq_u32_e32 vcc, 3, v5
	s_nop 0
	v_mov_b32_dpp v7, v6 row_shr:2 row_mask:0xf bank_mask:0xf
	s_and_saveexec_b64 s[0:1], vcc
	s_cbranch_execz .LBB9_162
; %bb.161:
	v_lshlrev_b32_e32 v3, 2, v3
	v_max_i32_e32 v5, v6, v7
	ds_write_b32 v3, v5 offset:1024
.LBB9_162:
	s_or_b64 exec, exec, s[0:1]
	s_movk_i32 s0, 0x80
	v_cmp_gt_u32_e32 vcc, s0, v0
	s_waitcnt lgkmcnt(0)
	s_barrier
	s_and_saveexec_b64 s[0:1], vcc
	s_cbranch_execz .LBB9_164
; %bb.163:
	ds_read2st64_b32 v[6:7], v1 offset0:4 offset1:6
	s_waitcnt lgkmcnt(0)
	v_max_i32_e32 v3, v6, v7
	ds_write_b32 v1, v3 offset:1024
.LBB9_164:
	s_or_b64 exec, exec, s[0:1]
	v_cmp_gt_u32_e32 vcc, 64, v0
	s_waitcnt lgkmcnt(0)
	s_barrier
	s_and_saveexec_b64 s[0:1], vcc
	s_cbranch_execz .LBB9_166
; %bb.165:
	ds_read2st64_b32 v[6:7], v1 offset0:4 offset1:5
	s_waitcnt lgkmcnt(0)
	v_max_i32_e32 v3, v6, v7
	ds_write_b32 v1, v3 offset:1024
.LBB9_166:
	s_or_b64 exec, exec, s[0:1]
	v_cmp_gt_u32_e32 vcc, 32, v0
	s_waitcnt lgkmcnt(0)
	s_barrier
	s_and_saveexec_b64 s[0:1], vcc
	s_cbranch_execz .LBB9_168
; %bb.167:
	v_add_u32_e32 v3, 0x400, v1
	ds_read2_b32 v[6:7], v3 offset1:32
	s_waitcnt lgkmcnt(0)
	v_max_i32_e32 v3, v6, v7
	ds_write_b32 v1, v3 offset:1024
.LBB9_168:
	s_or_b64 exec, exec, s[0:1]
	v_cmp_gt_u32_e32 vcc, 16, v0
	s_waitcnt lgkmcnt(0)
	s_barrier
	s_and_saveexec_b64 s[0:1], vcc
	s_cbranch_execz .LBB9_170
; %bb.169:
	v_add_u32_e32 v3, 0x400, v1
	ds_read2_b32 v[6:7], v3 offset1:16
	s_waitcnt lgkmcnt(0)
	v_max_i32_e32 v3, v6, v7
	ds_write_b32 v1, v3 offset:1024
.LBB9_170:
	;; [unrolled: 13-line block ×5, first 2 shown]
	s_or_b64 exec, exec, s[0:1]
	v_cmp_eq_u32_e32 vcc, 0, v0
	s_waitcnt lgkmcnt(0)
	s_barrier
	s_and_saveexec_b64 s[0:1], vcc
	s_cbranch_execz .LBB9_178
; %bb.177:
	v_mov_b32_e32 v1, 0
	ds_read_b64 v[6:7], v1 offset:1024
	s_waitcnt lgkmcnt(0)
	v_max_i32_e32 v3, v6, v7
	ds_write_b32 v1, v3 offset:1024
.LBB9_178:
	s_or_b64 exec, exec, s[0:1]
	s_waitcnt lgkmcnt(0)
	s_barrier
	s_and_saveexec_b64 s[0:1], vcc
	s_cbranch_execz .LBB9_181
; %bb.179:
	v_mbcnt_lo_u32_b32 v1, exec_lo, 0
	v_mbcnt_hi_u32_b32 v1, exec_hi, v1
	v_cmp_eq_u32_e32 vcc, 0, v1
	s_and_b64 exec, exec, vcc
	s_cbranch_execz .LBB9_181
; %bb.180:
	v_mov_b32_e32 v1, 0
	ds_read_b32 v3, v1 offset:1024
	s_load_dwordx2 s[2:3], s[4:5], 0x8
	s_waitcnt lgkmcnt(0)
	v_add_u32_e32 v3, 1, v3
	global_atomic_smax v1, v3, s[2:3]
.LBB9_181:
	s_or_b64 exec, exec, s[0:1]
	v_cmp_eq_u32_e32 vcc, 0, v0
	s_and_b64 s[0:1], vcc, s[64:65]
	s_and_saveexec_b64 s[4:5], s[0:1]
	s_cbranch_execz .LBB9_186
.LBB9_182:
	v_mov_b32_e32 v0, 0
	s_waitcnt lgkmcnt(0)
	global_load_dword v5, v0, s[20:21] glc
	s_brev_b32 s2, 1
	v_cmp_eq_f32_e64 s[0:1], 0, v4
	s_mov_b64 s[6:7], 0
                                        ; implicit-def: $sgpr8_sgpr9
                                        ; implicit-def: $sgpr12_sgpr13
	s_waitcnt vmcnt(0)
	v_cmp_eq_u32_e64 s[10:11], s2, v5
	s_branch .LBB9_184
.LBB9_183:                              ;   in Loop: Header=BB9_184 Depth=1
	s_or_b64 exec, exec, s[14:15]
	s_and_b64 s[2:3], exec, s[8:9]
	s_or_b64 s[6:7], s[2:3], s[6:7]
	s_andn2_b64 s[2:3], s[10:11], exec
	s_and_b64 s[10:11], s[12:13], exec
	s_or_b64 s[10:11], s[2:3], s[10:11]
	s_andn2_b64 exec, exec, s[6:7]
	s_cbranch_execz .LBB9_186
.LBB9_184:                              ; =>This Inner Loop Header: Depth=1
	v_cmp_lt_f32_e64 s[2:3], v5, v4
	s_and_b64 s[14:15], s[0:1], s[10:11]
	s_or_b64 s[2:3], s[2:3], s[14:15]
	s_andn2_b64 s[12:13], s[12:13], exec
	s_or_b64 s[8:9], s[8:9], exec
	s_and_saveexec_b64 s[14:15], s[2:3]
	s_cbranch_execz .LBB9_183
; %bb.185:                              ;   in Loop: Header=BB9_184 Depth=1
	global_atomic_cmpswap v1, v0, v[4:5], s[20:21] glc
	s_andn2_b64 s[12:13], s[12:13], exec
	s_andn2_b64 s[8:9], s[8:9], exec
                                        ; implicit-def: $sgpr10_sgpr11
	s_waitcnt vmcnt(0)
	v_cmp_eq_u32_e64 s[2:3], v1, v5
	v_cndmask_b32_e64 v3, v1, v5, s[2:3]
	v_cmp_class_f32_e64 s[16:17], v3, 32
	s_and_b64 s[2:3], s[2:3], exec
	s_and_b64 s[16:17], s[16:17], exec
	s_or_b64 s[8:9], s[8:9], s[2:3]
	s_or_b64 s[12:13], s[12:13], s[16:17]
	v_mov_b32_e32 v5, v1
	s_branch .LBB9_183
.LBB9_186:
	s_or_b64 exec, exec, s[4:5]
	s_and_b64 s[0:1], vcc, s[34:35]
	s_and_saveexec_b64 s[2:3], s[0:1]
	s_cbranch_execz .LBB9_191
; %bb.187:
	v_mov_b32_e32 v0, 0
	s_waitcnt lgkmcnt(0)
	global_load_dword v3, v0, s[22:23] glc
	s_brev_b32 s0, 1
	v_cmp_eq_f32_e32 vcc, 0, v2
	s_mov_b64 s[2:3], 0
                                        ; implicit-def: $sgpr4_sgpr5
                                        ; implicit-def: $sgpr8_sgpr9
	s_waitcnt vmcnt(0)
	v_cmp_eq_u32_e64 s[6:7], s0, v3
	s_branch .LBB9_189
.LBB9_188:                              ;   in Loop: Header=BB9_189 Depth=1
	s_or_b64 exec, exec, s[10:11]
	s_and_b64 s[0:1], exec, s[4:5]
	s_or_b64 s[2:3], s[0:1], s[2:3]
	s_andn2_b64 s[0:1], s[6:7], exec
	s_and_b64 s[6:7], s[8:9], exec
	s_or_b64 s[6:7], s[0:1], s[6:7]
	s_andn2_b64 exec, exec, s[2:3]
	s_cbranch_execz .LBB9_191
.LBB9_189:                              ; =>This Inner Loop Header: Depth=1
	v_cmp_lt_f32_e64 s[0:1], v3, v2
	s_and_b64 s[10:11], vcc, s[6:7]
	s_or_b64 s[0:1], s[0:1], s[10:11]
	s_andn2_b64 s[8:9], s[8:9], exec
	s_or_b64 s[4:5], s[4:5], exec
	s_and_saveexec_b64 s[10:11], s[0:1]
	s_cbranch_execz .LBB9_188
; %bb.190:                              ;   in Loop: Header=BB9_189 Depth=1
	global_atomic_cmpswap v1, v0, v[2:3], s[22:23] glc
	s_andn2_b64 s[8:9], s[8:9], exec
	s_andn2_b64 s[4:5], s[4:5], exec
                                        ; implicit-def: $sgpr6_sgpr7
	s_waitcnt vmcnt(0)
	v_cmp_eq_u32_e64 s[0:1], v1, v3
	v_cndmask_b32_e64 v3, v1, v3, s[0:1]
	v_cmp_class_f32_e64 s[12:13], v3, 32
	s_and_b64 s[0:1], s[0:1], exec
	s_and_b64 s[12:13], s[12:13], exec
	s_or_b64 s[4:5], s[4:5], s[0:1]
	s_or_b64 s[8:9], s[8:9], s[12:13]
	v_mov_b32_e32 v3, v1
	s_branch .LBB9_188
.LBB9_191:
	s_endpgm
	.section	.rodata,"a",@progbits
	.p2align	6, 0x0
	.amdhsa_kernel _ZN9rocsparseL6kernelILi1024ELi4EfiiEEvbbbT3_PS1_NS_15floating_traitsIT1_E6data_tES1_T2_PKS7_S9_PKS1_PKS4_21rocsparse_index_base_S9_S9_SB_PS4_SF_SE_S9_S9_SB_SF_SF_SE_SF_SF_PS6_SG_PKS6_
		.amdhsa_group_segment_fixed_size 2048
		.amdhsa_private_segment_fixed_size 0
		.amdhsa_kernarg_size 208
		.amdhsa_user_sgpr_count 6
		.amdhsa_user_sgpr_private_segment_buffer 1
		.amdhsa_user_sgpr_dispatch_ptr 0
		.amdhsa_user_sgpr_queue_ptr 0
		.amdhsa_user_sgpr_kernarg_segment_ptr 1
		.amdhsa_user_sgpr_dispatch_id 0
		.amdhsa_user_sgpr_flat_scratch_init 0
		.amdhsa_user_sgpr_kernarg_preload_length 0
		.amdhsa_user_sgpr_kernarg_preload_offset 0
		.amdhsa_user_sgpr_private_segment_size 0
		.amdhsa_uses_dynamic_stack 0
		.amdhsa_system_sgpr_private_segment_wavefront_offset 0
		.amdhsa_system_sgpr_workgroup_id_x 1
		.amdhsa_system_sgpr_workgroup_id_y 0
		.amdhsa_system_sgpr_workgroup_id_z 0
		.amdhsa_system_sgpr_workgroup_info 0
		.amdhsa_system_vgpr_workitem_id 0
		.amdhsa_next_free_vgpr 49
		.amdhsa_next_free_sgpr 96
		.amdhsa_accum_offset 52
		.amdhsa_reserve_vcc 1
		.amdhsa_reserve_flat_scratch 0
		.amdhsa_float_round_mode_32 0
		.amdhsa_float_round_mode_16_64 0
		.amdhsa_float_denorm_mode_32 3
		.amdhsa_float_denorm_mode_16_64 3
		.amdhsa_dx10_clamp 1
		.amdhsa_ieee_mode 1
		.amdhsa_fp16_overflow 0
		.amdhsa_tg_split 0
		.amdhsa_exception_fp_ieee_invalid_op 0
		.amdhsa_exception_fp_denorm_src 0
		.amdhsa_exception_fp_ieee_div_zero 0
		.amdhsa_exception_fp_ieee_overflow 0
		.amdhsa_exception_fp_ieee_underflow 0
		.amdhsa_exception_fp_ieee_inexact 0
		.amdhsa_exception_int_div_zero 0
	.end_amdhsa_kernel
	.section	.text._ZN9rocsparseL6kernelILi1024ELi4EfiiEEvbbbT3_PS1_NS_15floating_traitsIT1_E6data_tES1_T2_PKS7_S9_PKS1_PKS4_21rocsparse_index_base_S9_S9_SB_PS4_SF_SE_S9_S9_SB_SF_SF_SE_SF_SF_PS6_SG_PKS6_,"axG",@progbits,_ZN9rocsparseL6kernelILi1024ELi4EfiiEEvbbbT3_PS1_NS_15floating_traitsIT1_E6data_tES1_T2_PKS7_S9_PKS1_PKS4_21rocsparse_index_base_S9_S9_SB_PS4_SF_SE_S9_S9_SB_SF_SF_SE_SF_SF_PS6_SG_PKS6_,comdat
.Lfunc_end9:
	.size	_ZN9rocsparseL6kernelILi1024ELi4EfiiEEvbbbT3_PS1_NS_15floating_traitsIT1_E6data_tES1_T2_PKS7_S9_PKS1_PKS4_21rocsparse_index_base_S9_S9_SB_PS4_SF_SE_S9_S9_SB_SF_SF_SE_SF_SF_PS6_SG_PKS6_, .Lfunc_end9-_ZN9rocsparseL6kernelILi1024ELi4EfiiEEvbbbT3_PS1_NS_15floating_traitsIT1_E6data_tES1_T2_PKS7_S9_PKS1_PKS4_21rocsparse_index_base_S9_S9_SB_PS4_SF_SE_S9_S9_SB_SF_SF_SE_SF_SF_PS6_SG_PKS6_
                                        ; -- End function
	.section	.AMDGPU.csdata,"",@progbits
; Kernel info:
; codeLenInByte = 6072
; NumSgprs: 100
; NumVgprs: 49
; NumAgprs: 0
; TotalNumVgprs: 49
; ScratchSize: 0
; MemoryBound: 0
; FloatMode: 240
; IeeeMode: 1
; LDSByteSize: 2048 bytes/workgroup (compile time only)
; SGPRBlocks: 12
; VGPRBlocks: 6
; NumSGPRsForWavesPerEU: 100
; NumVGPRsForWavesPerEU: 49
; AccumOffset: 52
; Occupancy: 8
; WaveLimiterHint : 1
; COMPUTE_PGM_RSRC2:SCRATCH_EN: 0
; COMPUTE_PGM_RSRC2:USER_SGPR: 6
; COMPUTE_PGM_RSRC2:TRAP_HANDLER: 0
; COMPUTE_PGM_RSRC2:TGID_X_EN: 1
; COMPUTE_PGM_RSRC2:TGID_Y_EN: 0
; COMPUTE_PGM_RSRC2:TGID_Z_EN: 0
; COMPUTE_PGM_RSRC2:TIDIG_COMP_CNT: 0
; COMPUTE_PGM_RSRC3_GFX90A:ACCUM_OFFSET: 12
; COMPUTE_PGM_RSRC3_GFX90A:TG_SPLIT: 0
	.section	.text._ZN9rocsparseL6kernelILi1024ELi8EfiiEEvbbbT3_PS1_NS_15floating_traitsIT1_E6data_tES1_T2_PKS7_S9_PKS1_PKS4_21rocsparse_index_base_S9_S9_SB_PS4_SF_SE_S9_S9_SB_SF_SF_SE_SF_SF_PS6_SG_PKS6_,"axG",@progbits,_ZN9rocsparseL6kernelILi1024ELi8EfiiEEvbbbT3_PS1_NS_15floating_traitsIT1_E6data_tES1_T2_PKS7_S9_PKS1_PKS4_21rocsparse_index_base_S9_S9_SB_PS4_SF_SE_S9_S9_SB_SF_SF_SE_SF_SF_PS6_SG_PKS6_,comdat
	.globl	_ZN9rocsparseL6kernelILi1024ELi8EfiiEEvbbbT3_PS1_NS_15floating_traitsIT1_E6data_tES1_T2_PKS7_S9_PKS1_PKS4_21rocsparse_index_base_S9_S9_SB_PS4_SF_SE_S9_S9_SB_SF_SF_SE_SF_SF_PS6_SG_PKS6_ ; -- Begin function _ZN9rocsparseL6kernelILi1024ELi8EfiiEEvbbbT3_PS1_NS_15floating_traitsIT1_E6data_tES1_T2_PKS7_S9_PKS1_PKS4_21rocsparse_index_base_S9_S9_SB_PS4_SF_SE_S9_S9_SB_SF_SF_SE_SF_SF_PS6_SG_PKS6_
	.p2align	8
	.type	_ZN9rocsparseL6kernelILi1024ELi8EfiiEEvbbbT3_PS1_NS_15floating_traitsIT1_E6data_tES1_T2_PKS7_S9_PKS1_PKS4_21rocsparse_index_base_S9_S9_SB_PS4_SF_SE_S9_S9_SB_SF_SF_SE_SF_SF_PS6_SG_PKS6_,@function
_ZN9rocsparseL6kernelILi1024ELi8EfiiEEvbbbT3_PS1_NS_15floating_traitsIT1_E6data_tES1_T2_PKS7_S9_PKS1_PKS4_21rocsparse_index_base_S9_S9_SB_PS4_SF_SE_S9_S9_SB_SF_SF_SE_SF_SF_PS6_SG_PKS6_: ; @_ZN9rocsparseL6kernelILi1024ELi8EfiiEEvbbbT3_PS1_NS_15floating_traitsIT1_E6data_tES1_T2_PKS7_S9_PKS1_PKS4_21rocsparse_index_base_S9_S9_SB_PS4_SF_SE_S9_S9_SB_SF_SF_SE_SF_SF_PS6_SG_PKS6_
; %bb.0:
	s_load_dword s0, s[4:5], 0x0
	s_load_dwordx2 s[2:3], s[4:5], 0x0
	s_load_dwordx2 s[68:69], s[4:5], 0x10
	s_load_dwordx4 s[20:23], s[4:5], 0xb8
	s_mov_b64 s[8:9], s[4:5]
	s_waitcnt lgkmcnt(0)
	s_bitcmp1_b32 s0, 0
	s_cselect_b64 s[64:65], -1, 0
	s_bitcmp1_b32 s0, 8
	s_cselect_b64 s[34:35], -1, 0
	;; [unrolled: 2-line block ×3, first 2 shown]
	v_lshrrev_b32_e32 v3, 3, v0
	s_lshl_b32 s5, s6, 10
	s_mov_b32 s1, s3
                                        ; implicit-def: $vgpr48 : SGPR spill to VGPR lane
	v_or_b32_e32 v28, s5, v3
	v_writelane_b32 v48, s0, 0
	s_cmp_gt_i32 s3, 0
	v_cmp_gt_i32_e32 vcc, s69, v28
	v_writelane_b32 v48, s1, 1
	s_cselect_b64 s[0:1], -1, 0
	v_and_b32_e32 v5, 7, v0
	v_lshlrev_b32_e32 v1, 2, v0
	v_mov_b32_e32 v2, 0
	s_and_b64 s[0:1], s[0:1], vcc
	s_mov_b32 s33, 0
	v_mov_b32_e32 v4, 0
	v_mov_b32_e32 v6, 0
	ds_write_b32 v1, v2
	s_waitcnt lgkmcnt(0)
	s_barrier
	s_and_saveexec_b64 s[2:3], s[0:1]
	s_cbranch_execnz .LBB10_3
; %bb.1:
	s_or_b64 exec, exec, s[2:3]
	s_andn2_b64 vcc, exec, s[64:65]
	s_cbranch_vccz .LBB10_156
.LBB10_2:
	v_cmp_eq_u32_e32 vcc, 0, v0
	s_and_b64 s[0:1], vcc, s[34:35]
	s_and_saveexec_b64 s[4:5], s[0:1]
	s_cbranch_execnz .LBB10_176
	s_branch .LBB10_180
.LBB10_3:
	s_load_dwordx2 s[0:1], s[8:9], 0xc8
	v_writelane_b32 v48, s2, 2
	v_writelane_b32 v48, s3, 3
	s_load_dwordx4 s[60:63], s[8:9], 0xa8
	s_load_dwordx8 s[36:43], s[8:9], 0x78
	s_load_dwordx8 s[44:51], s[8:9], 0x48
	;; [unrolled: 1-line block ×3, first 2 shown]
	s_load_dword s66, s[8:9], 0x40
	s_load_dwordx2 s[76:77], s[8:9], 0x68
	s_load_dword s67, s[8:9], 0x70
	s_load_dwordx2 s[78:79], s[8:9], 0x98
	s_waitcnt lgkmcnt(0)
	v_writelane_b32 v48, s0, 4
	v_writelane_b32 v48, s1, 5
	s_xor_b64 s[0:1], s[34:35], -1
	v_writelane_b32 v48, s0, 6
	v_writelane_b32 v48, s1, 7
	;; [unrolled: 1-line block ×3, first 2 shown]
	s_addk_i32 s5, 0x400
	v_writelane_b32 v48, s9, 9
	s_load_dword s4, s[8:9], 0xa0
	v_cmp_gt_u32_e64 s[0:1], s5, v28
	v_writelane_b32 v48, s0, 10
	v_writelane_b32 v48, s1, 11
	s_and_b64 s[0:1], s[34:35], s[26:27]
	s_xor_b64 s[0:1], s[0:1], -1
	v_writelane_b32 v48, s0, 12
	v_not_b32_e32 v2, v5
	v_or_b32_e32 v4, 8, v5
	v_subrev_u32_e32 v29, s66, v5
	v_cmp_eq_u32_e64 s[2:3], 7, v5
	v_lshlrev_b32_e32 v30, 2, v3
	v_cmp_gt_u32_e64 s[6:7], 64, v0
	v_cmp_gt_u32_e64 s[8:9], 32, v0
	v_cmp_gt_u32_e64 s[10:11], 16, v0
	v_cmp_gt_u32_e64 s[12:13], 8, v0
	v_cmp_gt_u32_e64 s[14:15], 4, v0
	v_cmp_gt_u32_e64 s[16:17], 2, v0
	v_cmp_eq_u32_e64 s[18:19], 0, v0
	v_subrev_u32_e32 v31, s67, v5
	s_waitcnt lgkmcnt(0)
	v_subrev_u32_e32 v32, s4, v5
	v_cmp_eq_u32_e64 s[20:21], 0, v5
	v_writelane_b32 v48, s1, 13
	v_add_u32_e32 v33, s4, v2
	v_subrev_u32_e32 v34, s4, v4
	v_add_u32_e32 v35, s67, v2
	v_subrev_u32_e32 v36, s67, v4
	s_mov_b64 s[82:83], 0
	v_mov_b32_e32 v7, 0
	s_movk_i32 s0, 0x1f8
	v_mov_b32_e32 v37, 0
	v_mov_b32_e32 v4, 0
	;; [unrolled: 1-line block ×3, first 2 shown]
	s_branch .LBB10_5
.LBB10_4:                               ;   in Loop: Header=BB10_5 Depth=1
	s_or_b64 exec, exec, s[28:29]
	s_and_b64 s[22:23], exec, s[24:25]
	s_or_b64 s[82:83], s[22:23], s[82:83]
	s_andn2_b64 exec, exec, s[82:83]
	s_cbranch_execz .LBB10_155
.LBB10_5:                               ; =>This Loop Header: Depth=1
                                        ;     Child Loop BB10_9 Depth 2
                                        ;       Child Loop BB10_14 Depth 3
                                        ;         Child Loop BB10_18 Depth 4
                                        ;         Child Loop BB10_39 Depth 4
	;; [unrolled: 1-line block ×5, first 2 shown]
                                        ;     Child Loop BB10_124 Depth 2
                                        ;       Child Loop BB10_128 Depth 3
                                        ;       Child Loop BB10_132 Depth 3
	;; [unrolled: 1-line block ×4, first 2 shown]
	v_cndmask_b32_e64 v4, v4, 0, s[34:35]
	v_cndmask_b32_e64 v2, v2, 0, s[26:27]
	s_mov_b32 s1, 0
	s_branch .LBB10_9
.LBB10_6:                               ;   in Loop: Header=BB10_9 Depth=2
	s_or_b64 exec, exec, s[88:89]
.LBB10_7:                               ;   in Loop: Header=BB10_9 Depth=2
	s_or_b64 exec, exec, s[86:87]
.LBB10_8:                               ;   in Loop: Header=BB10_9 Depth=2
	s_or_b64 exec, exec, s[84:85]
	s_add_i32 s1, s1, 1
	s_cmp_eq_u32 s1, 8
	s_cbranch_scc1 .LBB10_85
.LBB10_9:                               ;   Parent Loop BB10_5 Depth=1
                                        ; =>  This Loop Header: Depth=2
                                        ;       Child Loop BB10_14 Depth 3
                                        ;         Child Loop BB10_18 Depth 4
                                        ;         Child Loop BB10_39 Depth 4
                                        ;         Child Loop BB10_53 Depth 4
                                        ;         Child Loop BB10_72 Depth 4
                                        ;         Child Loop BB10_80 Depth 4
	v_lshl_add_u32 v8, s1, 7, v28
	v_cmp_gt_i32_e32 vcc, s69, v8
	s_and_saveexec_b64 s[84:85], vcc
	s_cbranch_execz .LBB10_8
; %bb.10:                               ;   in Loop: Header=BB10_9 Depth=2
	v_ashrrev_i32_e32 v9, 31, v8
	v_lshlrev_b64 v[12:13], 2, v[8:9]
	v_mov_b32_e32 v6, s53
	v_add_co_u32_e32 v10, vcc, s52, v12
	v_addc_co_u32_e32 v11, vcc, v6, v13, vcc
	global_load_dword v6, v[10:11], off
	v_mov_b32_e32 v9, s55
	v_add_co_u32_e32 v10, vcc, s54, v12
	v_addc_co_u32_e32 v11, vcc, v9, v13, vcc
	global_load_dword v9, v[10:11], off
	s_waitcnt vmcnt(1)
	v_add_u32_e32 v10, v29, v6
	s_waitcnt vmcnt(0)
	v_subrev_u32_e32 v9, s66, v9
	v_cmp_lt_i32_e32 vcc, v10, v9
	s_and_saveexec_b64 s[86:87], vcc
	s_cbranch_execz .LBB10_7
; %bb.11:                               ;   in Loop: Header=BB10_9 Depth=2
	v_mov_b32_e32 v6, s47
	v_add_co_u32_e32 v14, vcc, s46, v12
	v_addc_co_u32_e32 v15, vcc, v6, v13, vcc
	v_mov_b32_e32 v6, s45
	v_add_co_u32_e32 v12, vcc, s44, v12
	v_addc_co_u32_e32 v13, vcc, v6, v13, vcc
	global_load_dword v6, v[12:13], off
	global_load_dword v11, v[14:15], off
	v_mov_b32_e32 v16, s49
	v_mov_b32_e32 v17, s51
	s_mov_b64 s[88:89], 0
	s_waitcnt vmcnt(1)
	v_subrev_u32_e32 v12, s67, v6
	v_ashrrev_i32_e32 v13, 31, v12
	v_lshlrev_b64 v[14:15], 2, v[12:13]
	v_add_co_u32_e32 v13, vcc, s48, v14
	v_addc_co_u32_e32 v39, vcc, v16, v15, vcc
	s_waitcnt vmcnt(0)
	v_sub_u32_e32 v38, v11, v6
	v_add_co_u32_e32 v40, vcc, s50, v14
	v_cmp_lt_i32_e64 s[22:23], 0, v38
	v_addc_co_u32_e32 v41, vcc, v17, v15, vcc
	s_branch .LBB10_14
.LBB10_12:                              ;   in Loop: Header=BB10_14 Depth=3
	s_or_b64 exec, exec, s[28:29]
.LBB10_13:                              ;   in Loop: Header=BB10_14 Depth=3
	s_or_b64 exec, exec, s[24:25]
	v_add_u32_e32 v10, 8, v10
	v_cmp_ge_i32_e32 vcc, v10, v9
	s_or_b64 s[88:89], vcc, s[88:89]
	s_andn2_b64 exec, exec, s[88:89]
	s_cbranch_execz .LBB10_6
.LBB10_14:                              ;   Parent Loop BB10_5 Depth=1
                                        ;     Parent Loop BB10_9 Depth=2
                                        ; =>    This Loop Header: Depth=3
                                        ;         Child Loop BB10_18 Depth 4
                                        ;         Child Loop BB10_39 Depth 4
	;; [unrolled: 1-line block ×5, first 2 shown]
	v_ashrrev_i32_e32 v11, 31, v10
	v_lshlrev_b64 v[22:23], 2, v[10:11]
	v_mov_b32_e32 v6, s57
	v_add_co_u32_e32 v14, vcc, s56, v22
	v_addc_co_u32_e32 v15, vcc, v6, v23, vcc
	global_load_dword v6, v[14:15], off
	v_mov_b32_e32 v11, s37
	v_mov_b32_e32 v21, s39
	s_waitcnt vmcnt(0)
	v_subrev_u32_e32 v16, s66, v6
	v_ashrrev_i32_e32 v17, 31, v16
	v_lshlrev_b64 v[14:15], 2, v[16:17]
	v_add_co_u32_e32 v18, vcc, s36, v14
	v_addc_co_u32_e32 v19, vcc, v11, v15, vcc
	v_add_co_u32_e32 v20, vcc, s38, v14
	v_addc_co_u32_e32 v21, vcc, v21, v15, vcc
	global_load_dword v6, v[18:19], off
	global_load_dword v17, v[20:21], off
	v_mov_b32_e32 v11, 0
	v_mov_b32_e32 v20, 0
	s_waitcnt vmcnt(1)
	v_subrev_u32_e32 v18, s4, v6
	s_waitcnt vmcnt(0)
	v_sub_u32_e32 v42, v17, v6
	v_mov_b32_e32 v6, 0
	s_and_saveexec_b64 s[24:25], s[22:23]
	s_cbranch_execz .LBB10_22
; %bb.15:                               ;   in Loop: Header=BB10_14 Depth=3
	v_ashrrev_i32_e32 v19, 31, v18
	v_lshlrev_b64 v[20:21], 2, v[18:19]
	v_mov_b32_e32 v6, s41
	v_add_co_u32_e32 v17, vcc, s40, v20
	v_addc_co_u32_e32 v19, vcc, v6, v21, vcc
	v_mov_b32_e32 v6, s43
	v_add_co_u32_e32 v43, vcc, s42, v20
	v_addc_co_u32_e32 v44, vcc, v6, v21, vcc
	v_mov_b32_e32 v6, 0
	s_mov_b64 s[70:71], 0
	v_mov_b32_e32 v11, 0
	v_mov_b32_e32 v20, v6
                                        ; implicit-def: $sgpr90_sgpr91
	s_branch .LBB10_18
.LBB10_16:                              ;   in Loop: Header=BB10_18 Depth=4
	s_or_b64 exec, exec, s[30:31]
	v_cmp_le_i32_e32 vcc, v21, v45
	v_addc_co_u32_e32 v6, vcc, 0, v6, vcc
	v_cmp_ge_i32_e32 vcc, v21, v45
	v_addc_co_u32_e32 v20, vcc, 0, v20, vcc
	v_cmp_ge_i32_e32 vcc, v6, v38
	s_andn2_b64 s[30:31], s[90:91], exec
	s_and_b64 s[72:73], vcc, exec
	s_or_b64 s[90:91], s[30:31], s[72:73]
.LBB10_17:                              ;   in Loop: Header=BB10_18 Depth=4
	s_or_b64 exec, exec, s[28:29]
	s_and_b64 s[28:29], exec, s[90:91]
	s_or_b64 s[70:71], s[28:29], s[70:71]
	s_andn2_b64 exec, exec, s[70:71]
	s_cbranch_execz .LBB10_21
.LBB10_18:                              ;   Parent Loop BB10_5 Depth=1
                                        ;     Parent Loop BB10_9 Depth=2
                                        ;       Parent Loop BB10_14 Depth=3
                                        ; =>      This Inner Loop Header: Depth=4
	v_cmp_lt_i32_e32 vcc, v20, v42
	s_or_b64 s[90:91], s[90:91], exec
	s_and_saveexec_b64 s[28:29], vcc
	s_cbranch_execz .LBB10_17
; %bb.19:                               ;   in Loop: Header=BB10_18 Depth=4
	v_lshlrev_b64 v[24:25], 2, v[6:7]
	v_add_co_u32_e32 v26, vcc, v13, v24
	v_addc_co_u32_e32 v27, vcc, v39, v25, vcc
	v_mov_b32_e32 v21, v7
	global_load_dword v45, v[26:27], off
	v_lshlrev_b64 v[26:27], 2, v[20:21]
	v_add_co_u32_e32 v46, vcc, v17, v26
	v_addc_co_u32_e32 v47, vcc, v19, v27, vcc
	global_load_dword v46, v[46:47], off
	s_waitcnt vmcnt(1)
	v_subrev_u32_e32 v21, s67, v45
	s_waitcnt vmcnt(0)
	v_subrev_u32_e32 v45, s4, v46
	v_cmp_eq_u32_e32 vcc, v21, v45
	s_and_saveexec_b64 s[30:31], vcc
	s_cbranch_execz .LBB10_16
; %bb.20:                               ;   in Loop: Header=BB10_18 Depth=4
	v_add_co_u32_e32 v24, vcc, v40, v24
	v_addc_co_u32_e32 v25, vcc, v41, v25, vcc
	v_add_co_u32_e32 v26, vcc, v43, v26
	v_addc_co_u32_e32 v27, vcc, v44, v27, vcc
	global_load_dword v24, v[24:25], off
	s_nop 0
	global_load_dword v25, v[26:27], off
	s_waitcnt vmcnt(0)
	v_fmac_f32_e32 v11, v24, v25
	s_branch .LBB10_16
.LBB10_21:                              ;   in Loop: Header=BB10_14 Depth=3
	s_or_b64 exec, exec, s[70:71]
.LBB10_22:                              ;   in Loop: Header=BB10_14 Depth=3
	s_or_b64 exec, exec, s[24:25]
	v_mov_b32_e32 v17, s59
	v_add_co_u32_e32 v22, vcc, s58, v22
	v_addc_co_u32_e32 v23, vcc, v17, v23, vcc
	global_load_dword v17, v[22:23], off
	v_cmp_le_i32_e64 s[24:25], v8, v16
	v_cmp_gt_i32_e32 vcc, v8, v16
	s_waitcnt vmcnt(0)
	v_sub_f32_e32 v19, v17, v11
	s_and_saveexec_b64 s[28:29], vcc
	s_cbranch_execnz .LBB10_25
; %bb.23:                               ;   in Loop: Header=BB10_14 Depth=3
	s_or_b64 exec, exec, s[28:29]
	v_cmp_class_f32_e64 s[90:91], v19, s0
	s_and_saveexec_b64 s[92:93], s[90:91]
	s_cbranch_execnz .LBB10_28
.LBB10_24:                              ;   in Loop: Header=BB10_14 Depth=3
	s_or_b64 exec, exec, s[92:93]
	s_and_b64 s[28:29], s[90:91], s[26:27]
	s_and_saveexec_b64 s[24:25], s[28:29]
	s_cbranch_execz .LBB10_13
	s_branch .LBB10_63
.LBB10_25:                              ;   in Loop: Header=BB10_14 Depth=3
	v_mov_b32_e32 v21, s61
	v_add_co_u32_e32 v22, vcc, s60, v14
	v_addc_co_u32_e32 v23, vcc, v21, v15, vcc
	global_load_dword v21, v[22:23], off
	v_mov_b32_e32 v22, 0
	s_waitcnt vmcnt(0)
	v_cmp_lg_f32_e32 vcc, 0, v21
	s_and_saveexec_b64 s[30:31], vcc
; %bb.26:                               ;   in Loop: Header=BB10_14 Depth=3
	v_div_scale_f32 v22, s[70:71], v21, v21, v19
	v_rcp_f32_e32 v23, v22
	v_div_scale_f32 v24, vcc, v19, v21, v19
	v_fma_f32 v25, -v22, v23, 1.0
	v_fmac_f32_e32 v23, v25, v23
	v_mul_f32_e32 v25, v24, v23
	v_fma_f32 v26, -v22, v25, v24
	v_fmac_f32_e32 v25, v26, v23
	v_fma_f32 v22, -v22, v25, v24
	v_div_fmas_f32 v22, v22, v23, v25
	v_div_fixup_f32 v22, v22, v21, v19
; %bb.27:                               ;   in Loop: Header=BB10_14 Depth=3
	s_or_b64 exec, exec, s[30:31]
	v_mov_b32_e32 v19, v22
	s_or_b64 exec, exec, s[28:29]
	v_cmp_class_f32_e64 s[90:91], v19, s0
	s_and_saveexec_b64 s[92:93], s[90:91]
	s_cbranch_execz .LBB10_24
.LBB10_28:                              ;   in Loop: Header=BB10_14 Depth=3
	s_and_saveexec_b64 s[28:29], s[24:25]
	s_xor_b64 s[24:25], exec, s[28:29]
	s_cbranch_execz .LBB10_49
; %bb.29:                               ;   in Loop: Header=BB10_14 Depth=3
	v_cmp_ge_i32_e32 vcc, v8, v16
	s_and_saveexec_b64 s[28:29], vcc
	s_xor_b64 s[28:29], exec, s[28:29]
	s_cbranch_execz .LBB10_35
; %bb.30:                               ;   in Loop: Header=BB10_14 Depth=3
	v_mov_b32_e32 v21, s63
	v_add_co_u32_e32 v22, vcc, s62, v14
	v_addc_co_u32_e32 v23, vcc, v21, v15, vcc
	s_andn2_b64 vcc, exec, s[34:35]
	global_store_dword v[22:23], v19, off
	s_cbranch_vccnz .LBB10_34
; %bb.31:                               ;   in Loop: Header=BB10_14 Depth=3
	v_mov_b32_e32 v21, s61
	v_add_co_u32_e32 v22, vcc, s60, v14
	v_addc_co_u32_e32 v23, vcc, v21, v15, vcc
	global_load_dword v21, v[22:23], off
	s_waitcnt vmcnt(0)
	v_sub_f32_e32 v19, v21, v19
	v_cmp_class_f32_e64 s[70:71], v19, s0
	s_and_saveexec_b64 s[30:31], s[70:71]
; %bb.32:                               ;   in Loop: Header=BB10_14 Depth=3
	v_cmp_lt_f32_e64 s[70:71], v4, |v19|
	v_cndmask_b32_e64 v4, v4, |v19|, s[70:71]
; %bb.33:                               ;   in Loop: Header=BB10_14 Depth=3
	s_or_b64 exec, exec, s[30:31]
.LBB10_34:                              ;   in Loop: Header=BB10_14 Depth=3
                                        ; implicit-def: $vgpr19
.LBB10_35:                              ;   in Loop: Header=BB10_14 Depth=3
	s_andn2_saveexec_b64 s[94:95], s[28:29]
	s_cbranch_execz .LBB10_48
; %bb.36:                               ;   in Loop: Header=BB10_14 Depth=3
	v_cmp_lt_i32_e32 vcc, v20, v42
	s_and_saveexec_b64 s[70:71], vcc
	s_cbranch_execz .LBB10_47
; %bb.37:                               ;   in Loop: Header=BB10_14 Depth=3
	s_mov_b64 s[74:75], 0
	v_mov_b32_e32 v21, v20
                                        ; implicit-def: $sgpr28_sgpr29
                                        ; implicit-def: $sgpr72_sgpr73
                                        ; implicit-def: $sgpr30_sgpr31
	s_branch .LBB10_39
.LBB10_38:                              ;   in Loop: Header=BB10_39 Depth=4
	s_or_b64 exec, exec, s[80:81]
	s_and_b64 s[80:81], exec, s[72:73]
	s_or_b64 s[74:75], s[80:81], s[74:75]
	s_andn2_b64 s[28:29], s[28:29], exec
	s_and_b64 s[80:81], s[30:31], exec
	s_or_b64 s[28:29], s[28:29], s[80:81]
	s_andn2_b64 exec, exec, s[74:75]
	s_cbranch_execz .LBB10_41
.LBB10_39:                              ;   Parent Loop BB10_5 Depth=1
                                        ;     Parent Loop BB10_9 Depth=2
                                        ;       Parent Loop BB10_14 Depth=3
                                        ; =>      This Inner Loop Header: Depth=4
	v_add_u32_e32 v22, v18, v21
	v_ashrrev_i32_e32 v23, 31, v22
	v_lshlrev_b64 v[22:23], 2, v[22:23]
	v_mov_b32_e32 v25, s41
	v_add_co_u32_e32 v24, vcc, s40, v22
	v_addc_co_u32_e32 v25, vcc, v25, v23, vcc
	global_load_dword v24, v[24:25], off
	s_or_b64 s[30:31], s[30:31], exec
	s_or_b64 s[72:73], s[72:73], exec
	s_waitcnt vmcnt(0)
	v_subrev_u32_e32 v24, s4, v24
	v_cmp_ne_u32_e32 vcc, v24, v8
	s_and_saveexec_b64 s[80:81], vcc
	s_cbranch_execz .LBB10_38
; %bb.40:                               ;   in Loop: Header=BB10_39 Depth=4
	v_add_u32_e32 v21, 1, v21
	v_cmp_ge_i32_e32 vcc, v21, v42
	s_andn2_b64 s[72:73], s[72:73], exec
	s_and_b64 vcc, vcc, exec
	s_andn2_b64 s[30:31], s[30:31], exec
	s_or_b64 s[72:73], s[72:73], vcc
	s_branch .LBB10_38
.LBB10_41:                              ;   in Loop: Header=BB10_14 Depth=3
	s_or_b64 exec, exec, s[74:75]
	s_and_saveexec_b64 s[30:31], s[28:29]
	s_xor_b64 s[28:29], exec, s[30:31]
	s_cbranch_execz .LBB10_46
; %bb.42:                               ;   in Loop: Header=BB10_14 Depth=3
	v_mov_b32_e32 v21, s79
	v_add_co_u32_e32 v24, vcc, s78, v22
	v_addc_co_u32_e32 v25, vcc, v21, v23, vcc
	s_andn2_b64 vcc, exec, s[34:35]
	global_store_dword v[24:25], v19, off
	s_cbranch_vccnz .LBB10_46
; %bb.43:                               ;   in Loop: Header=BB10_14 Depth=3
	v_mov_b32_e32 v21, s43
	v_add_co_u32_e32 v22, vcc, s42, v22
	v_addc_co_u32_e32 v23, vcc, v21, v23, vcc
	global_load_dword v21, v[22:23], off
	s_waitcnt vmcnt(0)
	v_sub_f32_e32 v19, v21, v19
	v_cmp_class_f32_e64 s[72:73], v19, s0
	s_and_saveexec_b64 s[30:31], s[72:73]
; %bb.44:                               ;   in Loop: Header=BB10_14 Depth=3
	v_cmp_lt_f32_e64 s[72:73], v4, |v19|
	v_cndmask_b32_e64 v4, v4, |v19|, s[72:73]
; %bb.45:                               ;   in Loop: Header=BB10_14 Depth=3
	s_or_b64 exec, exec, s[30:31]
.LBB10_46:                              ;   in Loop: Header=BB10_14 Depth=3
	s_or_b64 exec, exec, s[28:29]
.LBB10_47:                              ;   in Loop: Header=BB10_14 Depth=3
	s_or_b64 exec, exec, s[70:71]
.LBB10_48:                              ;   in Loop: Header=BB10_14 Depth=3
	s_or_b64 exec, exec, s[94:95]
                                        ; implicit-def: $vgpr19
.LBB10_49:                              ;   in Loop: Header=BB10_14 Depth=3
	s_andn2_saveexec_b64 s[24:25], s[24:25]
	s_cbranch_execz .LBB10_62
; %bb.50:                               ;   in Loop: Header=BB10_14 Depth=3
	v_cmp_lt_i32_e32 vcc, v6, v38
	s_and_saveexec_b64 s[94:95], vcc
	s_cbranch_execz .LBB10_61
; %bb.51:                               ;   in Loop: Header=BB10_14 Depth=3
	s_mov_b64 s[70:71], 0
	v_mov_b32_e32 v21, v6
                                        ; implicit-def: $sgpr28_sgpr29
                                        ; implicit-def: $sgpr72_sgpr73
                                        ; implicit-def: $sgpr30_sgpr31
	s_branch .LBB10_53
.LBB10_52:                              ;   in Loop: Header=BB10_53 Depth=4
	s_or_b64 exec, exec, s[74:75]
	s_and_b64 s[74:75], exec, s[72:73]
	s_or_b64 s[70:71], s[74:75], s[70:71]
	s_andn2_b64 s[28:29], s[28:29], exec
	s_and_b64 s[74:75], s[30:31], exec
	s_or_b64 s[28:29], s[28:29], s[74:75]
	s_andn2_b64 exec, exec, s[70:71]
	s_cbranch_execz .LBB10_55
.LBB10_53:                              ;   Parent Loop BB10_5 Depth=1
                                        ;     Parent Loop BB10_9 Depth=2
                                        ;       Parent Loop BB10_14 Depth=3
                                        ; =>      This Inner Loop Header: Depth=4
	v_add_u32_e32 v22, v12, v21
	v_ashrrev_i32_e32 v23, 31, v22
	v_lshlrev_b64 v[22:23], 2, v[22:23]
	v_mov_b32_e32 v25, s49
	v_add_co_u32_e32 v24, vcc, s48, v22
	v_addc_co_u32_e32 v25, vcc, v25, v23, vcc
	global_load_dword v24, v[24:25], off
	s_or_b64 s[30:31], s[30:31], exec
	s_or_b64 s[72:73], s[72:73], exec
	s_waitcnt vmcnt(0)
	v_subrev_u32_e32 v24, s67, v24
	v_cmp_ne_u32_e32 vcc, v24, v16
	s_and_saveexec_b64 s[74:75], vcc
	s_cbranch_execz .LBB10_52
; %bb.54:                               ;   in Loop: Header=BB10_53 Depth=4
	v_add_u32_e32 v21, 1, v21
	v_cmp_ge_i32_e32 vcc, v21, v38
	s_andn2_b64 s[72:73], s[72:73], exec
	s_and_b64 s[80:81], vcc, exec
	s_andn2_b64 s[30:31], s[30:31], exec
	s_or_b64 s[72:73], s[72:73], s[80:81]
	s_branch .LBB10_52
.LBB10_55:                              ;   in Loop: Header=BB10_14 Depth=3
	s_or_b64 exec, exec, s[70:71]
	s_and_saveexec_b64 s[30:31], s[28:29]
	s_xor_b64 s[28:29], exec, s[30:31]
	s_cbranch_execz .LBB10_60
; %bb.56:                               ;   in Loop: Header=BB10_14 Depth=3
	v_mov_b32_e32 v21, s77
	v_add_co_u32_e32 v24, vcc, s76, v22
	v_addc_co_u32_e32 v25, vcc, v21, v23, vcc
	s_andn2_b64 vcc, exec, s[34:35]
	global_store_dword v[24:25], v19, off
	s_cbranch_vccnz .LBB10_60
; %bb.57:                               ;   in Loop: Header=BB10_14 Depth=3
	v_mov_b32_e32 v21, s51
	v_add_co_u32_e32 v22, vcc, s50, v22
	v_addc_co_u32_e32 v23, vcc, v21, v23, vcc
	global_load_dword v21, v[22:23], off
	s_waitcnt vmcnt(0)
	v_sub_f32_e32 v19, v21, v19
	v_cmp_class_f32_e64 s[70:71], v19, s0
	s_and_saveexec_b64 s[30:31], s[70:71]
; %bb.58:                               ;   in Loop: Header=BB10_14 Depth=3
	v_cmp_lt_f32_e64 s[70:71], v4, |v19|
	v_cndmask_b32_e64 v4, v4, |v19|, s[70:71]
; %bb.59:                               ;   in Loop: Header=BB10_14 Depth=3
	s_or_b64 exec, exec, s[30:31]
.LBB10_60:                              ;   in Loop: Header=BB10_14 Depth=3
	s_or_b64 exec, exec, s[28:29]
.LBB10_61:                              ;   in Loop: Header=BB10_14 Depth=3
	s_or_b64 exec, exec, s[94:95]
.LBB10_62:                              ;   in Loop: Header=BB10_14 Depth=3
	s_or_b64 exec, exec, s[24:25]
	s_or_b64 exec, exec, s[92:93]
	s_and_b64 s[28:29], s[90:91], s[26:27]
	s_and_saveexec_b64 s[24:25], s[28:29]
	s_cbranch_execz .LBB10_13
.LBB10_63:                              ;   in Loop: Header=BB10_14 Depth=3
	v_cmp_ge_i32_e32 vcc, v20, v42
	s_and_saveexec_b64 s[28:29], vcc
	s_xor_b64 s[70:71], exec, s[28:29]
	s_cbranch_execnz .LBB10_69
; %bb.64:                               ;   in Loop: Header=BB10_14 Depth=3
	s_andn2_saveexec_b64 s[70:71], s[70:71]
	s_cbranch_execnz .LBB10_78
.LBB10_65:                              ;   in Loop: Header=BB10_14 Depth=3
	s_or_b64 exec, exec, s[70:71]
	v_cmp_eq_u32_e32 vcc, v8, v16
	s_and_saveexec_b64 s[28:29], vcc
	s_cbranch_execz .LBB10_67
.LBB10_66:                              ;   in Loop: Header=BB10_14 Depth=3
	v_mov_b32_e32 v6, s61
	v_add_co_u32_e32 v14, vcc, s60, v14
	v_addc_co_u32_e32 v15, vcc, v6, v15, vcc
	global_load_dword v6, v[14:15], off
	s_waitcnt vmcnt(0)
	v_add_f32_e32 v11, v11, v6
.LBB10_67:                              ;   in Loop: Header=BB10_14 Depth=3
	s_or_b64 exec, exec, s[28:29]
	v_sub_f32_e32 v6, v17, v11
	v_cmp_class_f32_e64 s[30:31], v6, s0
	s_and_saveexec_b64 s[28:29], s[30:31]
	s_cbranch_execz .LBB10_12
; %bb.68:                               ;   in Loop: Header=BB10_14 Depth=3
	v_cmp_lt_f32_e64 s[30:31], v2, |v6|
	v_cndmask_b32_e64 v2, v2, |v6|, s[30:31]
	s_branch .LBB10_12
.LBB10_69:                              ;   in Loop: Header=BB10_14 Depth=3
	v_cmp_lt_i32_e32 vcc, v6, v38
	s_and_saveexec_b64 s[90:91], vcc
	s_cbranch_execz .LBB10_77
; %bb.70:                               ;   in Loop: Header=BB10_14 Depth=3
	s_mov_b64 s[74:75], 0
                                        ; implicit-def: $sgpr28_sgpr29
                                        ; implicit-def: $sgpr72_sgpr73
                                        ; implicit-def: $sgpr30_sgpr31
	s_branch .LBB10_72
.LBB10_71:                              ;   in Loop: Header=BB10_72 Depth=4
	s_or_b64 exec, exec, s[80:81]
	s_and_b64 s[80:81], exec, s[72:73]
	s_or_b64 s[74:75], s[80:81], s[74:75]
	s_andn2_b64 s[28:29], s[28:29], exec
	s_and_b64 s[80:81], s[30:31], exec
	s_or_b64 s[28:29], s[28:29], s[80:81]
	s_andn2_b64 exec, exec, s[74:75]
	s_cbranch_execz .LBB10_74
.LBB10_72:                              ;   Parent Loop BB10_5 Depth=1
                                        ;     Parent Loop BB10_9 Depth=2
                                        ;       Parent Loop BB10_14 Depth=3
                                        ; =>      This Inner Loop Header: Depth=4
	v_add_u32_e32 v18, v12, v6
	v_ashrrev_i32_e32 v19, 31, v18
	v_lshlrev_b64 v[18:19], 2, v[18:19]
	v_mov_b32_e32 v21, s49
	v_add_co_u32_e32 v20, vcc, s48, v18
	v_addc_co_u32_e32 v21, vcc, v21, v19, vcc
	global_load_dword v20, v[20:21], off
	s_or_b64 s[30:31], s[30:31], exec
	s_or_b64 s[72:73], s[72:73], exec
	s_waitcnt vmcnt(0)
	v_subrev_u32_e32 v20, s67, v20
	v_cmp_ne_u32_e32 vcc, v20, v16
	s_and_saveexec_b64 s[80:81], vcc
	s_cbranch_execz .LBB10_71
; %bb.73:                               ;   in Loop: Header=BB10_72 Depth=4
	v_add_u32_e32 v6, 1, v6
	v_cmp_ge_i32_e32 vcc, v6, v38
	s_andn2_b64 s[72:73], s[72:73], exec
	s_and_b64 s[92:93], vcc, exec
	s_andn2_b64 s[30:31], s[30:31], exec
	s_or_b64 s[72:73], s[72:73], s[92:93]
	s_branch .LBB10_71
.LBB10_74:                              ;   in Loop: Header=BB10_14 Depth=3
	s_or_b64 exec, exec, s[74:75]
	s_and_saveexec_b64 s[30:31], s[28:29]
	s_xor_b64 s[28:29], exec, s[30:31]
	s_cbranch_execz .LBB10_76
; %bb.75:                               ;   in Loop: Header=BB10_14 Depth=3
	v_mov_b32_e32 v6, s51
	v_add_co_u32_e32 v18, vcc, s50, v18
	v_addc_co_u32_e32 v19, vcc, v6, v19, vcc
	global_load_dword v6, v[18:19], off
	v_mov_b32_e32 v19, s61
	v_add_co_u32_e32 v18, vcc, s60, v14
	v_addc_co_u32_e32 v19, vcc, v19, v15, vcc
	global_load_dword v18, v[18:19], off
	s_waitcnt vmcnt(0)
	v_fmac_f32_e32 v11, v6, v18
.LBB10_76:                              ;   in Loop: Header=BB10_14 Depth=3
	s_or_b64 exec, exec, s[28:29]
.LBB10_77:                              ;   in Loop: Header=BB10_14 Depth=3
	s_or_b64 exec, exec, s[90:91]
                                        ; implicit-def: $vgpr20
                                        ; implicit-def: $vgpr18
                                        ; implicit-def: $vgpr42
	s_andn2_saveexec_b64 s[70:71], s[70:71]
	s_cbranch_execz .LBB10_65
.LBB10_78:                              ;   in Loop: Header=BB10_14 Depth=3
	s_mov_b64 s[74:75], 0
                                        ; implicit-def: $sgpr28_sgpr29
                                        ; implicit-def: $sgpr72_sgpr73
                                        ; implicit-def: $sgpr30_sgpr31
	s_branch .LBB10_80
.LBB10_79:                              ;   in Loop: Header=BB10_80 Depth=4
	s_or_b64 exec, exec, s[80:81]
	s_and_b64 s[80:81], exec, s[72:73]
	s_or_b64 s[74:75], s[80:81], s[74:75]
	s_andn2_b64 s[28:29], s[28:29], exec
	s_and_b64 s[80:81], s[30:31], exec
	s_or_b64 s[28:29], s[28:29], s[80:81]
	s_andn2_b64 exec, exec, s[74:75]
	s_cbranch_execz .LBB10_82
.LBB10_80:                              ;   Parent Loop BB10_5 Depth=1
                                        ;     Parent Loop BB10_9 Depth=2
                                        ;       Parent Loop BB10_14 Depth=3
                                        ; =>      This Inner Loop Header: Depth=4
	v_add_u32_e32 v22, v18, v20
	v_ashrrev_i32_e32 v23, 31, v22
	v_lshlrev_b64 v[22:23], 2, v[22:23]
	v_mov_b32_e32 v6, s41
	v_add_co_u32_e32 v24, vcc, s40, v22
	v_addc_co_u32_e32 v25, vcc, v6, v23, vcc
	global_load_dword v6, v[24:25], off
	s_or_b64 s[30:31], s[30:31], exec
	s_or_b64 s[72:73], s[72:73], exec
	s_waitcnt vmcnt(0)
	v_subrev_u32_e32 v6, s4, v6
	v_cmp_ne_u32_e32 vcc, v6, v8
	s_and_saveexec_b64 s[80:81], vcc
	s_cbranch_execz .LBB10_79
; %bb.81:                               ;   in Loop: Header=BB10_80 Depth=4
	v_add_u32_e32 v20, 1, v20
	v_cmp_ge_i32_e32 vcc, v20, v42
	s_andn2_b64 s[72:73], s[72:73], exec
	s_and_b64 s[90:91], vcc, exec
	s_andn2_b64 s[30:31], s[30:31], exec
	s_or_b64 s[72:73], s[72:73], s[90:91]
	s_branch .LBB10_79
.LBB10_82:                              ;   in Loop: Header=BB10_14 Depth=3
	s_or_b64 exec, exec, s[74:75]
	s_and_saveexec_b64 s[30:31], s[28:29]
	s_xor_b64 s[28:29], exec, s[30:31]
	s_cbranch_execz .LBB10_84
; %bb.83:                               ;   in Loop: Header=BB10_14 Depth=3
	v_mov_b32_e32 v6, s43
	v_add_co_u32_e32 v18, vcc, s42, v22
	v_addc_co_u32_e32 v19, vcc, v6, v23, vcc
	global_load_dword v6, v[18:19], off
	s_waitcnt vmcnt(0)
	v_add_f32_e32 v11, v11, v6
.LBB10_84:                              ;   in Loop: Header=BB10_14 Depth=3
	s_or_b64 exec, exec, s[28:29]
	s_or_b64 exec, exec, s[70:71]
	v_cmp_eq_u32_e32 vcc, v8, v16
	s_and_saveexec_b64 s[28:29], vcc
	s_cbranch_execnz .LBB10_66
	s_branch .LBB10_67
.LBB10_85:                              ;   in Loop: Header=BB10_5 Depth=1
	s_and_b64 vcc, exec, s[34:35]
	s_cbranch_vccz .LBB10_103
; %bb.86:                               ;   in Loop: Header=BB10_5 Depth=1
	v_mov_b32_dpp v6, v4 row_shr:1 row_mask:0xf bank_mask:0xf
	v_cmp_lt_f32_e32 vcc, v4, v6
	v_cndmask_b32_e32 v4, v4, v6, vcc
	s_nop 1
	v_mov_b32_dpp v6, v4 row_shr:2 row_mask:0xf bank_mask:0xf
	v_cmp_lt_f32_e32 vcc, v4, v6
	v_cndmask_b32_e32 v4, v4, v6, vcc
	s_nop 1
	v_mov_b32_dpp v6, v4 row_shr:4 row_mask:0xf bank_mask:0xe
	s_and_saveexec_b64 s[22:23], s[2:3]
	s_cbranch_execz .LBB10_88
; %bb.87:                               ;   in Loop: Header=BB10_5 Depth=1
	v_cmp_lt_f32_e32 vcc, v4, v6
	v_cndmask_b32_e32 v4, v4, v6, vcc
	ds_write_b32 v30, v4
.LBB10_88:                              ;   in Loop: Header=BB10_5 Depth=1
	s_or_b64 exec, exec, s[22:23]
	s_waitcnt lgkmcnt(0)
	s_barrier
	s_and_saveexec_b64 s[22:23], s[6:7]
	s_cbranch_execz .LBB10_90
; %bb.89:                               ;   in Loop: Header=BB10_5 Depth=1
	ds_read2st64_b32 v[8:9], v1 offset1:1
	s_waitcnt lgkmcnt(0)
	v_cmp_lt_f32_e32 vcc, v8, v9
	v_cndmask_b32_e32 v4, v8, v9, vcc
	ds_write_b32 v1, v4
.LBB10_90:                              ;   in Loop: Header=BB10_5 Depth=1
	s_or_b64 exec, exec, s[22:23]
	s_waitcnt lgkmcnt(0)
	s_barrier
	s_and_saveexec_b64 s[22:23], s[8:9]
	s_cbranch_execz .LBB10_92
; %bb.91:                               ;   in Loop: Header=BB10_5 Depth=1
	ds_read2_b32 v[8:9], v1 offset1:32
	s_waitcnt lgkmcnt(0)
	v_cmp_lt_f32_e32 vcc, v8, v9
	v_cndmask_b32_e32 v4, v8, v9, vcc
	ds_write_b32 v1, v4
.LBB10_92:                              ;   in Loop: Header=BB10_5 Depth=1
	s_or_b64 exec, exec, s[22:23]
	s_waitcnt lgkmcnt(0)
	s_barrier
	s_and_saveexec_b64 s[22:23], s[10:11]
	s_cbranch_execz .LBB10_94
; %bb.93:                               ;   in Loop: Header=BB10_5 Depth=1
	ds_read2_b32 v[8:9], v1 offset1:16
	s_waitcnt lgkmcnt(0)
	v_cmp_lt_f32_e32 vcc, v8, v9
	v_cndmask_b32_e32 v4, v8, v9, vcc
	ds_write_b32 v1, v4
.LBB10_94:                              ;   in Loop: Header=BB10_5 Depth=1
	;; [unrolled: 12-line block ×4, first 2 shown]
	s_or_b64 exec, exec, s[22:23]
	s_waitcnt lgkmcnt(0)
	s_barrier
	s_and_saveexec_b64 s[22:23], s[16:17]
	s_cbranch_execz .LBB10_100
; %bb.99:                               ;   in Loop: Header=BB10_5 Depth=1
	ds_read2_b32 v[8:9], v1 offset1:2
	s_waitcnt lgkmcnt(0)
	v_cmp_lt_f32_e32 vcc, v8, v9
	v_cndmask_b32_e32 v4, v8, v9, vcc
	ds_write_b32 v1, v4
.LBB10_100:                             ;   in Loop: Header=BB10_5 Depth=1
	s_or_b64 exec, exec, s[22:23]
	s_waitcnt lgkmcnt(0)
	s_barrier
	s_and_saveexec_b64 s[22:23], s[18:19]
	s_cbranch_execz .LBB10_102
; %bb.101:                              ;   in Loop: Header=BB10_5 Depth=1
	ds_read_b64 v[8:9], v37
	s_waitcnt lgkmcnt(0)
	v_cmp_lt_f32_e32 vcc, v8, v9
	v_cndmask_b32_e32 v4, v8, v9, vcc
	ds_write_b32 v37, v4
.LBB10_102:                             ;   in Loop: Header=BB10_5 Depth=1
	s_or_b64 exec, exec, s[22:23]
	v_readlane_b32 s22, v48, 4
	v_readlane_b32 s23, v48, 5
	s_waitcnt lgkmcnt(0)
	s_barrier
	ds_read_b32 v4, v37
	s_load_dword s1, s[22:23], 0x0
	s_waitcnt lgkmcnt(0)
	v_div_scale_f32 v6, s[22:23], s1, s1, v4
	v_rcp_f32_e32 v8, v6
	v_div_scale_f32 v9, vcc, v4, s1, v4
	v_fma_f32 v10, -v6, v8, 1.0
	v_fmac_f32_e32 v8, v10, v8
	v_mul_f32_e32 v10, v9, v8
	v_fma_f32 v11, -v6, v10, v9
	v_fmac_f32_e32 v10, v11, v8
	v_fma_f32 v6, -v6, v10, v9
	v_div_fmas_f32 v6, v6, v8, v10
	v_div_fixup_f32 v4, v6, s1, v4
.LBB10_103:                             ;   in Loop: Header=BB10_5 Depth=1
	s_andn2_b64 vcc, exec, s[26:27]
	s_cbranch_vccnz .LBB10_121
; %bb.104:                              ;   in Loop: Header=BB10_5 Depth=1
	v_mov_b32_dpp v6, v2 row_shr:1 row_mask:0xf bank_mask:0xf
	v_cmp_lt_f32_e32 vcc, v2, v6
	v_cndmask_b32_e32 v2, v2, v6, vcc
	s_nop 1
	v_mov_b32_dpp v6, v2 row_shr:2 row_mask:0xf bank_mask:0xf
	v_cmp_lt_f32_e32 vcc, v2, v6
	v_cndmask_b32_e32 v2, v2, v6, vcc
	s_nop 1
	v_mov_b32_dpp v6, v2 row_shr:4 row_mask:0xf bank_mask:0xe
	s_and_saveexec_b64 s[22:23], s[2:3]
	s_cbranch_execz .LBB10_106
; %bb.105:                              ;   in Loop: Header=BB10_5 Depth=1
	v_cmp_lt_f32_e32 vcc, v2, v6
	v_cndmask_b32_e32 v2, v2, v6, vcc
	ds_write_b32 v30, v2
.LBB10_106:                             ;   in Loop: Header=BB10_5 Depth=1
	s_or_b64 exec, exec, s[22:23]
	s_waitcnt lgkmcnt(0)
	s_barrier
	s_and_saveexec_b64 s[22:23], s[6:7]
	s_cbranch_execz .LBB10_108
; %bb.107:                              ;   in Loop: Header=BB10_5 Depth=1
	ds_read2st64_b32 v[8:9], v1 offset1:1
	s_waitcnt lgkmcnt(0)
	v_cmp_lt_f32_e32 vcc, v8, v9
	v_cndmask_b32_e32 v2, v8, v9, vcc
	ds_write_b32 v1, v2
.LBB10_108:                             ;   in Loop: Header=BB10_5 Depth=1
	s_or_b64 exec, exec, s[22:23]
	s_waitcnt lgkmcnt(0)
	s_barrier
	s_and_saveexec_b64 s[22:23], s[8:9]
	s_cbranch_execz .LBB10_110
; %bb.109:                              ;   in Loop: Header=BB10_5 Depth=1
	ds_read2_b32 v[8:9], v1 offset1:32
	s_waitcnt lgkmcnt(0)
	v_cmp_lt_f32_e32 vcc, v8, v9
	v_cndmask_b32_e32 v2, v8, v9, vcc
	ds_write_b32 v1, v2
.LBB10_110:                             ;   in Loop: Header=BB10_5 Depth=1
	s_or_b64 exec, exec, s[22:23]
	s_waitcnt lgkmcnt(0)
	s_barrier
	s_and_saveexec_b64 s[22:23], s[10:11]
	s_cbranch_execz .LBB10_112
; %bb.111:                              ;   in Loop: Header=BB10_5 Depth=1
	ds_read2_b32 v[8:9], v1 offset1:16
	s_waitcnt lgkmcnt(0)
	v_cmp_lt_f32_e32 vcc, v8, v9
	v_cndmask_b32_e32 v2, v8, v9, vcc
	ds_write_b32 v1, v2
.LBB10_112:                             ;   in Loop: Header=BB10_5 Depth=1
	s_or_b64 exec, exec, s[22:23]
	s_waitcnt lgkmcnt(0)
	s_barrier
	s_and_saveexec_b64 s[22:23], s[12:13]
	s_cbranch_execz .LBB10_114
; %bb.113:                              ;   in Loop: Header=BB10_5 Depth=1
	ds_read2_b32 v[8:9], v1 offset1:8
	s_waitcnt lgkmcnt(0)
	v_cmp_lt_f32_e32 vcc, v8, v9
	v_cndmask_b32_e32 v2, v8, v9, vcc
	ds_write_b32 v1, v2
.LBB10_114:                             ;   in Loop: Header=BB10_5 Depth=1
	s_or_b64 exec, exec, s[22:23]
	s_waitcnt lgkmcnt(0)
	s_barrier
	s_and_saveexec_b64 s[22:23], s[14:15]
	s_cbranch_execz .LBB10_116
; %bb.115:                              ;   in Loop: Header=BB10_5 Depth=1
	ds_read2_b32 v[8:9], v1 offset1:4
	s_waitcnt lgkmcnt(0)
	v_cmp_lt_f32_e32 vcc, v8, v9
	v_cndmask_b32_e32 v2, v8, v9, vcc
	ds_write_b32 v1, v2
.LBB10_116:                             ;   in Loop: Header=BB10_5 Depth=1
	s_or_b64 exec, exec, s[22:23]
	s_waitcnt lgkmcnt(0)
	s_barrier
	s_and_saveexec_b64 s[22:23], s[16:17]
	s_cbranch_execz .LBB10_118
; %bb.117:                              ;   in Loop: Header=BB10_5 Depth=1
	ds_read2_b32 v[8:9], v1 offset1:2
	s_waitcnt lgkmcnt(0)
	v_cmp_lt_f32_e32 vcc, v8, v9
	v_cndmask_b32_e32 v2, v8, v9, vcc
	ds_write_b32 v1, v2
.LBB10_118:                             ;   in Loop: Header=BB10_5 Depth=1
	s_or_b64 exec, exec, s[22:23]
	s_waitcnt lgkmcnt(0)
	s_barrier
	s_and_saveexec_b64 s[22:23], s[18:19]
	s_cbranch_execz .LBB10_120
; %bb.119:                              ;   in Loop: Header=BB10_5 Depth=1
	ds_read_b64 v[8:9], v37
	s_waitcnt lgkmcnt(0)
	v_cmp_lt_f32_e32 vcc, v8, v9
	v_cndmask_b32_e32 v2, v8, v9, vcc
	ds_write_b32 v37, v2
.LBB10_120:                             ;   in Loop: Header=BB10_5 Depth=1
	s_or_b64 exec, exec, s[22:23]
	v_readlane_b32 s22, v48, 4
	v_readlane_b32 s23, v48, 5
	s_waitcnt lgkmcnt(0)
	s_barrier
	ds_read_b32 v2, v37
	s_load_dword s1, s[22:23], 0x0
	s_waitcnt lgkmcnt(0)
	v_div_scale_f32 v6, s[22:23], s1, s1, v2
	v_rcp_f32_e32 v8, v6
	v_div_scale_f32 v9, vcc, v2, s1, v2
	v_fma_f32 v10, -v6, v8, 1.0
	v_fmac_f32_e32 v8, v10, v8
	v_mul_f32_e32 v10, v9, v8
	v_fma_f32 v11, -v6, v10, v9
	v_fmac_f32_e32 v10, v11, v8
	v_fma_f32 v6, -v6, v10, v9
	v_div_fmas_f32 v6, v6, v8, v10
	v_div_fixup_f32 v2, v6, s1, v2
.LBB10_121:                             ;   in Loop: Header=BB10_5 Depth=1
	s_mov_b64 s[24:25], exec
	v_readlane_b32 s22, v48, 10
	v_readlane_b32 s23, v48, 11
	s_and_b64 s[22:23], s[24:25], s[22:23]
	s_mov_b64 exec, s[22:23]
	s_cbranch_execz .LBB10_143
; %bb.122:                              ;   in Loop: Header=BB10_5 Depth=1
	s_mov_b64 s[84:85], 0
	v_mov_b32_e32 v8, v28
	s_branch .LBB10_124
.LBB10_123:                             ;   in Loop: Header=BB10_124 Depth=2
	s_or_b64 exec, exec, s[86:87]
	v_add_u32_e32 v8, 0x80, v8
	v_cmp_le_u32_e32 vcc, s5, v8
	s_or_b64 s[84:85], vcc, s[84:85]
	s_andn2_b64 exec, exec, s[84:85]
	s_cbranch_execz .LBB10_143
.LBB10_124:                             ;   Parent Loop BB10_5 Depth=1
                                        ; =>  This Loop Header: Depth=2
                                        ;       Child Loop BB10_128 Depth 3
                                        ;       Child Loop BB10_132 Depth 3
	;; [unrolled: 1-line block ×4, first 2 shown]
	v_cmp_gt_i32_e32 vcc, s69, v8
	s_and_saveexec_b64 s[86:87], vcc
	s_cbranch_execz .LBB10_123
; %bb.125:                              ;   in Loop: Header=BB10_124 Depth=2
	v_ashrrev_i32_e32 v9, 31, v8
	v_lshlrev_b64 v[10:11], 2, v[8:9]
	v_mov_b32_e32 v6, s45
	v_add_co_u32_e32 v12, vcc, s44, v10
	v_addc_co_u32_e32 v13, vcc, v6, v11, vcc
	global_load_dword v9, v[12:13], off
	v_mov_b32_e32 v6, s47
	v_add_co_u32_e32 v12, vcc, s46, v10
	v_addc_co_u32_e32 v13, vcc, v6, v11, vcc
	global_load_dword v6, v[12:13], off
	s_waitcnt vmcnt(1)
	v_add_u32_e32 v12, v31, v9
	s_waitcnt vmcnt(0)
	v_subrev_u32_e32 v6, s67, v6
	v_cmp_lt_i32_e32 vcc, v12, v6
	s_and_saveexec_b64 s[88:89], vcc
	s_cbranch_execz .LBB10_133
; %bb.126:                              ;   in Loop: Header=BB10_124 Depth=2
	v_add_u32_e32 v13, v36, v9
	v_max_i32_e32 v13, v13, v6
	v_add_u32_e32 v13, v35, v13
	v_sub_u32_e32 v9, v13, v9
	v_cmp_lt_u32_e32 vcc, 7, v9
	s_mov_b64 s[22:23], -1
	s_and_saveexec_b64 s[70:71], vcc
	s_cbranch_execz .LBB10_130
; %bb.127:                              ;   in Loop: Header=BB10_124 Depth=2
	v_lshrrev_b32_e32 v9, 3, v9
	v_add_u32_e32 v9, 1, v9
	v_and_b32_e32 v16, 0x3ffffffe, v9
	v_add_u32_e32 v13, 8, v12
	s_mov_b64 s[28:29], 0
	v_mov_b32_e32 v17, v16
	v_pk_mov_b32 v[14:15], v[12:13], v[12:13] op_sel:[0,1]
.LBB10_128:                             ;   Parent Loop BB10_5 Depth=1
                                        ;     Parent Loop BB10_124 Depth=2
                                        ; =>    This Inner Loop Header: Depth=3
	v_ashrrev_i32_e32 v21, 31, v14
	v_mov_b32_e32 v20, v14
	v_lshlrev_b64 v[20:21], 2, v[20:21]
	v_ashrrev_i32_e32 v19, 31, v15
	v_mov_b32_e32 v18, v15
	v_mov_b32_e32 v13, s77
	v_add_co_u32_e32 v22, vcc, s76, v20
	v_lshlrev_b64 v[18:19], 2, v[18:19]
	v_addc_co_u32_e32 v23, vcc, v13, v21, vcc
	v_add_co_u32_e32 v24, vcc, s76, v18
	v_addc_co_u32_e32 v25, vcc, v13, v19, vcc
	global_load_dword v13, v[22:23], off
	s_nop 0
	global_load_dword v22, v[24:25], off
	v_mov_b32_e32 v23, s51
	v_add_u32_e32 v17, -2, v17
	v_add_co_u32_e64 v20, s[22:23], s50, v20
	v_cmp_eq_u32_e32 vcc, 0, v17
	v_addc_co_u32_e64 v21, s[22:23], v23, v21, s[22:23]
	v_add_u32_e32 v15, 16, v15
	v_add_u32_e32 v14, 16, v14
	v_add_co_u32_e64 v18, s[22:23], s50, v18
	s_or_b64 s[28:29], vcc, s[28:29]
	v_addc_co_u32_e64 v19, s[22:23], v23, v19, s[22:23]
	s_waitcnt vmcnt(1)
	global_store_dword v[20:21], v13, off
	s_waitcnt vmcnt(1)
	global_store_dword v[18:19], v22, off
	s_andn2_b64 exec, exec, s[28:29]
	s_cbranch_execnz .LBB10_128
; %bb.129:                              ;   in Loop: Header=BB10_124 Depth=2
	s_or_b64 exec, exec, s[28:29]
	v_cmp_ne_u32_e32 vcc, v9, v16
	v_lshl_add_u32 v12, v16, 3, v12
	s_orn2_b64 s[22:23], vcc, exec
.LBB10_130:                             ;   in Loop: Header=BB10_124 Depth=2
	s_or_b64 exec, exec, s[70:71]
	s_and_b64 exec, exec, s[22:23]
	s_cbranch_execz .LBB10_133
; %bb.131:                              ;   in Loop: Header=BB10_124 Depth=2
	v_ashrrev_i32_e32 v13, 31, v12
	v_lshlrev_b64 v[16:17], 2, v[12:13]
	v_mov_b32_e32 v9, s77
	v_add_co_u32_e32 v14, vcc, s76, v16
	v_addc_co_u32_e32 v15, vcc, v9, v17, vcc
	v_mov_b32_e32 v9, s51
	v_add_co_u32_e32 v16, vcc, s50, v16
	v_addc_co_u32_e32 v17, vcc, v9, v17, vcc
	s_mov_b64 s[22:23], 0
.LBB10_132:                             ;   Parent Loop BB10_5 Depth=1
                                        ;     Parent Loop BB10_124 Depth=2
                                        ; =>    This Inner Loop Header: Depth=3
	global_load_dword v9, v[14:15], off
	v_add_co_u32_e32 v14, vcc, 32, v14
	v_add_u32_e32 v12, 8, v12
	v_addc_co_u32_e32 v15, vcc, 0, v15, vcc
	v_cmp_ge_i32_e32 vcc, v12, v6
	s_or_b64 s[22:23], vcc, s[22:23]
	s_waitcnt vmcnt(0)
	global_store_dword v[16:17], v9, off
	v_add_co_u32_e32 v16, vcc, 32, v16
	v_addc_co_u32_e32 v17, vcc, 0, v17, vcc
	s_andn2_b64 exec, exec, s[22:23]
	s_cbranch_execnz .LBB10_132
.LBB10_133:                             ;   in Loop: Header=BB10_124 Depth=2
	s_or_b64 exec, exec, s[88:89]
	v_mov_b32_e32 v6, s37
	v_add_co_u32_e32 v12, vcc, s36, v10
	v_addc_co_u32_e32 v13, vcc, v6, v11, vcc
	global_load_dword v9, v[12:13], off
	v_mov_b32_e32 v6, s39
	v_add_co_u32_e32 v12, vcc, s38, v10
	v_addc_co_u32_e32 v13, vcc, v6, v11, vcc
	global_load_dword v6, v[12:13], off
	s_waitcnt vmcnt(1)
	v_add_u32_e32 v12, v32, v9
	s_waitcnt vmcnt(0)
	v_subrev_u32_e32 v6, s4, v6
	v_cmp_lt_i32_e32 vcc, v12, v6
	s_and_saveexec_b64 s[88:89], vcc
	s_cbranch_execz .LBB10_141
; %bb.134:                              ;   in Loop: Header=BB10_124 Depth=2
	v_add_u32_e32 v13, v34, v9
	v_max_i32_e32 v13, v13, v6
	v_add_u32_e32 v13, v33, v13
	v_sub_u32_e32 v9, v13, v9
	v_cmp_lt_u32_e32 vcc, 7, v9
	s_mov_b64 s[22:23], -1
	s_and_saveexec_b64 s[70:71], vcc
	s_cbranch_execz .LBB10_138
; %bb.135:                              ;   in Loop: Header=BB10_124 Depth=2
	v_lshrrev_b32_e32 v9, 3, v9
	v_add_u32_e32 v9, 1, v9
	v_and_b32_e32 v16, 0x3ffffffe, v9
	v_add_u32_e32 v13, 8, v12
	s_mov_b64 s[28:29], 0
	v_mov_b32_e32 v17, v16
	v_pk_mov_b32 v[14:15], v[12:13], v[12:13] op_sel:[0,1]
.LBB10_136:                             ;   Parent Loop BB10_5 Depth=1
                                        ;     Parent Loop BB10_124 Depth=2
                                        ; =>    This Inner Loop Header: Depth=3
	v_ashrrev_i32_e32 v21, 31, v14
	v_mov_b32_e32 v20, v14
	v_lshlrev_b64 v[20:21], 2, v[20:21]
	v_ashrrev_i32_e32 v19, 31, v15
	v_mov_b32_e32 v18, v15
	v_mov_b32_e32 v13, s79
	v_add_co_u32_e32 v22, vcc, s78, v20
	v_lshlrev_b64 v[18:19], 2, v[18:19]
	v_addc_co_u32_e32 v23, vcc, v13, v21, vcc
	v_add_co_u32_e32 v24, vcc, s78, v18
	v_addc_co_u32_e32 v25, vcc, v13, v19, vcc
	global_load_dword v13, v[22:23], off
	s_nop 0
	global_load_dword v22, v[24:25], off
	v_mov_b32_e32 v23, s43
	v_add_u32_e32 v17, -2, v17
	v_add_co_u32_e64 v20, s[22:23], s42, v20
	v_cmp_eq_u32_e32 vcc, 0, v17
	v_addc_co_u32_e64 v21, s[22:23], v23, v21, s[22:23]
	v_add_u32_e32 v15, 16, v15
	v_add_u32_e32 v14, 16, v14
	v_add_co_u32_e64 v18, s[22:23], s42, v18
	s_or_b64 s[28:29], vcc, s[28:29]
	v_addc_co_u32_e64 v19, s[22:23], v23, v19, s[22:23]
	s_waitcnt vmcnt(1)
	global_store_dword v[20:21], v13, off
	s_waitcnt vmcnt(1)
	global_store_dword v[18:19], v22, off
	s_andn2_b64 exec, exec, s[28:29]
	s_cbranch_execnz .LBB10_136
; %bb.137:                              ;   in Loop: Header=BB10_124 Depth=2
	s_or_b64 exec, exec, s[28:29]
	v_cmp_ne_u32_e32 vcc, v9, v16
	v_lshl_add_u32 v12, v16, 3, v12
	s_orn2_b64 s[22:23], vcc, exec
.LBB10_138:                             ;   in Loop: Header=BB10_124 Depth=2
	s_or_b64 exec, exec, s[70:71]
	s_and_b64 exec, exec, s[22:23]
	s_cbranch_execz .LBB10_141
; %bb.139:                              ;   in Loop: Header=BB10_124 Depth=2
	v_ashrrev_i32_e32 v13, 31, v12
	v_lshlrev_b64 v[16:17], 2, v[12:13]
	v_mov_b32_e32 v9, s79
	v_add_co_u32_e32 v14, vcc, s78, v16
	v_addc_co_u32_e32 v15, vcc, v9, v17, vcc
	v_mov_b32_e32 v9, s43
	v_add_co_u32_e32 v16, vcc, s42, v16
	v_addc_co_u32_e32 v17, vcc, v9, v17, vcc
	s_mov_b64 s[22:23], 0
.LBB10_140:                             ;   Parent Loop BB10_5 Depth=1
                                        ;     Parent Loop BB10_124 Depth=2
                                        ; =>    This Inner Loop Header: Depth=3
	global_load_dword v9, v[14:15], off
	v_add_co_u32_e32 v14, vcc, 32, v14
	v_add_u32_e32 v12, 8, v12
	v_addc_co_u32_e32 v15, vcc, 0, v15, vcc
	v_cmp_ge_i32_e32 vcc, v12, v6
	s_or_b64 s[22:23], vcc, s[22:23]
	s_waitcnt vmcnt(0)
	global_store_dword v[16:17], v9, off
	v_add_co_u32_e32 v16, vcc, 32, v16
	v_addc_co_u32_e32 v17, vcc, 0, v17, vcc
	s_andn2_b64 exec, exec, s[22:23]
	s_cbranch_execnz .LBB10_140
.LBB10_141:                             ;   in Loop: Header=BB10_124 Depth=2
	s_or_b64 exec, exec, s[88:89]
	s_and_b64 exec, exec, s[20:21]
	s_cbranch_execz .LBB10_123
; %bb.142:                              ;   in Loop: Header=BB10_124 Depth=2
	v_mov_b32_e32 v6, s63
	v_add_co_u32_e32 v12, vcc, s62, v10
	v_addc_co_u32_e32 v13, vcc, v6, v11, vcc
	global_load_dword v6, v[12:13], off
	v_mov_b32_e32 v9, s61
	v_add_co_u32_e32 v10, vcc, s60, v10
	v_addc_co_u32_e32 v11, vcc, v9, v11, vcc
	s_waitcnt vmcnt(0)
	global_store_dword v[10:11], v6, off
	s_branch .LBB10_123
.LBB10_143:                             ;   in Loop: Header=BB10_5 Depth=1
	s_or_b64 exec, exec, s[24:25]
	s_mov_b64 s[24:25], -1
	s_mov_b64 s[22:23], -1
	s_and_b64 vcc, exec, s[64:65]
	s_cbranch_vccz .LBB10_153
; %bb.144:                              ;   in Loop: Header=BB10_5 Depth=1
	v_readlane_b32 s28, v48, 12
	v_readlane_b32 s29, v48, 13
	s_and_b64 vcc, exec, s[28:29]
                                        ; implicit-def: $sgpr28_sgpr29
	s_cbranch_vccz .LBB10_150
; %bb.145:                              ;   in Loop: Header=BB10_5 Depth=1
	v_readlane_b32 s28, v48, 6
	v_readlane_b32 s29, v48, 7
	s_and_b64 vcc, exec, s[28:29]
                                        ; implicit-def: $sgpr28_sgpr29
	s_cbranch_vccz .LBB10_147
; %bb.146:                              ;   in Loop: Header=BB10_5 Depth=1
	v_cmp_ge_f32_e32 vcc, s68, v2
	s_mov_b64 s[22:23], 0
	s_and_b64 s[28:29], vcc, exec
.LBB10_147:                             ;   in Loop: Header=BB10_5 Depth=1
	s_andn2_b64 vcc, exec, s[22:23]
	s_cbranch_vccnz .LBB10_149
; %bb.148:                              ;   in Loop: Header=BB10_5 Depth=1
	v_cmp_ge_f32_e32 vcc, s68, v4
	s_andn2_b64 s[22:23], s[28:29], exec
	s_and_b64 s[28:29], vcc, exec
	s_or_b64 s[28:29], s[22:23], s[28:29]
.LBB10_149:                             ;   in Loop: Header=BB10_5 Depth=1
	s_mov_b64 s[22:23], 0
.LBB10_150:                             ;   in Loop: Header=BB10_5 Depth=1
	s_andn2_b64 vcc, exec, s[22:23]
	s_cbranch_vccnz .LBB10_152
; %bb.151:                              ;   in Loop: Header=BB10_5 Depth=1
	v_cmp_ge_f32_e32 vcc, s68, v4
	v_cmp_ge_f32_e64 s[22:23], s68, v2
	s_and_b64 s[22:23], vcc, s[22:23]
	s_andn2_b64 s[28:29], s[28:29], exec
	s_and_b64 s[22:23], s[22:23], exec
	s_or_b64 s[28:29], s[28:29], s[22:23]
.LBB10_152:                             ;   in Loop: Header=BB10_5 Depth=1
	s_xor_b64 s[22:23], s[28:29], -1
.LBB10_153:                             ;   in Loop: Header=BB10_5 Depth=1
	v_mov_b32_e32 v6, s33
	s_and_saveexec_b64 s[28:29], s[22:23]
	s_cbranch_execz .LBB10_4
; %bb.154:                              ;   in Loop: Header=BB10_5 Depth=1
	v_readlane_b32 s22, v48, 0
	s_add_i32 s33, s33, 1
	v_readlane_b32 s23, v48, 1
	s_cmp_eq_u32 s33, s23
	s_mov_b32 s1, s23
	s_cselect_b64 s[22:23], -1, 0
	v_mov_b32_e32 v6, s1
	s_orn2_b64 s[24:25], s[22:23], exec
	s_branch .LBB10_4
.LBB10_155:
	s_or_b64 exec, exec, s[82:83]
	v_readlane_b32 s8, v48, 8
	v_readlane_b32 s9, v48, 9
	s_load_dwordx4 s[20:23], s[8:9], 0xb8
	v_readlane_b32 s2, v48, 2
	v_readlane_b32 s3, v48, 3
	s_or_b64 exec, exec, s[2:3]
	s_andn2_b64 vcc, exec, s[64:65]
	s_cbranch_vccnz .LBB10_2
.LBB10_156:
	v_mov_b32_dpp v7, v6 row_shr:1 row_mask:0xf bank_mask:0xf
	v_max_i32_e32 v6, v6, v7
	v_cmp_eq_u32_e32 vcc, 7, v5
	s_nop 0
	v_mov_b32_dpp v7, v6 row_shr:2 row_mask:0xf bank_mask:0xf
	v_max_i32_e32 v6, v6, v7
	s_nop 1
	v_mov_b32_dpp v7, v6 row_shr:4 row_mask:0xf bank_mask:0xe
	s_and_saveexec_b64 s[0:1], vcc
	s_cbranch_execz .LBB10_158
; %bb.157:
	v_lshlrev_b32_e32 v3, 2, v3
	v_max_i32_e32 v5, v6, v7
	ds_write_b32 v3, v5 offset:512
.LBB10_158:
	s_or_b64 exec, exec, s[0:1]
	v_cmp_gt_u32_e32 vcc, 64, v0
	s_waitcnt lgkmcnt(0)
	s_barrier
	s_and_saveexec_b64 s[0:1], vcc
	s_cbranch_execz .LBB10_160
; %bb.159:
	ds_read2st64_b32 v[6:7], v1 offset0:2 offset1:3
	s_waitcnt lgkmcnt(0)
	v_max_i32_e32 v3, v6, v7
	ds_write_b32 v1, v3 offset:512
.LBB10_160:
	s_or_b64 exec, exec, s[0:1]
	v_cmp_gt_u32_e32 vcc, 32, v0
	s_waitcnt lgkmcnt(0)
	s_barrier
	s_and_saveexec_b64 s[0:1], vcc
	s_cbranch_execz .LBB10_162
; %bb.161:
	ds_read2_b32 v[6:7], v1 offset0:128 offset1:160
	s_waitcnt lgkmcnt(0)
	v_max_i32_e32 v3, v6, v7
	ds_write_b32 v1, v3 offset:512
.LBB10_162:
	s_or_b64 exec, exec, s[0:1]
	v_cmp_gt_u32_e32 vcc, 16, v0
	s_waitcnt lgkmcnt(0)
	s_barrier
	s_and_saveexec_b64 s[0:1], vcc
	s_cbranch_execz .LBB10_164
; %bb.163:
	ds_read2_b32 v[6:7], v1 offset0:128 offset1:144
	s_waitcnt lgkmcnt(0)
	v_max_i32_e32 v3, v6, v7
	ds_write_b32 v1, v3 offset:512
.LBB10_164:
	;; [unrolled: 12-line block ×5, first 2 shown]
	s_or_b64 exec, exec, s[0:1]
	v_cmp_eq_u32_e32 vcc, 0, v0
	s_waitcnt lgkmcnt(0)
	s_barrier
	s_and_saveexec_b64 s[0:1], vcc
	s_cbranch_execz .LBB10_172
; %bb.171:
	v_mov_b32_e32 v1, 0
	ds_read_b64 v[6:7], v1 offset:512
	s_waitcnt lgkmcnt(0)
	v_max_i32_e32 v3, v6, v7
	ds_write_b32 v1, v3 offset:512
.LBB10_172:
	s_or_b64 exec, exec, s[0:1]
	s_waitcnt lgkmcnt(0)
	s_barrier
	s_and_saveexec_b64 s[0:1], vcc
	s_cbranch_execz .LBB10_175
; %bb.173:
	v_mbcnt_lo_u32_b32 v1, exec_lo, 0
	v_mbcnt_hi_u32_b32 v1, exec_hi, v1
	v_cmp_eq_u32_e32 vcc, 0, v1
	s_and_b64 exec, exec, vcc
	s_cbranch_execz .LBB10_175
; %bb.174:
	v_mov_b32_e32 v1, 0
	ds_read_b32 v3, v1 offset:512
	s_load_dwordx2 s[2:3], s[8:9], 0x8
	s_waitcnt lgkmcnt(0)
	v_add_u32_e32 v3, 1, v3
	global_atomic_smax v1, v3, s[2:3]
.LBB10_175:
	s_or_b64 exec, exec, s[0:1]
	v_cmp_eq_u32_e32 vcc, 0, v0
	s_and_b64 s[0:1], vcc, s[34:35]
	s_and_saveexec_b64 s[4:5], s[0:1]
	s_cbranch_execz .LBB10_180
.LBB10_176:
	v_mov_b32_e32 v0, 0
	s_waitcnt lgkmcnt(0)
	global_load_dword v5, v0, s[20:21] glc
	s_brev_b32 s2, 1
	v_cmp_eq_f32_e64 s[0:1], 0, v4
	s_mov_b64 s[6:7], 0
                                        ; implicit-def: $sgpr8_sgpr9
                                        ; implicit-def: $sgpr12_sgpr13
	s_waitcnt vmcnt(0)
	v_cmp_eq_u32_e64 s[10:11], s2, v5
	s_branch .LBB10_178
.LBB10_177:                             ;   in Loop: Header=BB10_178 Depth=1
	s_or_b64 exec, exec, s[14:15]
	s_and_b64 s[2:3], exec, s[8:9]
	s_or_b64 s[6:7], s[2:3], s[6:7]
	s_andn2_b64 s[2:3], s[10:11], exec
	s_and_b64 s[10:11], s[12:13], exec
	s_or_b64 s[10:11], s[2:3], s[10:11]
	s_andn2_b64 exec, exec, s[6:7]
	s_cbranch_execz .LBB10_180
.LBB10_178:                             ; =>This Inner Loop Header: Depth=1
	v_cmp_lt_f32_e64 s[2:3], v5, v4
	s_and_b64 s[14:15], s[0:1], s[10:11]
	s_or_b64 s[2:3], s[2:3], s[14:15]
	s_andn2_b64 s[12:13], s[12:13], exec
	s_or_b64 s[8:9], s[8:9], exec
	s_and_saveexec_b64 s[14:15], s[2:3]
	s_cbranch_execz .LBB10_177
; %bb.179:                              ;   in Loop: Header=BB10_178 Depth=1
	global_atomic_cmpswap v1, v0, v[4:5], s[20:21] glc
	s_andn2_b64 s[12:13], s[12:13], exec
	s_andn2_b64 s[8:9], s[8:9], exec
                                        ; implicit-def: $sgpr10_sgpr11
	s_waitcnt vmcnt(0)
	v_cmp_eq_u32_e64 s[2:3], v1, v5
	v_cndmask_b32_e64 v3, v1, v5, s[2:3]
	v_cmp_class_f32_e64 s[16:17], v3, 32
	s_and_b64 s[2:3], s[2:3], exec
	s_and_b64 s[16:17], s[16:17], exec
	s_or_b64 s[8:9], s[8:9], s[2:3]
	s_or_b64 s[12:13], s[12:13], s[16:17]
	v_mov_b32_e32 v5, v1
	s_branch .LBB10_177
.LBB10_180:
	s_or_b64 exec, exec, s[4:5]
	s_and_b64 s[0:1], vcc, s[26:27]
	s_and_saveexec_b64 s[2:3], s[0:1]
	s_cbranch_execz .LBB10_185
; %bb.181:
	v_mov_b32_e32 v0, 0
	s_waitcnt lgkmcnt(0)
	global_load_dword v3, v0, s[22:23] glc
	s_brev_b32 s0, 1
	v_cmp_eq_f32_e32 vcc, 0, v2
	s_mov_b64 s[2:3], 0
                                        ; implicit-def: $sgpr4_sgpr5
                                        ; implicit-def: $sgpr8_sgpr9
	s_waitcnt vmcnt(0)
	v_cmp_eq_u32_e64 s[6:7], s0, v3
	s_branch .LBB10_183
.LBB10_182:                             ;   in Loop: Header=BB10_183 Depth=1
	s_or_b64 exec, exec, s[10:11]
	s_and_b64 s[0:1], exec, s[4:5]
	s_or_b64 s[2:3], s[0:1], s[2:3]
	s_andn2_b64 s[0:1], s[6:7], exec
	s_and_b64 s[6:7], s[8:9], exec
	s_or_b64 s[6:7], s[0:1], s[6:7]
	s_andn2_b64 exec, exec, s[2:3]
	s_cbranch_execz .LBB10_185
.LBB10_183:                             ; =>This Inner Loop Header: Depth=1
	v_cmp_lt_f32_e64 s[0:1], v3, v2
	s_and_b64 s[10:11], vcc, s[6:7]
	s_or_b64 s[0:1], s[0:1], s[10:11]
	s_andn2_b64 s[8:9], s[8:9], exec
	s_or_b64 s[4:5], s[4:5], exec
	s_and_saveexec_b64 s[10:11], s[0:1]
	s_cbranch_execz .LBB10_182
; %bb.184:                              ;   in Loop: Header=BB10_183 Depth=1
	global_atomic_cmpswap v1, v0, v[2:3], s[22:23] glc
	s_andn2_b64 s[8:9], s[8:9], exec
	s_andn2_b64 s[4:5], s[4:5], exec
                                        ; implicit-def: $sgpr6_sgpr7
	s_waitcnt vmcnt(0)
	v_cmp_eq_u32_e64 s[0:1], v1, v3
	v_cndmask_b32_e64 v3, v1, v3, s[0:1]
	v_cmp_class_f32_e64 s[12:13], v3, 32
	s_and_b64 s[0:1], s[0:1], exec
	s_and_b64 s[12:13], s[12:13], exec
	s_or_b64 s[4:5], s[4:5], s[0:1]
	s_or_b64 s[8:9], s[8:9], s[12:13]
	v_mov_b32_e32 v3, v1
	s_branch .LBB10_182
.LBB10_185:
	s_endpgm
	.section	.rodata,"a",@progbits
	.p2align	6, 0x0
	.amdhsa_kernel _ZN9rocsparseL6kernelILi1024ELi8EfiiEEvbbbT3_PS1_NS_15floating_traitsIT1_E6data_tES1_T2_PKS7_S9_PKS1_PKS4_21rocsparse_index_base_S9_S9_SB_PS4_SF_SE_S9_S9_SB_SF_SF_SE_SF_SF_PS6_SG_PKS6_
		.amdhsa_group_segment_fixed_size 1024
		.amdhsa_private_segment_fixed_size 0
		.amdhsa_kernarg_size 208
		.amdhsa_user_sgpr_count 6
		.amdhsa_user_sgpr_private_segment_buffer 1
		.amdhsa_user_sgpr_dispatch_ptr 0
		.amdhsa_user_sgpr_queue_ptr 0
		.amdhsa_user_sgpr_kernarg_segment_ptr 1
		.amdhsa_user_sgpr_dispatch_id 0
		.amdhsa_user_sgpr_flat_scratch_init 0
		.amdhsa_user_sgpr_kernarg_preload_length 0
		.amdhsa_user_sgpr_kernarg_preload_offset 0
		.amdhsa_user_sgpr_private_segment_size 0
		.amdhsa_uses_dynamic_stack 0
		.amdhsa_system_sgpr_private_segment_wavefront_offset 0
		.amdhsa_system_sgpr_workgroup_id_x 1
		.amdhsa_system_sgpr_workgroup_id_y 0
		.amdhsa_system_sgpr_workgroup_id_z 0
		.amdhsa_system_sgpr_workgroup_info 0
		.amdhsa_system_vgpr_workitem_id 0
		.amdhsa_next_free_vgpr 49
		.amdhsa_next_free_sgpr 96
		.amdhsa_accum_offset 52
		.amdhsa_reserve_vcc 1
		.amdhsa_reserve_flat_scratch 0
		.amdhsa_float_round_mode_32 0
		.amdhsa_float_round_mode_16_64 0
		.amdhsa_float_denorm_mode_32 3
		.amdhsa_float_denorm_mode_16_64 3
		.amdhsa_dx10_clamp 1
		.amdhsa_ieee_mode 1
		.amdhsa_fp16_overflow 0
		.amdhsa_tg_split 0
		.amdhsa_exception_fp_ieee_invalid_op 0
		.amdhsa_exception_fp_denorm_src 0
		.amdhsa_exception_fp_ieee_div_zero 0
		.amdhsa_exception_fp_ieee_overflow 0
		.amdhsa_exception_fp_ieee_underflow 0
		.amdhsa_exception_fp_ieee_inexact 0
		.amdhsa_exception_int_div_zero 0
	.end_amdhsa_kernel
	.section	.text._ZN9rocsparseL6kernelILi1024ELi8EfiiEEvbbbT3_PS1_NS_15floating_traitsIT1_E6data_tES1_T2_PKS7_S9_PKS1_PKS4_21rocsparse_index_base_S9_S9_SB_PS4_SF_SE_S9_S9_SB_SF_SF_SE_SF_SF_PS6_SG_PKS6_,"axG",@progbits,_ZN9rocsparseL6kernelILi1024ELi8EfiiEEvbbbT3_PS1_NS_15floating_traitsIT1_E6data_tES1_T2_PKS7_S9_PKS1_PKS4_21rocsparse_index_base_S9_S9_SB_PS4_SF_SE_S9_S9_SB_SF_SF_SE_SF_SF_PS6_SG_PKS6_,comdat
.Lfunc_end10:
	.size	_ZN9rocsparseL6kernelILi1024ELi8EfiiEEvbbbT3_PS1_NS_15floating_traitsIT1_E6data_tES1_T2_PKS7_S9_PKS1_PKS4_21rocsparse_index_base_S9_S9_SB_PS4_SF_SE_S9_S9_SB_SF_SF_SE_SF_SF_PS6_SG_PKS6_, .Lfunc_end10-_ZN9rocsparseL6kernelILi1024ELi8EfiiEEvbbbT3_PS1_NS_15floating_traitsIT1_E6data_tES1_T2_PKS7_S9_PKS1_PKS4_21rocsparse_index_base_S9_S9_SB_PS4_SF_SE_S9_S9_SB_SF_SF_SE_SF_SF_PS6_SG_PKS6_
                                        ; -- End function
	.section	.AMDGPU.csdata,"",@progbits
; Kernel info:
; codeLenInByte = 5900
; NumSgprs: 100
; NumVgprs: 49
; NumAgprs: 0
; TotalNumVgprs: 49
; ScratchSize: 0
; MemoryBound: 0
; FloatMode: 240
; IeeeMode: 1
; LDSByteSize: 1024 bytes/workgroup (compile time only)
; SGPRBlocks: 12
; VGPRBlocks: 6
; NumSGPRsForWavesPerEU: 100
; NumVGPRsForWavesPerEU: 49
; AccumOffset: 52
; Occupancy: 8
; WaveLimiterHint : 1
; COMPUTE_PGM_RSRC2:SCRATCH_EN: 0
; COMPUTE_PGM_RSRC2:USER_SGPR: 6
; COMPUTE_PGM_RSRC2:TRAP_HANDLER: 0
; COMPUTE_PGM_RSRC2:TGID_X_EN: 1
; COMPUTE_PGM_RSRC2:TGID_Y_EN: 0
; COMPUTE_PGM_RSRC2:TGID_Z_EN: 0
; COMPUTE_PGM_RSRC2:TIDIG_COMP_CNT: 0
; COMPUTE_PGM_RSRC3_GFX90A:ACCUM_OFFSET: 12
; COMPUTE_PGM_RSRC3_GFX90A:TG_SPLIT: 0
	.section	.text._ZN9rocsparseL6kernelILi1024ELi16EfiiEEvbbbT3_PS1_NS_15floating_traitsIT1_E6data_tES1_T2_PKS7_S9_PKS1_PKS4_21rocsparse_index_base_S9_S9_SB_PS4_SF_SE_S9_S9_SB_SF_SF_SE_SF_SF_PS6_SG_PKS6_,"axG",@progbits,_ZN9rocsparseL6kernelILi1024ELi16EfiiEEvbbbT3_PS1_NS_15floating_traitsIT1_E6data_tES1_T2_PKS7_S9_PKS1_PKS4_21rocsparse_index_base_S9_S9_SB_PS4_SF_SE_S9_S9_SB_SF_SF_SE_SF_SF_PS6_SG_PKS6_,comdat
	.globl	_ZN9rocsparseL6kernelILi1024ELi16EfiiEEvbbbT3_PS1_NS_15floating_traitsIT1_E6data_tES1_T2_PKS7_S9_PKS1_PKS4_21rocsparse_index_base_S9_S9_SB_PS4_SF_SE_S9_S9_SB_SF_SF_SE_SF_SF_PS6_SG_PKS6_ ; -- Begin function _ZN9rocsparseL6kernelILi1024ELi16EfiiEEvbbbT3_PS1_NS_15floating_traitsIT1_E6data_tES1_T2_PKS7_S9_PKS1_PKS4_21rocsparse_index_base_S9_S9_SB_PS4_SF_SE_S9_S9_SB_SF_SF_SE_SF_SF_PS6_SG_PKS6_
	.p2align	8
	.type	_ZN9rocsparseL6kernelILi1024ELi16EfiiEEvbbbT3_PS1_NS_15floating_traitsIT1_E6data_tES1_T2_PKS7_S9_PKS1_PKS4_21rocsparse_index_base_S9_S9_SB_PS4_SF_SE_S9_S9_SB_SF_SF_SE_SF_SF_PS6_SG_PKS6_,@function
_ZN9rocsparseL6kernelILi1024ELi16EfiiEEvbbbT3_PS1_NS_15floating_traitsIT1_E6data_tES1_T2_PKS7_S9_PKS1_PKS4_21rocsparse_index_base_S9_S9_SB_PS4_SF_SE_S9_S9_SB_SF_SF_SE_SF_SF_PS6_SG_PKS6_: ; @_ZN9rocsparseL6kernelILi1024ELi16EfiiEEvbbbT3_PS1_NS_15floating_traitsIT1_E6data_tES1_T2_PKS7_S9_PKS1_PKS4_21rocsparse_index_base_S9_S9_SB_PS4_SF_SE_S9_S9_SB_SF_SF_SE_SF_SF_PS6_SG_PKS6_
; %bb.0:
	s_load_dword s0, s[4:5], 0x0
	s_load_dwordx2 s[2:3], s[4:5], 0x0
	s_load_dwordx2 s[66:67], s[4:5], 0x10
	s_load_dwordx4 s[20:23], s[4:5], 0xb8
	v_lshrrev_b32_e32 v3, 4, v0
	s_waitcnt lgkmcnt(0)
	s_bitcmp1_b32 s0, 0
	s_cselect_b64 s[62:63], -1, 0
	s_bitcmp1_b32 s0, 8
	s_cselect_b64 s[60:61], -1, 0
	;; [unrolled: 2-line block ×3, first 2 shown]
	s_lshl_b32 s65, s6, 10
	s_mov_b32 s1, s3
                                        ; implicit-def: $vgpr48 : SGPR spill to VGPR lane
	v_or_b32_e32 v28, s65, v3
	v_writelane_b32 v48, s0, 0
	s_cmp_gt_i32 s3, 0
	v_cmp_gt_i32_e32 vcc, s67, v28
	v_writelane_b32 v48, s1, 1
	s_cselect_b64 s[0:1], -1, 0
	v_and_b32_e32 v5, 15, v0
	v_lshlrev_b32_e32 v1, 2, v0
	v_mov_b32_e32 v2, 0
	s_and_b64 s[0:1], s[0:1], vcc
	s_mov_b32 s33, 0
	v_mov_b32_e32 v4, 0
	v_mov_b32_e32 v6, 0
	ds_write_b32 v1, v2
	s_waitcnt lgkmcnt(0)
	s_barrier
	s_and_saveexec_b64 s[2:3], s[0:1]
	s_cbranch_execnz .LBB11_3
; %bb.1:
	s_or_b64 exec, exec, s[2:3]
	s_andn2_b64 vcc, exec, s[62:63]
	s_cbranch_vccz .LBB11_152
.LBB11_2:
	v_cmp_eq_u32_e32 vcc, 0, v0
	s_and_b64 s[0:1], vcc, s[60:61]
	s_and_saveexec_b64 s[4:5], s[0:1]
	s_cbranch_execnz .LBB11_170
	s_branch .LBB11_174
.LBB11_3:
	s_load_dwordx2 s[0:1], s[4:5], 0xc8
	v_writelane_b32 v48, s2, 2
	v_writelane_b32 v48, s3, 3
	s_load_dwordx4 s[56:59], s[4:5], 0xa8
	s_load_dwordx8 s[24:31], s[4:5], 0x78
	s_load_dwordx8 s[36:43], s[4:5], 0x48
	;; [unrolled: 1-line block ×3, first 2 shown]
	s_load_dword s64, s[4:5], 0x40
	s_load_dwordx2 s[74:75], s[4:5], 0x68
	s_load_dword s78, s[4:5], 0x70
	s_load_dwordx2 s[76:77], s[4:5], 0x98
	s_waitcnt lgkmcnt(0)
	v_writelane_b32 v48, s0, 4
	v_writelane_b32 v48, s1, 5
	s_xor_b64 s[0:1], s[60:61], -1
	v_writelane_b32 v48, s0, 6
	v_writelane_b32 v48, s1, 7
	;; [unrolled: 1-line block ×3, first 2 shown]
	s_load_dword s79, s[4:5], 0xa0
	s_and_b64 s[0:1], s[60:61], s[34:35]
	v_writelane_b32 v48, s5, 9
	s_xor_b64 s[0:1], s[0:1], -1
	s_addk_i32 s65, 0x400
	v_writelane_b32 v48, s0, 10
	v_not_b32_e32 v2, v5
	v_or_b32_e32 v4, 16, v5
	v_subrev_u32_e32 v29, s64, v5
	v_cmp_gt_u32_e64 s[4:5], s65, v28
	v_cmp_eq_u32_e64 s[2:3], 15, v5
	v_lshlrev_b32_e32 v30, 2, v3
	v_cmp_gt_u32_e64 s[6:7], 32, v0
	v_cmp_gt_u32_e64 s[8:9], 16, v0
	;; [unrolled: 1-line block ×5, first 2 shown]
	v_cmp_eq_u32_e64 s[16:17], 0, v0
	v_subrev_u32_e32 v31, s78, v5
	s_waitcnt lgkmcnt(0)
	v_subrev_u32_e32 v32, s79, v5
	v_cmp_eq_u32_e64 s[18:19], 0, v5
	v_writelane_b32 v48, s1, 11
	v_add_u32_e32 v33, s79, v2
	v_subrev_u32_e32 v34, s79, v4
	v_add_u32_e32 v35, s78, v2
	v_subrev_u32_e32 v36, s78, v4
	s_mov_b64 s[80:81], 0
	v_mov_b32_e32 v7, 0
	s_movk_i32 s0, 0x1f8
	v_mov_b32_e32 v37, 0
	v_mov_b32_e32 v4, 0
	;; [unrolled: 1-line block ×3, first 2 shown]
	s_branch .LBB11_5
.LBB11_4:                               ;   in Loop: Header=BB11_5 Depth=1
	s_or_b64 exec, exec, s[52:53]
	s_and_b64 s[20:21], exec, s[22:23]
	s_or_b64 s[80:81], s[20:21], s[80:81]
	s_andn2_b64 exec, exec, s[80:81]
	s_cbranch_execz .LBB11_151
.LBB11_5:                               ; =>This Loop Header: Depth=1
                                        ;     Child Loop BB11_9 Depth 2
                                        ;       Child Loop BB11_14 Depth 3
                                        ;         Child Loop BB11_18 Depth 4
                                        ;         Child Loop BB11_39 Depth 4
	;; [unrolled: 1-line block ×5, first 2 shown]
                                        ;     Child Loop BB11_120 Depth 2
                                        ;       Child Loop BB11_124 Depth 3
                                        ;       Child Loop BB11_128 Depth 3
	;; [unrolled: 1-line block ×4, first 2 shown]
	v_cndmask_b32_e64 v4, v4, 0, s[60:61]
	v_cndmask_b32_e64 v2, v2, 0, s[34:35]
	s_mov_b32 s1, 0
	s_branch .LBB11_9
.LBB11_6:                               ;   in Loop: Header=BB11_9 Depth=2
	s_or_b64 exec, exec, s[86:87]
.LBB11_7:                               ;   in Loop: Header=BB11_9 Depth=2
	s_or_b64 exec, exec, s[84:85]
.LBB11_8:                               ;   in Loop: Header=BB11_9 Depth=2
	s_or_b64 exec, exec, s[82:83]
	s_add_i32 s1, s1, 1
	s_cmp_eq_u32 s1, 16
	s_cbranch_scc1 .LBB11_85
.LBB11_9:                               ;   Parent Loop BB11_5 Depth=1
                                        ; =>  This Loop Header: Depth=2
                                        ;       Child Loop BB11_14 Depth 3
                                        ;         Child Loop BB11_18 Depth 4
                                        ;         Child Loop BB11_39 Depth 4
	;; [unrolled: 1-line block ×5, first 2 shown]
	v_lshl_add_u32 v8, s1, 6, v28
	v_cmp_gt_i32_e32 vcc, s67, v8
	s_and_saveexec_b64 s[82:83], vcc
	s_cbranch_execz .LBB11_8
; %bb.10:                               ;   in Loop: Header=BB11_9 Depth=2
	v_ashrrev_i32_e32 v9, 31, v8
	v_lshlrev_b64 v[12:13], 2, v[8:9]
	v_mov_b32_e32 v6, s45
	v_add_co_u32_e32 v10, vcc, s44, v12
	v_addc_co_u32_e32 v11, vcc, v6, v13, vcc
	global_load_dword v6, v[10:11], off
	v_mov_b32_e32 v9, s47
	v_add_co_u32_e32 v10, vcc, s46, v12
	v_addc_co_u32_e32 v11, vcc, v9, v13, vcc
	global_load_dword v9, v[10:11], off
	s_waitcnt vmcnt(1)
	v_add_u32_e32 v10, v29, v6
	s_waitcnt vmcnt(0)
	v_subrev_u32_e32 v9, s64, v9
	v_cmp_lt_i32_e32 vcc, v10, v9
	s_and_saveexec_b64 s[84:85], vcc
	s_cbranch_execz .LBB11_7
; %bb.11:                               ;   in Loop: Header=BB11_9 Depth=2
	v_mov_b32_e32 v6, s39
	v_add_co_u32_e32 v14, vcc, s38, v12
	v_addc_co_u32_e32 v15, vcc, v6, v13, vcc
	v_mov_b32_e32 v6, s37
	v_add_co_u32_e32 v12, vcc, s36, v12
	v_addc_co_u32_e32 v13, vcc, v6, v13, vcc
	global_load_dword v6, v[12:13], off
	global_load_dword v11, v[14:15], off
	v_mov_b32_e32 v16, s41
	v_mov_b32_e32 v17, s43
	s_mov_b64 s[86:87], 0
	s_waitcnt vmcnt(1)
	v_subrev_u32_e32 v12, s78, v6
	v_ashrrev_i32_e32 v13, 31, v12
	v_lshlrev_b64 v[14:15], 2, v[12:13]
	v_add_co_u32_e32 v13, vcc, s40, v14
	v_addc_co_u32_e32 v39, vcc, v16, v15, vcc
	s_waitcnt vmcnt(0)
	v_sub_u32_e32 v38, v11, v6
	v_add_co_u32_e32 v40, vcc, s42, v14
	v_cmp_lt_i32_e64 s[20:21], 0, v38
	v_addc_co_u32_e32 v41, vcc, v17, v15, vcc
	s_branch .LBB11_14
.LBB11_12:                              ;   in Loop: Header=BB11_14 Depth=3
	s_or_b64 exec, exec, s[52:53]
.LBB11_13:                              ;   in Loop: Header=BB11_14 Depth=3
	s_or_b64 exec, exec, s[22:23]
	v_add_u32_e32 v10, 16, v10
	v_cmp_ge_i32_e32 vcc, v10, v9
	s_or_b64 s[86:87], vcc, s[86:87]
	s_andn2_b64 exec, exec, s[86:87]
	s_cbranch_execz .LBB11_6
.LBB11_14:                              ;   Parent Loop BB11_5 Depth=1
                                        ;     Parent Loop BB11_9 Depth=2
                                        ; =>    This Loop Header: Depth=3
                                        ;         Child Loop BB11_18 Depth 4
                                        ;         Child Loop BB11_39 Depth 4
	;; [unrolled: 1-line block ×5, first 2 shown]
	v_ashrrev_i32_e32 v11, 31, v10
	v_lshlrev_b64 v[22:23], 2, v[10:11]
	v_mov_b32_e32 v6, s49
	v_add_co_u32_e32 v14, vcc, s48, v22
	v_addc_co_u32_e32 v15, vcc, v6, v23, vcc
	global_load_dword v6, v[14:15], off
	v_mov_b32_e32 v11, s25
	v_mov_b32_e32 v21, s27
	s_waitcnt vmcnt(0)
	v_subrev_u32_e32 v16, s64, v6
	v_ashrrev_i32_e32 v17, 31, v16
	v_lshlrev_b64 v[14:15], 2, v[16:17]
	v_add_co_u32_e32 v18, vcc, s24, v14
	v_addc_co_u32_e32 v19, vcc, v11, v15, vcc
	v_add_co_u32_e32 v20, vcc, s26, v14
	v_addc_co_u32_e32 v21, vcc, v21, v15, vcc
	global_load_dword v6, v[18:19], off
	global_load_dword v17, v[20:21], off
	v_mov_b32_e32 v11, 0
	v_mov_b32_e32 v20, 0
	s_waitcnt vmcnt(1)
	v_subrev_u32_e32 v18, s79, v6
	s_waitcnt vmcnt(0)
	v_sub_u32_e32 v42, v17, v6
	v_mov_b32_e32 v6, 0
	s_and_saveexec_b64 s[22:23], s[20:21]
	s_cbranch_execz .LBB11_22
; %bb.15:                               ;   in Loop: Header=BB11_14 Depth=3
	v_ashrrev_i32_e32 v19, 31, v18
	v_lshlrev_b64 v[20:21], 2, v[18:19]
	v_mov_b32_e32 v6, s29
	v_add_co_u32_e32 v17, vcc, s28, v20
	v_addc_co_u32_e32 v19, vcc, v6, v21, vcc
	v_mov_b32_e32 v6, s31
	v_add_co_u32_e32 v43, vcc, s30, v20
	v_addc_co_u32_e32 v44, vcc, v6, v21, vcc
	v_mov_b32_e32 v6, 0
	s_mov_b64 s[88:89], 0
	v_mov_b32_e32 v11, 0
	v_mov_b32_e32 v20, v6
                                        ; implicit-def: $sgpr90_sgpr91
	s_branch .LBB11_18
.LBB11_16:                              ;   in Loop: Header=BB11_18 Depth=4
	s_or_b64 exec, exec, s[54:55]
	v_cmp_le_i32_e32 vcc, v21, v45
	v_addc_co_u32_e32 v6, vcc, 0, v6, vcc
	v_cmp_ge_i32_e32 vcc, v21, v45
	v_addc_co_u32_e32 v20, vcc, 0, v20, vcc
	v_cmp_ge_i32_e32 vcc, v6, v38
	s_andn2_b64 s[54:55], s[90:91], exec
	s_and_b64 s[68:69], vcc, exec
	s_or_b64 s[90:91], s[54:55], s[68:69]
.LBB11_17:                              ;   in Loop: Header=BB11_18 Depth=4
	s_or_b64 exec, exec, s[52:53]
	s_and_b64 s[52:53], exec, s[90:91]
	s_or_b64 s[88:89], s[52:53], s[88:89]
	s_andn2_b64 exec, exec, s[88:89]
	s_cbranch_execz .LBB11_21
.LBB11_18:                              ;   Parent Loop BB11_5 Depth=1
                                        ;     Parent Loop BB11_9 Depth=2
                                        ;       Parent Loop BB11_14 Depth=3
                                        ; =>      This Inner Loop Header: Depth=4
	v_cmp_lt_i32_e32 vcc, v20, v42
	s_or_b64 s[90:91], s[90:91], exec
	s_and_saveexec_b64 s[52:53], vcc
	s_cbranch_execz .LBB11_17
; %bb.19:                               ;   in Loop: Header=BB11_18 Depth=4
	v_lshlrev_b64 v[24:25], 2, v[6:7]
	v_add_co_u32_e32 v26, vcc, v13, v24
	v_addc_co_u32_e32 v27, vcc, v39, v25, vcc
	v_mov_b32_e32 v21, v7
	global_load_dword v45, v[26:27], off
	v_lshlrev_b64 v[26:27], 2, v[20:21]
	v_add_co_u32_e32 v46, vcc, v17, v26
	v_addc_co_u32_e32 v47, vcc, v19, v27, vcc
	global_load_dword v46, v[46:47], off
	s_waitcnt vmcnt(1)
	v_subrev_u32_e32 v21, s78, v45
	s_waitcnt vmcnt(0)
	v_subrev_u32_e32 v45, s79, v46
	v_cmp_eq_u32_e32 vcc, v21, v45
	s_and_saveexec_b64 s[54:55], vcc
	s_cbranch_execz .LBB11_16
; %bb.20:                               ;   in Loop: Header=BB11_18 Depth=4
	v_add_co_u32_e32 v24, vcc, v40, v24
	v_addc_co_u32_e32 v25, vcc, v41, v25, vcc
	v_add_co_u32_e32 v26, vcc, v43, v26
	v_addc_co_u32_e32 v27, vcc, v44, v27, vcc
	global_load_dword v24, v[24:25], off
	s_nop 0
	global_load_dword v25, v[26:27], off
	s_waitcnt vmcnt(0)
	v_fmac_f32_e32 v11, v24, v25
	s_branch .LBB11_16
.LBB11_21:                              ;   in Loop: Header=BB11_14 Depth=3
	s_or_b64 exec, exec, s[88:89]
.LBB11_22:                              ;   in Loop: Header=BB11_14 Depth=3
	s_or_b64 exec, exec, s[22:23]
	v_mov_b32_e32 v17, s51
	v_add_co_u32_e32 v22, vcc, s50, v22
	v_addc_co_u32_e32 v23, vcc, v17, v23, vcc
	global_load_dword v17, v[22:23], off
	v_cmp_le_i32_e64 s[22:23], v8, v16
	v_cmp_gt_i32_e32 vcc, v8, v16
	s_waitcnt vmcnt(0)
	v_sub_f32_e32 v19, v17, v11
	s_and_saveexec_b64 s[52:53], vcc
	s_cbranch_execnz .LBB11_25
; %bb.23:                               ;   in Loop: Header=BB11_14 Depth=3
	s_or_b64 exec, exec, s[52:53]
	v_cmp_class_f32_e64 s[88:89], v19, s0
	s_and_saveexec_b64 s[90:91], s[88:89]
	s_cbranch_execnz .LBB11_28
.LBB11_24:                              ;   in Loop: Header=BB11_14 Depth=3
	s_or_b64 exec, exec, s[90:91]
	s_and_b64 s[52:53], s[88:89], s[34:35]
	s_and_saveexec_b64 s[22:23], s[52:53]
	s_cbranch_execz .LBB11_13
	s_branch .LBB11_63
.LBB11_25:                              ;   in Loop: Header=BB11_14 Depth=3
	v_mov_b32_e32 v21, s57
	v_add_co_u32_e32 v22, vcc, s56, v14
	v_addc_co_u32_e32 v23, vcc, v21, v15, vcc
	global_load_dword v21, v[22:23], off
	v_mov_b32_e32 v22, 0
	s_waitcnt vmcnt(0)
	v_cmp_lg_f32_e32 vcc, 0, v21
	s_and_saveexec_b64 s[54:55], vcc
; %bb.26:                               ;   in Loop: Header=BB11_14 Depth=3
	v_div_scale_f32 v22, s[68:69], v21, v21, v19
	v_rcp_f32_e32 v23, v22
	v_div_scale_f32 v24, vcc, v19, v21, v19
	v_fma_f32 v25, -v22, v23, 1.0
	v_fmac_f32_e32 v23, v25, v23
	v_mul_f32_e32 v25, v24, v23
	v_fma_f32 v26, -v22, v25, v24
	v_fmac_f32_e32 v25, v26, v23
	v_fma_f32 v22, -v22, v25, v24
	v_div_fmas_f32 v22, v22, v23, v25
	v_div_fixup_f32 v22, v22, v21, v19
; %bb.27:                               ;   in Loop: Header=BB11_14 Depth=3
	s_or_b64 exec, exec, s[54:55]
	v_mov_b32_e32 v19, v22
	s_or_b64 exec, exec, s[52:53]
	v_cmp_class_f32_e64 s[88:89], v19, s0
	s_and_saveexec_b64 s[90:91], s[88:89]
	s_cbranch_execz .LBB11_24
.LBB11_28:                              ;   in Loop: Header=BB11_14 Depth=3
	s_and_saveexec_b64 s[52:53], s[22:23]
	s_xor_b64 s[22:23], exec, s[52:53]
	s_cbranch_execz .LBB11_49
; %bb.29:                               ;   in Loop: Header=BB11_14 Depth=3
	v_cmp_ge_i32_e32 vcc, v8, v16
	s_and_saveexec_b64 s[52:53], vcc
	s_xor_b64 s[52:53], exec, s[52:53]
	s_cbranch_execz .LBB11_35
; %bb.30:                               ;   in Loop: Header=BB11_14 Depth=3
	v_mov_b32_e32 v21, s59
	v_add_co_u32_e32 v22, vcc, s58, v14
	v_addc_co_u32_e32 v23, vcc, v21, v15, vcc
	s_andn2_b64 vcc, exec, s[60:61]
	global_store_dword v[22:23], v19, off
	s_cbranch_vccnz .LBB11_34
; %bb.31:                               ;   in Loop: Header=BB11_14 Depth=3
	v_mov_b32_e32 v21, s57
	v_add_co_u32_e32 v22, vcc, s56, v14
	v_addc_co_u32_e32 v23, vcc, v21, v15, vcc
	global_load_dword v21, v[22:23], off
	s_waitcnt vmcnt(0)
	v_sub_f32_e32 v19, v21, v19
	v_cmp_class_f32_e64 s[68:69], v19, s0
	s_and_saveexec_b64 s[54:55], s[68:69]
; %bb.32:                               ;   in Loop: Header=BB11_14 Depth=3
	v_cmp_lt_f32_e64 s[68:69], v4, |v19|
	v_cndmask_b32_e64 v4, v4, |v19|, s[68:69]
; %bb.33:                               ;   in Loop: Header=BB11_14 Depth=3
	s_or_b64 exec, exec, s[54:55]
.LBB11_34:                              ;   in Loop: Header=BB11_14 Depth=3
                                        ; implicit-def: $vgpr19
.LBB11_35:                              ;   in Loop: Header=BB11_14 Depth=3
	s_andn2_saveexec_b64 s[92:93], s[52:53]
	s_cbranch_execz .LBB11_48
; %bb.36:                               ;   in Loop: Header=BB11_14 Depth=3
	v_cmp_lt_i32_e32 vcc, v20, v42
	s_and_saveexec_b64 s[94:95], vcc
	s_cbranch_execz .LBB11_47
; %bb.37:                               ;   in Loop: Header=BB11_14 Depth=3
	s_mov_b64 s[68:69], 0
	v_mov_b32_e32 v21, v20
                                        ; implicit-def: $sgpr72_sgpr73
                                        ; implicit-def: $sgpr54_sgpr55
                                        ; implicit-def: $sgpr52_sgpr53
	s_branch .LBB11_39
.LBB11_38:                              ;   in Loop: Header=BB11_39 Depth=4
	s_or_b64 exec, exec, s[70:71]
	s_and_b64 s[70:71], exec, s[54:55]
	s_or_b64 s[68:69], s[70:71], s[68:69]
	s_andn2_b64 s[70:71], s[72:73], exec
	s_and_b64 s[72:73], s[52:53], exec
	s_or_b64 s[72:73], s[70:71], s[72:73]
	s_andn2_b64 exec, exec, s[68:69]
	s_cbranch_execz .LBB11_41
.LBB11_39:                              ;   Parent Loop BB11_5 Depth=1
                                        ;     Parent Loop BB11_9 Depth=2
                                        ;       Parent Loop BB11_14 Depth=3
                                        ; =>      This Inner Loop Header: Depth=4
	v_add_u32_e32 v22, v18, v21
	v_ashrrev_i32_e32 v23, 31, v22
	v_lshlrev_b64 v[22:23], 2, v[22:23]
	v_mov_b32_e32 v25, s29
	v_add_co_u32_e32 v24, vcc, s28, v22
	v_addc_co_u32_e32 v25, vcc, v25, v23, vcc
	global_load_dword v24, v[24:25], off
	s_or_b64 s[52:53], s[52:53], exec
	s_or_b64 s[54:55], s[54:55], exec
	s_waitcnt vmcnt(0)
	v_subrev_u32_e32 v24, s79, v24
	v_cmp_ne_u32_e32 vcc, v24, v8
	s_and_saveexec_b64 s[70:71], vcc
	s_cbranch_execz .LBB11_38
; %bb.40:                               ;   in Loop: Header=BB11_39 Depth=4
	v_add_u32_e32 v21, 1, v21
	v_cmp_ge_i32_e32 vcc, v21, v42
	s_andn2_b64 s[54:55], s[54:55], exec
	s_and_b64 vcc, vcc, exec
	s_andn2_b64 s[52:53], s[52:53], exec
	s_or_b64 s[54:55], s[54:55], vcc
	s_branch .LBB11_38
.LBB11_41:                              ;   in Loop: Header=BB11_14 Depth=3
	s_or_b64 exec, exec, s[68:69]
	s_and_saveexec_b64 s[52:53], s[72:73]
	s_xor_b64 s[52:53], exec, s[52:53]
	s_cbranch_execz .LBB11_46
; %bb.42:                               ;   in Loop: Header=BB11_14 Depth=3
	v_mov_b32_e32 v21, s77
	v_add_co_u32_e32 v24, vcc, s76, v22
	v_addc_co_u32_e32 v25, vcc, v21, v23, vcc
	s_andn2_b64 vcc, exec, s[60:61]
	global_store_dword v[24:25], v19, off
	s_cbranch_vccnz .LBB11_46
; %bb.43:                               ;   in Loop: Header=BB11_14 Depth=3
	v_mov_b32_e32 v21, s31
	v_add_co_u32_e32 v22, vcc, s30, v22
	v_addc_co_u32_e32 v23, vcc, v21, v23, vcc
	global_load_dword v21, v[22:23], off
	s_waitcnt vmcnt(0)
	v_sub_f32_e32 v19, v21, v19
	v_cmp_class_f32_e64 s[68:69], v19, s0
	s_and_saveexec_b64 s[54:55], s[68:69]
; %bb.44:                               ;   in Loop: Header=BB11_14 Depth=3
	v_cmp_lt_f32_e64 s[68:69], v4, |v19|
	v_cndmask_b32_e64 v4, v4, |v19|, s[68:69]
; %bb.45:                               ;   in Loop: Header=BB11_14 Depth=3
	s_or_b64 exec, exec, s[54:55]
.LBB11_46:                              ;   in Loop: Header=BB11_14 Depth=3
	s_or_b64 exec, exec, s[52:53]
.LBB11_47:                              ;   in Loop: Header=BB11_14 Depth=3
	s_or_b64 exec, exec, s[94:95]
.LBB11_48:                              ;   in Loop: Header=BB11_14 Depth=3
	s_or_b64 exec, exec, s[92:93]
                                        ; implicit-def: $vgpr19
.LBB11_49:                              ;   in Loop: Header=BB11_14 Depth=3
	s_andn2_saveexec_b64 s[22:23], s[22:23]
	s_cbranch_execz .LBB11_62
; %bb.50:                               ;   in Loop: Header=BB11_14 Depth=3
	v_cmp_lt_i32_e32 vcc, v6, v38
	s_and_saveexec_b64 s[92:93], vcc
	s_cbranch_execz .LBB11_61
; %bb.51:                               ;   in Loop: Header=BB11_14 Depth=3
	s_mov_b64 s[94:95], 0
	v_mov_b32_e32 v21, v6
                                        ; implicit-def: $sgpr68_sgpr69
                                        ; implicit-def: $sgpr54_sgpr55
                                        ; implicit-def: $sgpr52_sgpr53
	s_branch .LBB11_53
.LBB11_52:                              ;   in Loop: Header=BB11_53 Depth=4
	s_or_b64 exec, exec, s[72:73]
	s_and_b64 s[70:71], exec, s[54:55]
	s_or_b64 s[94:95], s[70:71], s[94:95]
	s_andn2_b64 s[68:69], s[68:69], exec
	s_and_b64 s[70:71], s[52:53], exec
	s_or_b64 s[68:69], s[68:69], s[70:71]
	s_andn2_b64 exec, exec, s[94:95]
	s_cbranch_execz .LBB11_55
.LBB11_53:                              ;   Parent Loop BB11_5 Depth=1
                                        ;     Parent Loop BB11_9 Depth=2
                                        ;       Parent Loop BB11_14 Depth=3
                                        ; =>      This Inner Loop Header: Depth=4
	v_add_u32_e32 v22, v12, v21
	v_ashrrev_i32_e32 v23, 31, v22
	v_lshlrev_b64 v[22:23], 2, v[22:23]
	v_mov_b32_e32 v25, s41
	v_add_co_u32_e32 v24, vcc, s40, v22
	v_addc_co_u32_e32 v25, vcc, v25, v23, vcc
	global_load_dword v24, v[24:25], off
	s_or_b64 s[52:53], s[52:53], exec
	s_or_b64 s[54:55], s[54:55], exec
	s_waitcnt vmcnt(0)
	v_subrev_u32_e32 v24, s78, v24
	v_cmp_ne_u32_e32 vcc, v24, v16
	s_and_saveexec_b64 s[72:73], vcc
	s_cbranch_execz .LBB11_52
; %bb.54:                               ;   in Loop: Header=BB11_53 Depth=4
	v_add_u32_e32 v21, 1, v21
	v_cmp_ge_i32_e32 vcc, v21, v38
	s_andn2_b64 s[54:55], s[54:55], exec
	s_and_b64 s[70:71], vcc, exec
	s_andn2_b64 s[52:53], s[52:53], exec
	s_or_b64 s[54:55], s[54:55], s[70:71]
	s_branch .LBB11_52
.LBB11_55:                              ;   in Loop: Header=BB11_14 Depth=3
	s_or_b64 exec, exec, s[94:95]
	s_and_saveexec_b64 s[52:53], s[68:69]
	s_xor_b64 s[52:53], exec, s[52:53]
	s_cbranch_execz .LBB11_60
; %bb.56:                               ;   in Loop: Header=BB11_14 Depth=3
	v_mov_b32_e32 v21, s75
	v_add_co_u32_e32 v24, vcc, s74, v22
	v_addc_co_u32_e32 v25, vcc, v21, v23, vcc
	s_andn2_b64 vcc, exec, s[60:61]
	global_store_dword v[24:25], v19, off
	s_cbranch_vccnz .LBB11_60
; %bb.57:                               ;   in Loop: Header=BB11_14 Depth=3
	v_mov_b32_e32 v21, s43
	v_add_co_u32_e32 v22, vcc, s42, v22
	v_addc_co_u32_e32 v23, vcc, v21, v23, vcc
	global_load_dword v21, v[22:23], off
	s_waitcnt vmcnt(0)
	v_sub_f32_e32 v19, v21, v19
	v_cmp_class_f32_e64 s[68:69], v19, s0
	s_and_saveexec_b64 s[54:55], s[68:69]
; %bb.58:                               ;   in Loop: Header=BB11_14 Depth=3
	v_cmp_lt_f32_e64 s[68:69], v4, |v19|
	v_cndmask_b32_e64 v4, v4, |v19|, s[68:69]
; %bb.59:                               ;   in Loop: Header=BB11_14 Depth=3
	s_or_b64 exec, exec, s[54:55]
.LBB11_60:                              ;   in Loop: Header=BB11_14 Depth=3
	s_or_b64 exec, exec, s[52:53]
.LBB11_61:                              ;   in Loop: Header=BB11_14 Depth=3
	s_or_b64 exec, exec, s[92:93]
.LBB11_62:                              ;   in Loop: Header=BB11_14 Depth=3
	s_or_b64 exec, exec, s[22:23]
	s_or_b64 exec, exec, s[90:91]
	s_and_b64 s[52:53], s[88:89], s[34:35]
	s_and_saveexec_b64 s[22:23], s[52:53]
	s_cbranch_execz .LBB11_13
.LBB11_63:                              ;   in Loop: Header=BB11_14 Depth=3
	v_cmp_ge_i32_e32 vcc, v20, v42
	s_and_saveexec_b64 s[52:53], vcc
	s_xor_b64 s[88:89], exec, s[52:53]
	s_cbranch_execnz .LBB11_69
; %bb.64:                               ;   in Loop: Header=BB11_14 Depth=3
	s_andn2_saveexec_b64 s[88:89], s[88:89]
	s_cbranch_execnz .LBB11_78
.LBB11_65:                              ;   in Loop: Header=BB11_14 Depth=3
	s_or_b64 exec, exec, s[88:89]
	v_cmp_eq_u32_e32 vcc, v8, v16
	s_and_saveexec_b64 s[52:53], vcc
	s_cbranch_execz .LBB11_67
.LBB11_66:                              ;   in Loop: Header=BB11_14 Depth=3
	v_mov_b32_e32 v6, s57
	v_add_co_u32_e32 v14, vcc, s56, v14
	v_addc_co_u32_e32 v15, vcc, v6, v15, vcc
	global_load_dword v6, v[14:15], off
	s_waitcnt vmcnt(0)
	v_add_f32_e32 v11, v11, v6
.LBB11_67:                              ;   in Loop: Header=BB11_14 Depth=3
	s_or_b64 exec, exec, s[52:53]
	v_sub_f32_e32 v6, v17, v11
	v_cmp_class_f32_e64 s[54:55], v6, s0
	s_and_saveexec_b64 s[52:53], s[54:55]
	s_cbranch_execz .LBB11_12
; %bb.68:                               ;   in Loop: Header=BB11_14 Depth=3
	v_cmp_lt_f32_e64 s[54:55], v2, |v6|
	v_cndmask_b32_e64 v2, v2, |v6|, s[54:55]
	s_branch .LBB11_12
.LBB11_69:                              ;   in Loop: Header=BB11_14 Depth=3
	v_cmp_lt_i32_e32 vcc, v6, v38
	s_and_saveexec_b64 s[90:91], vcc
	s_cbranch_execz .LBB11_77
; %bb.70:                               ;   in Loop: Header=BB11_14 Depth=3
	s_mov_b64 s[68:69], 0
                                        ; implicit-def: $sgpr72_sgpr73
                                        ; implicit-def: $sgpr54_sgpr55
                                        ; implicit-def: $sgpr52_sgpr53
	s_branch .LBB11_72
.LBB11_71:                              ;   in Loop: Header=BB11_72 Depth=4
	s_or_b64 exec, exec, s[70:71]
	s_and_b64 s[70:71], exec, s[54:55]
	s_or_b64 s[68:69], s[70:71], s[68:69]
	s_andn2_b64 s[70:71], s[72:73], exec
	s_and_b64 s[72:73], s[52:53], exec
	s_or_b64 s[72:73], s[70:71], s[72:73]
	s_andn2_b64 exec, exec, s[68:69]
	s_cbranch_execz .LBB11_74
.LBB11_72:                              ;   Parent Loop BB11_5 Depth=1
                                        ;     Parent Loop BB11_9 Depth=2
                                        ;       Parent Loop BB11_14 Depth=3
                                        ; =>      This Inner Loop Header: Depth=4
	v_add_u32_e32 v18, v12, v6
	v_ashrrev_i32_e32 v19, 31, v18
	v_lshlrev_b64 v[18:19], 2, v[18:19]
	v_mov_b32_e32 v21, s41
	v_add_co_u32_e32 v20, vcc, s40, v18
	v_addc_co_u32_e32 v21, vcc, v21, v19, vcc
	global_load_dword v20, v[20:21], off
	s_or_b64 s[52:53], s[52:53], exec
	s_or_b64 s[54:55], s[54:55], exec
	s_waitcnt vmcnt(0)
	v_subrev_u32_e32 v20, s78, v20
	v_cmp_ne_u32_e32 vcc, v20, v16
	s_and_saveexec_b64 s[70:71], vcc
	s_cbranch_execz .LBB11_71
; %bb.73:                               ;   in Loop: Header=BB11_72 Depth=4
	v_add_u32_e32 v6, 1, v6
	v_cmp_ge_i32_e32 vcc, v6, v38
	s_andn2_b64 s[54:55], s[54:55], exec
	s_and_b64 s[92:93], vcc, exec
	s_andn2_b64 s[52:53], s[52:53], exec
	s_or_b64 s[54:55], s[54:55], s[92:93]
	s_branch .LBB11_71
.LBB11_74:                              ;   in Loop: Header=BB11_14 Depth=3
	s_or_b64 exec, exec, s[68:69]
	s_and_saveexec_b64 s[52:53], s[72:73]
	s_xor_b64 s[52:53], exec, s[52:53]
	s_cbranch_execz .LBB11_76
; %bb.75:                               ;   in Loop: Header=BB11_14 Depth=3
	v_mov_b32_e32 v6, s43
	v_add_co_u32_e32 v18, vcc, s42, v18
	v_addc_co_u32_e32 v19, vcc, v6, v19, vcc
	global_load_dword v6, v[18:19], off
	v_mov_b32_e32 v19, s57
	v_add_co_u32_e32 v18, vcc, s56, v14
	v_addc_co_u32_e32 v19, vcc, v19, v15, vcc
	global_load_dword v18, v[18:19], off
	s_waitcnt vmcnt(0)
	v_fmac_f32_e32 v11, v6, v18
.LBB11_76:                              ;   in Loop: Header=BB11_14 Depth=3
	s_or_b64 exec, exec, s[52:53]
.LBB11_77:                              ;   in Loop: Header=BB11_14 Depth=3
	s_or_b64 exec, exec, s[90:91]
                                        ; implicit-def: $vgpr20
                                        ; implicit-def: $vgpr18
                                        ; implicit-def: $vgpr42
	s_andn2_saveexec_b64 s[88:89], s[88:89]
	s_cbranch_execz .LBB11_65
.LBB11_78:                              ;   in Loop: Header=BB11_14 Depth=3
	s_mov_b64 s[68:69], 0
                                        ; implicit-def: $sgpr72_sgpr73
                                        ; implicit-def: $sgpr54_sgpr55
                                        ; implicit-def: $sgpr52_sgpr53
	s_branch .LBB11_80
.LBB11_79:                              ;   in Loop: Header=BB11_80 Depth=4
	s_or_b64 exec, exec, s[70:71]
	s_and_b64 s[70:71], exec, s[54:55]
	s_or_b64 s[68:69], s[70:71], s[68:69]
	s_andn2_b64 s[70:71], s[72:73], exec
	s_and_b64 s[72:73], s[52:53], exec
	s_or_b64 s[72:73], s[70:71], s[72:73]
	s_andn2_b64 exec, exec, s[68:69]
	s_cbranch_execz .LBB11_82
.LBB11_80:                              ;   Parent Loop BB11_5 Depth=1
                                        ;     Parent Loop BB11_9 Depth=2
                                        ;       Parent Loop BB11_14 Depth=3
                                        ; =>      This Inner Loop Header: Depth=4
	v_add_u32_e32 v22, v18, v20
	v_ashrrev_i32_e32 v23, 31, v22
	v_lshlrev_b64 v[22:23], 2, v[22:23]
	v_mov_b32_e32 v6, s29
	v_add_co_u32_e32 v24, vcc, s28, v22
	v_addc_co_u32_e32 v25, vcc, v6, v23, vcc
	global_load_dword v6, v[24:25], off
	s_or_b64 s[52:53], s[52:53], exec
	s_or_b64 s[54:55], s[54:55], exec
	s_waitcnt vmcnt(0)
	v_subrev_u32_e32 v6, s79, v6
	v_cmp_ne_u32_e32 vcc, v6, v8
	s_and_saveexec_b64 s[70:71], vcc
	s_cbranch_execz .LBB11_79
; %bb.81:                               ;   in Loop: Header=BB11_80 Depth=4
	v_add_u32_e32 v20, 1, v20
	v_cmp_ge_i32_e32 vcc, v20, v42
	s_andn2_b64 s[54:55], s[54:55], exec
	s_and_b64 s[90:91], vcc, exec
	s_andn2_b64 s[52:53], s[52:53], exec
	s_or_b64 s[54:55], s[54:55], s[90:91]
	s_branch .LBB11_79
.LBB11_82:                              ;   in Loop: Header=BB11_14 Depth=3
	s_or_b64 exec, exec, s[68:69]
	s_and_saveexec_b64 s[52:53], s[72:73]
	s_xor_b64 s[52:53], exec, s[52:53]
	s_cbranch_execz .LBB11_84
; %bb.83:                               ;   in Loop: Header=BB11_14 Depth=3
	v_mov_b32_e32 v6, s31
	v_add_co_u32_e32 v18, vcc, s30, v22
	v_addc_co_u32_e32 v19, vcc, v6, v23, vcc
	global_load_dword v6, v[18:19], off
	s_waitcnt vmcnt(0)
	v_add_f32_e32 v11, v11, v6
.LBB11_84:                              ;   in Loop: Header=BB11_14 Depth=3
	s_or_b64 exec, exec, s[52:53]
	s_or_b64 exec, exec, s[88:89]
	v_cmp_eq_u32_e32 vcc, v8, v16
	s_and_saveexec_b64 s[52:53], vcc
	s_cbranch_execnz .LBB11_66
	s_branch .LBB11_67
.LBB11_85:                              ;   in Loop: Header=BB11_5 Depth=1
	s_and_b64 vcc, exec, s[60:61]
	s_cbranch_vccnz .LBB11_88
; %bb.86:                               ;   in Loop: Header=BB11_5 Depth=1
	s_andn2_b64 vcc, exec, s[34:35]
	s_cbranch_vccz .LBB11_103
.LBB11_87:                              ;   in Loop: Header=BB11_5 Depth=1
	s_and_saveexec_b64 s[22:23], s[4:5]
	s_cbranch_execnz .LBB11_118
	s_branch .LBB11_139
.LBB11_88:                              ;   in Loop: Header=BB11_5 Depth=1
	v_mov_b32_dpp v6, v4 row_shr:1 row_mask:0xf bank_mask:0xf
	v_cmp_lt_f32_e32 vcc, v4, v6
	v_cndmask_b32_e32 v4, v4, v6, vcc
	s_nop 1
	v_mov_b32_dpp v6, v4 row_shr:2 row_mask:0xf bank_mask:0xf
	v_cmp_lt_f32_e32 vcc, v4, v6
	v_cndmask_b32_e32 v4, v4, v6, vcc
	s_nop 1
	;; [unrolled: 4-line block ×3, first 2 shown]
	v_mov_b32_dpp v6, v4 row_shr:8 row_mask:0xf bank_mask:0xc
	s_and_saveexec_b64 s[20:21], s[2:3]
	s_cbranch_execz .LBB11_90
; %bb.89:                               ;   in Loop: Header=BB11_5 Depth=1
	v_cmp_lt_f32_e32 vcc, v4, v6
	v_cndmask_b32_e32 v4, v4, v6, vcc
	ds_write_b32 v30, v4
.LBB11_90:                              ;   in Loop: Header=BB11_5 Depth=1
	s_or_b64 exec, exec, s[20:21]
	s_waitcnt lgkmcnt(0)
	s_barrier
	s_and_saveexec_b64 s[20:21], s[6:7]
	s_cbranch_execz .LBB11_92
; %bb.91:                               ;   in Loop: Header=BB11_5 Depth=1
	ds_read2_b32 v[8:9], v1 offset1:32
	s_waitcnt lgkmcnt(0)
	v_cmp_lt_f32_e32 vcc, v8, v9
	v_cndmask_b32_e32 v4, v8, v9, vcc
	ds_write_b32 v1, v4
.LBB11_92:                              ;   in Loop: Header=BB11_5 Depth=1
	s_or_b64 exec, exec, s[20:21]
	s_waitcnt lgkmcnt(0)
	s_barrier
	s_and_saveexec_b64 s[20:21], s[8:9]
	s_cbranch_execz .LBB11_94
; %bb.93:                               ;   in Loop: Header=BB11_5 Depth=1
	ds_read2_b32 v[8:9], v1 offset1:16
	s_waitcnt lgkmcnt(0)
	v_cmp_lt_f32_e32 vcc, v8, v9
	v_cndmask_b32_e32 v4, v8, v9, vcc
	ds_write_b32 v1, v4
.LBB11_94:                              ;   in Loop: Header=BB11_5 Depth=1
	;; [unrolled: 12-line block ×4, first 2 shown]
	s_or_b64 exec, exec, s[20:21]
	s_waitcnt lgkmcnt(0)
	s_barrier
	s_and_saveexec_b64 s[20:21], s[14:15]
	s_cbranch_execz .LBB11_100
; %bb.99:                               ;   in Loop: Header=BB11_5 Depth=1
	ds_read2_b32 v[8:9], v1 offset1:2
	s_waitcnt lgkmcnt(0)
	v_cmp_lt_f32_e32 vcc, v8, v9
	v_cndmask_b32_e32 v4, v8, v9, vcc
	ds_write_b32 v1, v4
.LBB11_100:                             ;   in Loop: Header=BB11_5 Depth=1
	s_or_b64 exec, exec, s[20:21]
	s_waitcnt lgkmcnt(0)
	s_barrier
	s_and_saveexec_b64 s[20:21], s[16:17]
	s_cbranch_execz .LBB11_102
; %bb.101:                              ;   in Loop: Header=BB11_5 Depth=1
	ds_read_b64 v[8:9], v37
	s_waitcnt lgkmcnt(0)
	v_cmp_lt_f32_e32 vcc, v8, v9
	v_cndmask_b32_e32 v4, v8, v9, vcc
	ds_write_b32 v37, v4
.LBB11_102:                             ;   in Loop: Header=BB11_5 Depth=1
	s_or_b64 exec, exec, s[20:21]
	v_readlane_b32 s20, v48, 4
	v_readlane_b32 s21, v48, 5
	s_waitcnt lgkmcnt(0)
	s_barrier
	ds_read_b32 v4, v37
	s_load_dword s1, s[20:21], 0x0
	s_waitcnt lgkmcnt(0)
	v_div_scale_f32 v6, s[20:21], s1, s1, v4
	v_rcp_f32_e32 v8, v6
	v_div_scale_f32 v9, vcc, v4, s1, v4
	v_fma_f32 v10, -v6, v8, 1.0
	v_fmac_f32_e32 v8, v10, v8
	v_mul_f32_e32 v10, v9, v8
	v_fma_f32 v11, -v6, v10, v9
	v_fmac_f32_e32 v10, v11, v8
	v_fma_f32 v6, -v6, v10, v9
	v_div_fmas_f32 v6, v6, v8, v10
	v_div_fixup_f32 v4, v6, s1, v4
	s_andn2_b64 vcc, exec, s[34:35]
	s_cbranch_vccnz .LBB11_87
.LBB11_103:                             ;   in Loop: Header=BB11_5 Depth=1
	v_mov_b32_dpp v6, v2 row_shr:1 row_mask:0xf bank_mask:0xf
	v_cmp_lt_f32_e32 vcc, v2, v6
	v_cndmask_b32_e32 v2, v2, v6, vcc
	s_nop 1
	v_mov_b32_dpp v6, v2 row_shr:2 row_mask:0xf bank_mask:0xf
	v_cmp_lt_f32_e32 vcc, v2, v6
	v_cndmask_b32_e32 v2, v2, v6, vcc
	s_nop 1
	;; [unrolled: 4-line block ×3, first 2 shown]
	v_mov_b32_dpp v6, v2 row_shr:8 row_mask:0xf bank_mask:0xc
	s_and_saveexec_b64 s[20:21], s[2:3]
	s_cbranch_execz .LBB11_105
; %bb.104:                              ;   in Loop: Header=BB11_5 Depth=1
	v_cmp_lt_f32_e32 vcc, v2, v6
	v_cndmask_b32_e32 v2, v2, v6, vcc
	ds_write_b32 v30, v2
.LBB11_105:                             ;   in Loop: Header=BB11_5 Depth=1
	s_or_b64 exec, exec, s[20:21]
	s_waitcnt lgkmcnt(0)
	s_barrier
	s_and_saveexec_b64 s[20:21], s[6:7]
	s_cbranch_execz .LBB11_107
; %bb.106:                              ;   in Loop: Header=BB11_5 Depth=1
	ds_read2_b32 v[8:9], v1 offset1:32
	s_waitcnt lgkmcnt(0)
	v_cmp_lt_f32_e32 vcc, v8, v9
	v_cndmask_b32_e32 v2, v8, v9, vcc
	ds_write_b32 v1, v2
.LBB11_107:                             ;   in Loop: Header=BB11_5 Depth=1
	s_or_b64 exec, exec, s[20:21]
	s_waitcnt lgkmcnt(0)
	s_barrier
	s_and_saveexec_b64 s[20:21], s[8:9]
	s_cbranch_execz .LBB11_109
; %bb.108:                              ;   in Loop: Header=BB11_5 Depth=1
	ds_read2_b32 v[8:9], v1 offset1:16
	s_waitcnt lgkmcnt(0)
	v_cmp_lt_f32_e32 vcc, v8, v9
	v_cndmask_b32_e32 v2, v8, v9, vcc
	ds_write_b32 v1, v2
.LBB11_109:                             ;   in Loop: Header=BB11_5 Depth=1
	;; [unrolled: 12-line block ×5, first 2 shown]
	s_or_b64 exec, exec, s[20:21]
	s_waitcnt lgkmcnt(0)
	s_barrier
	s_and_saveexec_b64 s[20:21], s[16:17]
	s_cbranch_execz .LBB11_117
; %bb.116:                              ;   in Loop: Header=BB11_5 Depth=1
	ds_read_b64 v[8:9], v37
	s_waitcnt lgkmcnt(0)
	v_cmp_lt_f32_e32 vcc, v8, v9
	v_cndmask_b32_e32 v2, v8, v9, vcc
	ds_write_b32 v37, v2
.LBB11_117:                             ;   in Loop: Header=BB11_5 Depth=1
	s_or_b64 exec, exec, s[20:21]
	v_readlane_b32 s20, v48, 4
	v_readlane_b32 s21, v48, 5
	s_waitcnt lgkmcnt(0)
	s_barrier
	ds_read_b32 v2, v37
	s_load_dword s1, s[20:21], 0x0
	s_waitcnt lgkmcnt(0)
	v_div_scale_f32 v6, s[20:21], s1, s1, v2
	v_rcp_f32_e32 v8, v6
	v_div_scale_f32 v9, vcc, v2, s1, v2
	v_fma_f32 v10, -v6, v8, 1.0
	v_fmac_f32_e32 v8, v10, v8
	v_mul_f32_e32 v10, v9, v8
	v_fma_f32 v11, -v6, v10, v9
	v_fmac_f32_e32 v10, v11, v8
	v_fma_f32 v6, -v6, v10, v9
	v_div_fmas_f32 v6, v6, v8, v10
	v_div_fixup_f32 v2, v6, s1, v2
	s_and_saveexec_b64 s[22:23], s[4:5]
	s_cbranch_execz .LBB11_139
.LBB11_118:                             ;   in Loop: Header=BB11_5 Depth=1
	s_mov_b64 s[82:83], 0
	v_mov_b32_e32 v8, v28
	s_branch .LBB11_120
.LBB11_119:                             ;   in Loop: Header=BB11_120 Depth=2
	s_or_b64 exec, exec, s[84:85]
	v_add_u32_e32 v8, 64, v8
	v_cmp_le_u32_e32 vcc, s65, v8
	s_or_b64 s[82:83], vcc, s[82:83]
	s_andn2_b64 exec, exec, s[82:83]
	s_cbranch_execz .LBB11_139
.LBB11_120:                             ;   Parent Loop BB11_5 Depth=1
                                        ; =>  This Loop Header: Depth=2
                                        ;       Child Loop BB11_124 Depth 3
                                        ;       Child Loop BB11_128 Depth 3
	;; [unrolled: 1-line block ×4, first 2 shown]
	v_cmp_gt_i32_e32 vcc, s67, v8
	s_and_saveexec_b64 s[84:85], vcc
	s_cbranch_execz .LBB11_119
; %bb.121:                              ;   in Loop: Header=BB11_120 Depth=2
	v_ashrrev_i32_e32 v9, 31, v8
	v_lshlrev_b64 v[10:11], 2, v[8:9]
	v_mov_b32_e32 v6, s37
	v_add_co_u32_e32 v12, vcc, s36, v10
	v_addc_co_u32_e32 v13, vcc, v6, v11, vcc
	global_load_dword v9, v[12:13], off
	v_mov_b32_e32 v6, s39
	v_add_co_u32_e32 v12, vcc, s38, v10
	v_addc_co_u32_e32 v13, vcc, v6, v11, vcc
	global_load_dword v6, v[12:13], off
	s_waitcnt vmcnt(1)
	v_add_u32_e32 v12, v31, v9
	s_waitcnt vmcnt(0)
	v_subrev_u32_e32 v6, s78, v6
	v_cmp_lt_i32_e32 vcc, v12, v6
	s_and_saveexec_b64 s[86:87], vcc
	s_cbranch_execz .LBB11_129
; %bb.122:                              ;   in Loop: Header=BB11_120 Depth=2
	v_add_u32_e32 v13, v36, v9
	v_max_i32_e32 v13, v13, v6
	v_add_u32_e32 v13, v35, v13
	v_sub_u32_e32 v9, v13, v9
	v_cmp_lt_u32_e32 vcc, 15, v9
	s_mov_b64 s[20:21], -1
	s_and_saveexec_b64 s[88:89], vcc
	s_cbranch_execz .LBB11_126
; %bb.123:                              ;   in Loop: Header=BB11_120 Depth=2
	v_lshrrev_b32_e32 v9, 4, v9
	v_add_u32_e32 v9, 1, v9
	v_and_b32_e32 v16, 0x1ffffffe, v9
	v_add_u32_e32 v13, 16, v12
	s_mov_b64 s[52:53], 0
	v_mov_b32_e32 v17, v16
	v_pk_mov_b32 v[14:15], v[12:13], v[12:13] op_sel:[0,1]
.LBB11_124:                             ;   Parent Loop BB11_5 Depth=1
                                        ;     Parent Loop BB11_120 Depth=2
                                        ; =>    This Inner Loop Header: Depth=3
	v_ashrrev_i32_e32 v21, 31, v14
	v_mov_b32_e32 v20, v14
	v_lshlrev_b64 v[20:21], 2, v[20:21]
	v_ashrrev_i32_e32 v19, 31, v15
	v_mov_b32_e32 v18, v15
	v_mov_b32_e32 v13, s75
	v_add_co_u32_e32 v22, vcc, s74, v20
	v_lshlrev_b64 v[18:19], 2, v[18:19]
	v_addc_co_u32_e32 v23, vcc, v13, v21, vcc
	v_add_co_u32_e32 v24, vcc, s74, v18
	v_addc_co_u32_e32 v25, vcc, v13, v19, vcc
	global_load_dword v13, v[22:23], off
	s_nop 0
	global_load_dword v22, v[24:25], off
	v_mov_b32_e32 v23, s43
	v_add_u32_e32 v17, -2, v17
	v_add_co_u32_e64 v20, s[20:21], s42, v20
	v_cmp_eq_u32_e32 vcc, 0, v17
	v_addc_co_u32_e64 v21, s[20:21], v23, v21, s[20:21]
	v_add_u32_e32 v15, 32, v15
	v_add_u32_e32 v14, 32, v14
	v_add_co_u32_e64 v18, s[20:21], s42, v18
	s_or_b64 s[52:53], vcc, s[52:53]
	v_addc_co_u32_e64 v19, s[20:21], v23, v19, s[20:21]
	s_waitcnt vmcnt(1)
	global_store_dword v[20:21], v13, off
	s_waitcnt vmcnt(1)
	global_store_dword v[18:19], v22, off
	s_andn2_b64 exec, exec, s[52:53]
	s_cbranch_execnz .LBB11_124
; %bb.125:                              ;   in Loop: Header=BB11_120 Depth=2
	s_or_b64 exec, exec, s[52:53]
	v_cmp_ne_u32_e32 vcc, v9, v16
	v_lshl_add_u32 v12, v16, 4, v12
	s_orn2_b64 s[20:21], vcc, exec
.LBB11_126:                             ;   in Loop: Header=BB11_120 Depth=2
	s_or_b64 exec, exec, s[88:89]
	s_and_b64 exec, exec, s[20:21]
	s_cbranch_execz .LBB11_129
; %bb.127:                              ;   in Loop: Header=BB11_120 Depth=2
	v_ashrrev_i32_e32 v13, 31, v12
	v_lshlrev_b64 v[16:17], 2, v[12:13]
	v_mov_b32_e32 v9, s75
	v_add_co_u32_e32 v14, vcc, s74, v16
	v_addc_co_u32_e32 v15, vcc, v9, v17, vcc
	v_mov_b32_e32 v9, s43
	v_add_co_u32_e32 v16, vcc, s42, v16
	v_addc_co_u32_e32 v17, vcc, v9, v17, vcc
	s_mov_b64 s[20:21], 0
.LBB11_128:                             ;   Parent Loop BB11_5 Depth=1
                                        ;     Parent Loop BB11_120 Depth=2
                                        ; =>    This Inner Loop Header: Depth=3
	global_load_dword v9, v[14:15], off
	v_add_co_u32_e32 v14, vcc, 64, v14
	v_add_u32_e32 v12, 16, v12
	v_addc_co_u32_e32 v15, vcc, 0, v15, vcc
	v_cmp_ge_i32_e32 vcc, v12, v6
	s_or_b64 s[20:21], vcc, s[20:21]
	s_waitcnt vmcnt(0)
	global_store_dword v[16:17], v9, off
	v_add_co_u32_e32 v16, vcc, 64, v16
	v_addc_co_u32_e32 v17, vcc, 0, v17, vcc
	s_andn2_b64 exec, exec, s[20:21]
	s_cbranch_execnz .LBB11_128
.LBB11_129:                             ;   in Loop: Header=BB11_120 Depth=2
	s_or_b64 exec, exec, s[86:87]
	v_mov_b32_e32 v6, s25
	v_add_co_u32_e32 v12, vcc, s24, v10
	v_addc_co_u32_e32 v13, vcc, v6, v11, vcc
	global_load_dword v9, v[12:13], off
	v_mov_b32_e32 v6, s27
	v_add_co_u32_e32 v12, vcc, s26, v10
	v_addc_co_u32_e32 v13, vcc, v6, v11, vcc
	global_load_dword v6, v[12:13], off
	s_waitcnt vmcnt(1)
	v_add_u32_e32 v12, v32, v9
	s_waitcnt vmcnt(0)
	v_subrev_u32_e32 v6, s79, v6
	v_cmp_lt_i32_e32 vcc, v12, v6
	s_and_saveexec_b64 s[86:87], vcc
	s_cbranch_execz .LBB11_137
; %bb.130:                              ;   in Loop: Header=BB11_120 Depth=2
	v_add_u32_e32 v13, v34, v9
	v_max_i32_e32 v13, v13, v6
	v_add_u32_e32 v13, v33, v13
	v_sub_u32_e32 v9, v13, v9
	v_cmp_lt_u32_e32 vcc, 15, v9
	s_mov_b64 s[20:21], -1
	s_and_saveexec_b64 s[88:89], vcc
	s_cbranch_execz .LBB11_134
; %bb.131:                              ;   in Loop: Header=BB11_120 Depth=2
	v_lshrrev_b32_e32 v9, 4, v9
	v_add_u32_e32 v9, 1, v9
	v_and_b32_e32 v16, 0x1ffffffe, v9
	v_add_u32_e32 v13, 16, v12
	s_mov_b64 s[52:53], 0
	v_mov_b32_e32 v17, v16
	v_pk_mov_b32 v[14:15], v[12:13], v[12:13] op_sel:[0,1]
.LBB11_132:                             ;   Parent Loop BB11_5 Depth=1
                                        ;     Parent Loop BB11_120 Depth=2
                                        ; =>    This Inner Loop Header: Depth=3
	v_ashrrev_i32_e32 v21, 31, v14
	v_mov_b32_e32 v20, v14
	v_lshlrev_b64 v[20:21], 2, v[20:21]
	v_ashrrev_i32_e32 v19, 31, v15
	v_mov_b32_e32 v18, v15
	v_mov_b32_e32 v13, s77
	v_add_co_u32_e32 v22, vcc, s76, v20
	v_lshlrev_b64 v[18:19], 2, v[18:19]
	v_addc_co_u32_e32 v23, vcc, v13, v21, vcc
	v_add_co_u32_e32 v24, vcc, s76, v18
	v_addc_co_u32_e32 v25, vcc, v13, v19, vcc
	global_load_dword v13, v[22:23], off
	s_nop 0
	global_load_dword v22, v[24:25], off
	v_mov_b32_e32 v23, s31
	v_add_u32_e32 v17, -2, v17
	v_add_co_u32_e64 v20, s[20:21], s30, v20
	v_cmp_eq_u32_e32 vcc, 0, v17
	v_addc_co_u32_e64 v21, s[20:21], v23, v21, s[20:21]
	v_add_u32_e32 v15, 32, v15
	v_add_u32_e32 v14, 32, v14
	v_add_co_u32_e64 v18, s[20:21], s30, v18
	s_or_b64 s[52:53], vcc, s[52:53]
	v_addc_co_u32_e64 v19, s[20:21], v23, v19, s[20:21]
	s_waitcnt vmcnt(1)
	global_store_dword v[20:21], v13, off
	s_waitcnt vmcnt(1)
	global_store_dword v[18:19], v22, off
	s_andn2_b64 exec, exec, s[52:53]
	s_cbranch_execnz .LBB11_132
; %bb.133:                              ;   in Loop: Header=BB11_120 Depth=2
	s_or_b64 exec, exec, s[52:53]
	v_cmp_ne_u32_e32 vcc, v9, v16
	v_lshl_add_u32 v12, v16, 4, v12
	s_orn2_b64 s[20:21], vcc, exec
.LBB11_134:                             ;   in Loop: Header=BB11_120 Depth=2
	s_or_b64 exec, exec, s[88:89]
	s_and_b64 exec, exec, s[20:21]
	s_cbranch_execz .LBB11_137
; %bb.135:                              ;   in Loop: Header=BB11_120 Depth=2
	v_ashrrev_i32_e32 v13, 31, v12
	v_lshlrev_b64 v[16:17], 2, v[12:13]
	v_mov_b32_e32 v9, s77
	v_add_co_u32_e32 v14, vcc, s76, v16
	v_addc_co_u32_e32 v15, vcc, v9, v17, vcc
	v_mov_b32_e32 v9, s31
	v_add_co_u32_e32 v16, vcc, s30, v16
	v_addc_co_u32_e32 v17, vcc, v9, v17, vcc
	s_mov_b64 s[20:21], 0
.LBB11_136:                             ;   Parent Loop BB11_5 Depth=1
                                        ;     Parent Loop BB11_120 Depth=2
                                        ; =>    This Inner Loop Header: Depth=3
	global_load_dword v9, v[14:15], off
	v_add_co_u32_e32 v14, vcc, 64, v14
	v_add_u32_e32 v12, 16, v12
	v_addc_co_u32_e32 v15, vcc, 0, v15, vcc
	v_cmp_ge_i32_e32 vcc, v12, v6
	s_or_b64 s[20:21], vcc, s[20:21]
	s_waitcnt vmcnt(0)
	global_store_dword v[16:17], v9, off
	v_add_co_u32_e32 v16, vcc, 64, v16
	v_addc_co_u32_e32 v17, vcc, 0, v17, vcc
	s_andn2_b64 exec, exec, s[20:21]
	s_cbranch_execnz .LBB11_136
.LBB11_137:                             ;   in Loop: Header=BB11_120 Depth=2
	s_or_b64 exec, exec, s[86:87]
	s_and_b64 exec, exec, s[18:19]
	s_cbranch_execz .LBB11_119
; %bb.138:                              ;   in Loop: Header=BB11_120 Depth=2
	v_mov_b32_e32 v6, s59
	v_add_co_u32_e32 v12, vcc, s58, v10
	v_addc_co_u32_e32 v13, vcc, v6, v11, vcc
	global_load_dword v6, v[12:13], off
	v_mov_b32_e32 v9, s57
	v_add_co_u32_e32 v10, vcc, s56, v10
	v_addc_co_u32_e32 v11, vcc, v9, v11, vcc
	s_waitcnt vmcnt(0)
	global_store_dword v[10:11], v6, off
	s_branch .LBB11_119
.LBB11_139:                             ;   in Loop: Header=BB11_5 Depth=1
	s_or_b64 exec, exec, s[22:23]
	s_mov_b64 s[22:23], -1
	s_mov_b64 s[20:21], -1
	s_and_b64 vcc, exec, s[62:63]
	s_cbranch_vccz .LBB11_149
; %bb.140:                              ;   in Loop: Header=BB11_5 Depth=1
	v_readlane_b32 s52, v48, 10
	v_readlane_b32 s53, v48, 11
	s_and_b64 vcc, exec, s[52:53]
                                        ; implicit-def: $sgpr52_sgpr53
	s_cbranch_vccz .LBB11_146
; %bb.141:                              ;   in Loop: Header=BB11_5 Depth=1
	v_readlane_b32 s52, v48, 6
	v_readlane_b32 s53, v48, 7
	s_and_b64 vcc, exec, s[52:53]
                                        ; implicit-def: $sgpr52_sgpr53
	s_cbranch_vccz .LBB11_143
; %bb.142:                              ;   in Loop: Header=BB11_5 Depth=1
	v_cmp_ge_f32_e32 vcc, s66, v2
	s_mov_b64 s[20:21], 0
	s_and_b64 s[52:53], vcc, exec
.LBB11_143:                             ;   in Loop: Header=BB11_5 Depth=1
	s_andn2_b64 vcc, exec, s[20:21]
	s_cbranch_vccnz .LBB11_145
; %bb.144:                              ;   in Loop: Header=BB11_5 Depth=1
	v_cmp_ge_f32_e32 vcc, s66, v4
	s_andn2_b64 s[20:21], s[52:53], exec
	s_and_b64 s[52:53], vcc, exec
	s_or_b64 s[52:53], s[20:21], s[52:53]
.LBB11_145:                             ;   in Loop: Header=BB11_5 Depth=1
	s_mov_b64 s[20:21], 0
.LBB11_146:                             ;   in Loop: Header=BB11_5 Depth=1
	s_andn2_b64 vcc, exec, s[20:21]
	s_cbranch_vccnz .LBB11_148
; %bb.147:                              ;   in Loop: Header=BB11_5 Depth=1
	v_cmp_ge_f32_e32 vcc, s66, v4
	v_cmp_ge_f32_e64 s[20:21], s66, v2
	s_and_b64 s[20:21], vcc, s[20:21]
	s_andn2_b64 s[52:53], s[52:53], exec
	s_and_b64 s[20:21], s[20:21], exec
	s_or_b64 s[52:53], s[52:53], s[20:21]
.LBB11_148:                             ;   in Loop: Header=BB11_5 Depth=1
	s_xor_b64 s[20:21], s[52:53], -1
.LBB11_149:                             ;   in Loop: Header=BB11_5 Depth=1
	v_mov_b32_e32 v6, s33
	s_and_saveexec_b64 s[52:53], s[20:21]
	s_cbranch_execz .LBB11_4
; %bb.150:                              ;   in Loop: Header=BB11_5 Depth=1
	v_readlane_b32 s20, v48, 0
	s_add_i32 s33, s33, 1
	v_readlane_b32 s21, v48, 1
	s_cmp_eq_u32 s33, s21
	s_mov_b32 s1, s21
	s_cselect_b64 s[20:21], -1, 0
	v_mov_b32_e32 v6, s1
	s_orn2_b64 s[22:23], s[20:21], exec
	s_branch .LBB11_4
.LBB11_151:
	s_or_b64 exec, exec, s[80:81]
	v_readlane_b32 s4, v48, 8
	v_readlane_b32 s5, v48, 9
	s_load_dwordx4 s[20:23], s[4:5], 0xb8
	v_readlane_b32 s2, v48, 2
	v_readlane_b32 s3, v48, 3
	s_or_b64 exec, exec, s[2:3]
	s_andn2_b64 vcc, exec, s[62:63]
	s_cbranch_vccnz .LBB11_2
.LBB11_152:
	v_mov_b32_dpp v7, v6 row_shr:1 row_mask:0xf bank_mask:0xf
	v_max_i32_e32 v6, v6, v7
	v_cmp_eq_u32_e32 vcc, 15, v5
	s_nop 0
	v_mov_b32_dpp v7, v6 row_shr:2 row_mask:0xf bank_mask:0xf
	v_max_i32_e32 v6, v6, v7
	s_nop 1
	v_mov_b32_dpp v7, v6 row_shr:4 row_mask:0xf bank_mask:0xe
	v_max_i32_e32 v6, v6, v7
	s_nop 1
	v_mov_b32_dpp v7, v6 row_shr:8 row_mask:0xf bank_mask:0xc
	s_and_saveexec_b64 s[0:1], vcc
	s_cbranch_execz .LBB11_154
; %bb.153:
	v_lshlrev_b32_e32 v3, 2, v3
	v_max_i32_e32 v5, v6, v7
	ds_write_b32 v3, v5 offset:256
.LBB11_154:
	s_or_b64 exec, exec, s[0:1]
	v_cmp_gt_u32_e32 vcc, 32, v0
	s_waitcnt lgkmcnt(0)
	s_barrier
	s_and_saveexec_b64 s[0:1], vcc
	s_cbranch_execz .LBB11_156
; %bb.155:
	ds_read2_b32 v[6:7], v1 offset0:64 offset1:96
	s_waitcnt lgkmcnt(0)
	v_max_i32_e32 v3, v6, v7
	ds_write_b32 v1, v3 offset:256
.LBB11_156:
	s_or_b64 exec, exec, s[0:1]
	v_cmp_gt_u32_e32 vcc, 16, v0
	s_waitcnt lgkmcnt(0)
	s_barrier
	s_and_saveexec_b64 s[0:1], vcc
	s_cbranch_execz .LBB11_158
; %bb.157:
	ds_read2_b32 v[6:7], v1 offset0:64 offset1:80
	s_waitcnt lgkmcnt(0)
	v_max_i32_e32 v3, v6, v7
	ds_write_b32 v1, v3 offset:256
.LBB11_158:
	;; [unrolled: 12-line block ×5, first 2 shown]
	s_or_b64 exec, exec, s[0:1]
	v_cmp_eq_u32_e32 vcc, 0, v0
	s_waitcnt lgkmcnt(0)
	s_barrier
	s_and_saveexec_b64 s[0:1], vcc
	s_cbranch_execz .LBB11_166
; %bb.165:
	v_mov_b32_e32 v1, 0
	ds_read_b64 v[6:7], v1 offset:256
	s_waitcnt lgkmcnt(0)
	v_max_i32_e32 v3, v6, v7
	ds_write_b32 v1, v3 offset:256
.LBB11_166:
	s_or_b64 exec, exec, s[0:1]
	s_waitcnt lgkmcnt(0)
	s_barrier
	s_and_saveexec_b64 s[0:1], vcc
	s_cbranch_execz .LBB11_169
; %bb.167:
	v_mbcnt_lo_u32_b32 v1, exec_lo, 0
	v_mbcnt_hi_u32_b32 v1, exec_hi, v1
	v_cmp_eq_u32_e32 vcc, 0, v1
	s_and_b64 exec, exec, vcc
	s_cbranch_execz .LBB11_169
; %bb.168:
	v_mov_b32_e32 v1, 0
	ds_read_b32 v3, v1 offset:256
	s_load_dwordx2 s[2:3], s[4:5], 0x8
	s_waitcnt lgkmcnt(0)
	v_add_u32_e32 v3, 1, v3
	global_atomic_smax v1, v3, s[2:3]
.LBB11_169:
	s_or_b64 exec, exec, s[0:1]
	v_cmp_eq_u32_e32 vcc, 0, v0
	s_and_b64 s[0:1], vcc, s[60:61]
	s_and_saveexec_b64 s[4:5], s[0:1]
	s_cbranch_execz .LBB11_174
.LBB11_170:
	v_mov_b32_e32 v0, 0
	s_waitcnt lgkmcnt(0)
	global_load_dword v5, v0, s[20:21] glc
	s_brev_b32 s2, 1
	v_cmp_eq_f32_e64 s[0:1], 0, v4
	s_mov_b64 s[6:7], 0
                                        ; implicit-def: $sgpr8_sgpr9
                                        ; implicit-def: $sgpr12_sgpr13
	s_waitcnt vmcnt(0)
	v_cmp_eq_u32_e64 s[10:11], s2, v5
	s_branch .LBB11_172
.LBB11_171:                             ;   in Loop: Header=BB11_172 Depth=1
	s_or_b64 exec, exec, s[14:15]
	s_and_b64 s[2:3], exec, s[8:9]
	s_or_b64 s[6:7], s[2:3], s[6:7]
	s_andn2_b64 s[2:3], s[10:11], exec
	s_and_b64 s[10:11], s[12:13], exec
	s_or_b64 s[10:11], s[2:3], s[10:11]
	s_andn2_b64 exec, exec, s[6:7]
	s_cbranch_execz .LBB11_174
.LBB11_172:                             ; =>This Inner Loop Header: Depth=1
	v_cmp_lt_f32_e64 s[2:3], v5, v4
	s_and_b64 s[14:15], s[0:1], s[10:11]
	s_or_b64 s[2:3], s[2:3], s[14:15]
	s_andn2_b64 s[12:13], s[12:13], exec
	s_or_b64 s[8:9], s[8:9], exec
	s_and_saveexec_b64 s[14:15], s[2:3]
	s_cbranch_execz .LBB11_171
; %bb.173:                              ;   in Loop: Header=BB11_172 Depth=1
	global_atomic_cmpswap v1, v0, v[4:5], s[20:21] glc
	s_andn2_b64 s[12:13], s[12:13], exec
	s_andn2_b64 s[8:9], s[8:9], exec
                                        ; implicit-def: $sgpr10_sgpr11
	s_waitcnt vmcnt(0)
	v_cmp_eq_u32_e64 s[2:3], v1, v5
	v_cndmask_b32_e64 v3, v1, v5, s[2:3]
	v_cmp_class_f32_e64 s[16:17], v3, 32
	s_and_b64 s[2:3], s[2:3], exec
	s_and_b64 s[16:17], s[16:17], exec
	s_or_b64 s[8:9], s[8:9], s[2:3]
	s_or_b64 s[12:13], s[12:13], s[16:17]
	v_mov_b32_e32 v5, v1
	s_branch .LBB11_171
.LBB11_174:
	s_or_b64 exec, exec, s[4:5]
	s_and_b64 s[0:1], vcc, s[34:35]
	s_and_saveexec_b64 s[2:3], s[0:1]
	s_cbranch_execz .LBB11_179
; %bb.175:
	v_mov_b32_e32 v0, 0
	s_waitcnt lgkmcnt(0)
	global_load_dword v3, v0, s[22:23] glc
	s_brev_b32 s0, 1
	v_cmp_eq_f32_e32 vcc, 0, v2
	s_mov_b64 s[2:3], 0
                                        ; implicit-def: $sgpr4_sgpr5
                                        ; implicit-def: $sgpr8_sgpr9
	s_waitcnt vmcnt(0)
	v_cmp_eq_u32_e64 s[6:7], s0, v3
	s_branch .LBB11_177
.LBB11_176:                             ;   in Loop: Header=BB11_177 Depth=1
	s_or_b64 exec, exec, s[10:11]
	s_and_b64 s[0:1], exec, s[4:5]
	s_or_b64 s[2:3], s[0:1], s[2:3]
	s_andn2_b64 s[0:1], s[6:7], exec
	s_and_b64 s[6:7], s[8:9], exec
	s_or_b64 s[6:7], s[0:1], s[6:7]
	s_andn2_b64 exec, exec, s[2:3]
	s_cbranch_execz .LBB11_179
.LBB11_177:                             ; =>This Inner Loop Header: Depth=1
	v_cmp_lt_f32_e64 s[0:1], v3, v2
	s_and_b64 s[10:11], vcc, s[6:7]
	s_or_b64 s[0:1], s[0:1], s[10:11]
	s_andn2_b64 s[8:9], s[8:9], exec
	s_or_b64 s[4:5], s[4:5], exec
	s_and_saveexec_b64 s[10:11], s[0:1]
	s_cbranch_execz .LBB11_176
; %bb.178:                              ;   in Loop: Header=BB11_177 Depth=1
	global_atomic_cmpswap v1, v0, v[2:3], s[22:23] glc
	s_andn2_b64 s[8:9], s[8:9], exec
	s_andn2_b64 s[4:5], s[4:5], exec
                                        ; implicit-def: $sgpr6_sgpr7
	s_waitcnt vmcnt(0)
	v_cmp_eq_u32_e64 s[0:1], v1, v3
	v_cndmask_b32_e64 v3, v1, v3, s[0:1]
	v_cmp_class_f32_e64 s[12:13], v3, 32
	s_and_b64 s[0:1], s[0:1], exec
	s_and_b64 s[12:13], s[12:13], exec
	s_or_b64 s[4:5], s[4:5], s[0:1]
	s_or_b64 s[8:9], s[8:9], s[12:13]
	v_mov_b32_e32 v3, v1
	s_branch .LBB11_176
.LBB11_179:
	s_endpgm
	.section	.rodata,"a",@progbits
	.p2align	6, 0x0
	.amdhsa_kernel _ZN9rocsparseL6kernelILi1024ELi16EfiiEEvbbbT3_PS1_NS_15floating_traitsIT1_E6data_tES1_T2_PKS7_S9_PKS1_PKS4_21rocsparse_index_base_S9_S9_SB_PS4_SF_SE_S9_S9_SB_SF_SF_SE_SF_SF_PS6_SG_PKS6_
		.amdhsa_group_segment_fixed_size 512
		.amdhsa_private_segment_fixed_size 0
		.amdhsa_kernarg_size 208
		.amdhsa_user_sgpr_count 6
		.amdhsa_user_sgpr_private_segment_buffer 1
		.amdhsa_user_sgpr_dispatch_ptr 0
		.amdhsa_user_sgpr_queue_ptr 0
		.amdhsa_user_sgpr_kernarg_segment_ptr 1
		.amdhsa_user_sgpr_dispatch_id 0
		.amdhsa_user_sgpr_flat_scratch_init 0
		.amdhsa_user_sgpr_kernarg_preload_length 0
		.amdhsa_user_sgpr_kernarg_preload_offset 0
		.amdhsa_user_sgpr_private_segment_size 0
		.amdhsa_uses_dynamic_stack 0
		.amdhsa_system_sgpr_private_segment_wavefront_offset 0
		.amdhsa_system_sgpr_workgroup_id_x 1
		.amdhsa_system_sgpr_workgroup_id_y 0
		.amdhsa_system_sgpr_workgroup_id_z 0
		.amdhsa_system_sgpr_workgroup_info 0
		.amdhsa_system_vgpr_workitem_id 0
		.amdhsa_next_free_vgpr 49
		.amdhsa_next_free_sgpr 96
		.amdhsa_accum_offset 52
		.amdhsa_reserve_vcc 1
		.amdhsa_reserve_flat_scratch 0
		.amdhsa_float_round_mode_32 0
		.amdhsa_float_round_mode_16_64 0
		.amdhsa_float_denorm_mode_32 3
		.amdhsa_float_denorm_mode_16_64 3
		.amdhsa_dx10_clamp 1
		.amdhsa_ieee_mode 1
		.amdhsa_fp16_overflow 0
		.amdhsa_tg_split 0
		.amdhsa_exception_fp_ieee_invalid_op 0
		.amdhsa_exception_fp_denorm_src 0
		.amdhsa_exception_fp_ieee_div_zero 0
		.amdhsa_exception_fp_ieee_overflow 0
		.amdhsa_exception_fp_ieee_underflow 0
		.amdhsa_exception_fp_ieee_inexact 0
		.amdhsa_exception_int_div_zero 0
	.end_amdhsa_kernel
	.section	.text._ZN9rocsparseL6kernelILi1024ELi16EfiiEEvbbbT3_PS1_NS_15floating_traitsIT1_E6data_tES1_T2_PKS7_S9_PKS1_PKS4_21rocsparse_index_base_S9_S9_SB_PS4_SF_SE_S9_S9_SB_SF_SF_SE_SF_SF_PS6_SG_PKS6_,"axG",@progbits,_ZN9rocsparseL6kernelILi1024ELi16EfiiEEvbbbT3_PS1_NS_15floating_traitsIT1_E6data_tES1_T2_PKS7_S9_PKS1_PKS4_21rocsparse_index_base_S9_S9_SB_PS4_SF_SE_S9_S9_SB_SF_SF_SE_SF_SF_PS6_SG_PKS6_,comdat
.Lfunc_end11:
	.size	_ZN9rocsparseL6kernelILi1024ELi16EfiiEEvbbbT3_PS1_NS_15floating_traitsIT1_E6data_tES1_T2_PKS7_S9_PKS1_PKS4_21rocsparse_index_base_S9_S9_SB_PS4_SF_SE_S9_S9_SB_SF_SF_SE_SF_SF_PS6_SG_PKS6_, .Lfunc_end11-_ZN9rocsparseL6kernelILi1024ELi16EfiiEEvbbbT3_PS1_NS_15floating_traitsIT1_E6data_tES1_T2_PKS7_S9_PKS1_PKS4_21rocsparse_index_base_S9_S9_SB_PS4_SF_SE_S9_S9_SB_SF_SF_SE_SF_SF_PS6_SG_PKS6_
                                        ; -- End function
	.section	.AMDGPU.csdata,"",@progbits
; Kernel info:
; codeLenInByte = 5776
; NumSgprs: 100
; NumVgprs: 49
; NumAgprs: 0
; TotalNumVgprs: 49
; ScratchSize: 0
; MemoryBound: 0
; FloatMode: 240
; IeeeMode: 1
; LDSByteSize: 512 bytes/workgroup (compile time only)
; SGPRBlocks: 12
; VGPRBlocks: 6
; NumSGPRsForWavesPerEU: 100
; NumVGPRsForWavesPerEU: 49
; AccumOffset: 52
; Occupancy: 8
; WaveLimiterHint : 1
; COMPUTE_PGM_RSRC2:SCRATCH_EN: 0
; COMPUTE_PGM_RSRC2:USER_SGPR: 6
; COMPUTE_PGM_RSRC2:TRAP_HANDLER: 0
; COMPUTE_PGM_RSRC2:TGID_X_EN: 1
; COMPUTE_PGM_RSRC2:TGID_Y_EN: 0
; COMPUTE_PGM_RSRC2:TGID_Z_EN: 0
; COMPUTE_PGM_RSRC2:TIDIG_COMP_CNT: 0
; COMPUTE_PGM_RSRC3_GFX90A:ACCUM_OFFSET: 12
; COMPUTE_PGM_RSRC3_GFX90A:TG_SPLIT: 0
	.section	.text._ZN9rocsparseL6kernelILi1024ELi32EfiiEEvbbbT3_PS1_NS_15floating_traitsIT1_E6data_tES1_T2_PKS7_S9_PKS1_PKS4_21rocsparse_index_base_S9_S9_SB_PS4_SF_SE_S9_S9_SB_SF_SF_SE_SF_SF_PS6_SG_PKS6_,"axG",@progbits,_ZN9rocsparseL6kernelILi1024ELi32EfiiEEvbbbT3_PS1_NS_15floating_traitsIT1_E6data_tES1_T2_PKS7_S9_PKS1_PKS4_21rocsparse_index_base_S9_S9_SB_PS4_SF_SE_S9_S9_SB_SF_SF_SE_SF_SF_PS6_SG_PKS6_,comdat
	.globl	_ZN9rocsparseL6kernelILi1024ELi32EfiiEEvbbbT3_PS1_NS_15floating_traitsIT1_E6data_tES1_T2_PKS7_S9_PKS1_PKS4_21rocsparse_index_base_S9_S9_SB_PS4_SF_SE_S9_S9_SB_SF_SF_SE_SF_SF_PS6_SG_PKS6_ ; -- Begin function _ZN9rocsparseL6kernelILi1024ELi32EfiiEEvbbbT3_PS1_NS_15floating_traitsIT1_E6data_tES1_T2_PKS7_S9_PKS1_PKS4_21rocsparse_index_base_S9_S9_SB_PS4_SF_SE_S9_S9_SB_SF_SF_SE_SF_SF_PS6_SG_PKS6_
	.p2align	8
	.type	_ZN9rocsparseL6kernelILi1024ELi32EfiiEEvbbbT3_PS1_NS_15floating_traitsIT1_E6data_tES1_T2_PKS7_S9_PKS1_PKS4_21rocsparse_index_base_S9_S9_SB_PS4_SF_SE_S9_S9_SB_SF_SF_SE_SF_SF_PS6_SG_PKS6_,@function
_ZN9rocsparseL6kernelILi1024ELi32EfiiEEvbbbT3_PS1_NS_15floating_traitsIT1_E6data_tES1_T2_PKS7_S9_PKS1_PKS4_21rocsparse_index_base_S9_S9_SB_PS4_SF_SE_S9_S9_SB_SF_SF_SE_SF_SF_PS6_SG_PKS6_: ; @_ZN9rocsparseL6kernelILi1024ELi32EfiiEEvbbbT3_PS1_NS_15floating_traitsIT1_E6data_tES1_T2_PKS7_S9_PKS1_PKS4_21rocsparse_index_base_S9_S9_SB_PS4_SF_SE_S9_S9_SB_SF_SF_SE_SF_SF_PS6_SG_PKS6_
; %bb.0:
	s_load_dword s0, s[4:5], 0x0
	s_load_dwordx2 s[2:3], s[4:5], 0x0
	s_load_dwordx2 s[64:65], s[4:5], 0x10
	s_load_dwordx4 s[24:27], s[4:5], 0xb8
	v_lshrrev_b32_e32 v3, 5, v0
	s_waitcnt lgkmcnt(0)
	s_bitcmp1_b32 s0, 0
	s_cselect_b64 s[60:61], -1, 0
	s_bitcmp1_b32 s0, 8
	s_cselect_b64 s[34:35], -1, 0
	s_bitcmp1_b32 s2, 16
	s_cselect_b64 s[22:23], -1, 0
	s_lshl_b32 s76, s6, 10
	v_or_b32_e32 v28, s76, v3
	s_cmp_gt_i32 s3, 0
	v_cmp_gt_i32_e32 vcc, s65, v28
	s_cselect_b64 s[0:1], -1, 0
	v_and_b32_e32 v5, 31, v0
	v_lshlrev_b32_e32 v1, 2, v0
	v_mov_b32_e32 v2, 0
	s_and_b64 s[0:1], s[0:1], vcc
	s_mov_b32 s33, 0
	v_mov_b32_e32 v4, 0
	v_mov_b32_e32 v6, 0
	ds_write_b32 v1, v2
	s_waitcnt lgkmcnt(0)
	s_barrier
	s_and_saveexec_b64 s[2:3], s[0:1]
	s_cbranch_execnz .LBB12_3
; %bb.1:
	s_or_b64 exec, exec, s[2:3]
	s_andn2_b64 vcc, exec, s[60:61]
	s_cbranch_vccz .LBB12_148
.LBB12_2:
	v_cmp_eq_u32_e32 vcc, 0, v0
	s_and_b64 s[0:1], vcc, s[34:35]
	s_and_saveexec_b64 s[4:5], s[0:1]
	s_cbranch_execnz .LBB12_164
	s_branch .LBB12_168
.LBB12_3:
	s_load_dwordx4 s[56:59], s[4:5], 0xa8
	s_load_dwordx8 s[24:31], s[4:5], 0x78
	s_load_dwordx8 s[36:43], s[4:5], 0x48
	;; [unrolled: 1-line block ×3, first 2 shown]
                                        ; implicit-def: $vgpr48 : SGPR spill to VGPR lane
	s_load_dword s62, s[4:5], 0x40
	s_load_dwordx2 s[72:73], s[4:5], 0x68
	s_load_dword s68, s[4:5], 0x70
	s_load_dwordx2 s[74:75], s[4:5], 0x98
	s_load_dword s69, s[4:5], 0xa0
	v_writelane_b32 v48, s2, 0
	v_writelane_b32 v48, s3, 1
	s_xor_b64 s[0:1], s[34:35], -1
	v_writelane_b32 v48, s0, 2
	s_and_b64 s[18:19], s[34:35], s[22:23]
	v_writelane_b32 v48, s1, 3
	s_addk_i32 s76, 0x400
	s_xor_b64 s[18:19], s[18:19], -1
	v_not_b32_e32 v2, v5
	v_or_b32_e32 v4, 32, v5
	s_waitcnt lgkmcnt(0)
	v_subrev_u32_e32 v29, s62, v5
	v_cmp_gt_u32_e64 s[0:1], s76, v28
	v_cmp_eq_u32_e64 s[2:3], 31, v5
	v_lshlrev_b32_e32 v30, 2, v3
	v_cmp_gt_u32_e64 s[6:7], 16, v0
	v_cmp_gt_u32_e64 s[8:9], 8, v0
	;; [unrolled: 1-line block ×4, first 2 shown]
	v_cmp_eq_u32_e64 s[14:15], 0, v0
	v_subrev_u32_e32 v31, s68, v5
	v_subrev_u32_e32 v32, s69, v5
	v_cmp_eq_u32_e64 s[16:17], 0, v5
	v_writelane_b32 v48, s18, 4
	v_add_u32_e32 v33, s69, v2
	v_subrev_u32_e32 v34, s69, v4
	v_add_u32_e32 v35, s68, v2
	v_subrev_u32_e32 v36, s68, v4
	s_mov_b64 s[78:79], 0
	v_mov_b32_e32 v7, 0
	s_movk_i32 s77, 0x1f8
	v_mov_b32_e32 v37, 0
	v_mov_b32_e32 v4, 0
	;; [unrolled: 1-line block ×3, first 2 shown]
	v_writelane_b32 v48, s19, 5
	s_branch .LBB12_5
.LBB12_4:                               ;   in Loop: Header=BB12_5 Depth=1
	s_or_b64 exec, exec, s[52:53]
	s_and_b64 s[18:19], exec, s[20:21]
	s_or_b64 s[78:79], s[18:19], s[78:79]
	s_andn2_b64 exec, exec, s[78:79]
	s_cbranch_execz .LBB12_147
.LBB12_5:                               ; =>This Loop Header: Depth=1
                                        ;     Child Loop BB12_9 Depth 2
                                        ;       Child Loop BB12_14 Depth 3
                                        ;         Child Loop BB12_18 Depth 4
                                        ;         Child Loop BB12_39 Depth 4
	;; [unrolled: 1-line block ×5, first 2 shown]
                                        ;     Child Loop BB12_116 Depth 2
                                        ;       Child Loop BB12_120 Depth 3
                                        ;       Child Loop BB12_124 Depth 3
	;; [unrolled: 1-line block ×4, first 2 shown]
	v_cndmask_b32_e64 v4, v4, 0, s[34:35]
	v_cndmask_b32_e64 v2, v2, 0, s[22:23]
	s_mov_b32 s63, 0
	s_branch .LBB12_9
.LBB12_6:                               ;   in Loop: Header=BB12_9 Depth=2
	s_or_b64 exec, exec, s[84:85]
.LBB12_7:                               ;   in Loop: Header=BB12_9 Depth=2
	s_or_b64 exec, exec, s[82:83]
.LBB12_8:                               ;   in Loop: Header=BB12_9 Depth=2
	s_or_b64 exec, exec, s[80:81]
	s_add_i32 s63, s63, 1
	s_cmp_eq_u32 s63, 32
	s_cbranch_scc1 .LBB12_85
.LBB12_9:                               ;   Parent Loop BB12_5 Depth=1
                                        ; =>  This Loop Header: Depth=2
                                        ;       Child Loop BB12_14 Depth 3
                                        ;         Child Loop BB12_18 Depth 4
                                        ;         Child Loop BB12_39 Depth 4
	;; [unrolled: 1-line block ×5, first 2 shown]
	v_lshl_add_u32 v8, s63, 5, v28
	v_cmp_gt_i32_e32 vcc, s65, v8
	s_and_saveexec_b64 s[80:81], vcc
	s_cbranch_execz .LBB12_8
; %bb.10:                               ;   in Loop: Header=BB12_9 Depth=2
	v_ashrrev_i32_e32 v9, 31, v8
	v_lshlrev_b64 v[12:13], 2, v[8:9]
	v_mov_b32_e32 v6, s45
	v_add_co_u32_e32 v10, vcc, s44, v12
	v_addc_co_u32_e32 v11, vcc, v6, v13, vcc
	global_load_dword v6, v[10:11], off
	v_mov_b32_e32 v9, s47
	v_add_co_u32_e32 v10, vcc, s46, v12
	v_addc_co_u32_e32 v11, vcc, v9, v13, vcc
	global_load_dword v9, v[10:11], off
	s_waitcnt vmcnt(1)
	v_add_u32_e32 v10, v29, v6
	s_waitcnt vmcnt(0)
	v_subrev_u32_e32 v9, s62, v9
	v_cmp_lt_i32_e32 vcc, v10, v9
	s_and_saveexec_b64 s[82:83], vcc
	s_cbranch_execz .LBB12_7
; %bb.11:                               ;   in Loop: Header=BB12_9 Depth=2
	v_mov_b32_e32 v6, s39
	v_add_co_u32_e32 v14, vcc, s38, v12
	v_addc_co_u32_e32 v15, vcc, v6, v13, vcc
	v_mov_b32_e32 v6, s37
	v_add_co_u32_e32 v12, vcc, s36, v12
	v_addc_co_u32_e32 v13, vcc, v6, v13, vcc
	global_load_dword v6, v[12:13], off
	global_load_dword v11, v[14:15], off
	v_mov_b32_e32 v16, s41
	v_mov_b32_e32 v17, s43
	s_mov_b64 s[84:85], 0
	s_waitcnt vmcnt(1)
	v_subrev_u32_e32 v12, s68, v6
	v_ashrrev_i32_e32 v13, 31, v12
	v_lshlrev_b64 v[14:15], 2, v[12:13]
	v_add_co_u32_e32 v13, vcc, s40, v14
	v_addc_co_u32_e32 v39, vcc, v16, v15, vcc
	s_waitcnt vmcnt(0)
	v_sub_u32_e32 v38, v11, v6
	v_add_co_u32_e32 v40, vcc, s42, v14
	v_cmp_lt_i32_e64 s[18:19], 0, v38
	v_addc_co_u32_e32 v41, vcc, v17, v15, vcc
	s_branch .LBB12_14
.LBB12_12:                              ;   in Loop: Header=BB12_14 Depth=3
	s_or_b64 exec, exec, s[52:53]
.LBB12_13:                              ;   in Loop: Header=BB12_14 Depth=3
	s_or_b64 exec, exec, s[20:21]
	v_add_u32_e32 v10, 32, v10
	v_cmp_ge_i32_e32 vcc, v10, v9
	s_or_b64 s[84:85], vcc, s[84:85]
	s_andn2_b64 exec, exec, s[84:85]
	s_cbranch_execz .LBB12_6
.LBB12_14:                              ;   Parent Loop BB12_5 Depth=1
                                        ;     Parent Loop BB12_9 Depth=2
                                        ; =>    This Loop Header: Depth=3
                                        ;         Child Loop BB12_18 Depth 4
                                        ;         Child Loop BB12_39 Depth 4
	;; [unrolled: 1-line block ×5, first 2 shown]
	v_ashrrev_i32_e32 v11, 31, v10
	v_lshlrev_b64 v[22:23], 2, v[10:11]
	v_mov_b32_e32 v6, s49
	v_add_co_u32_e32 v14, vcc, s48, v22
	v_addc_co_u32_e32 v15, vcc, v6, v23, vcc
	global_load_dword v6, v[14:15], off
	v_mov_b32_e32 v11, s25
	v_mov_b32_e32 v21, s27
	s_waitcnt vmcnt(0)
	v_subrev_u32_e32 v16, s62, v6
	v_ashrrev_i32_e32 v17, 31, v16
	v_lshlrev_b64 v[14:15], 2, v[16:17]
	v_add_co_u32_e32 v18, vcc, s24, v14
	v_addc_co_u32_e32 v19, vcc, v11, v15, vcc
	v_add_co_u32_e32 v20, vcc, s26, v14
	v_addc_co_u32_e32 v21, vcc, v21, v15, vcc
	global_load_dword v6, v[18:19], off
	global_load_dword v17, v[20:21], off
	v_mov_b32_e32 v11, 0
	v_mov_b32_e32 v20, 0
	s_waitcnt vmcnt(1)
	v_subrev_u32_e32 v18, s69, v6
	s_waitcnt vmcnt(0)
	v_sub_u32_e32 v42, v17, v6
	v_mov_b32_e32 v6, 0
	s_and_saveexec_b64 s[20:21], s[18:19]
	s_cbranch_execz .LBB12_22
; %bb.15:                               ;   in Loop: Header=BB12_14 Depth=3
	v_ashrrev_i32_e32 v19, 31, v18
	v_lshlrev_b64 v[20:21], 2, v[18:19]
	v_mov_b32_e32 v6, s29
	v_add_co_u32_e32 v17, vcc, s28, v20
	v_addc_co_u32_e32 v19, vcc, v6, v21, vcc
	v_mov_b32_e32 v6, s31
	v_add_co_u32_e32 v43, vcc, s30, v20
	v_addc_co_u32_e32 v44, vcc, v6, v21, vcc
	v_mov_b32_e32 v6, 0
	s_mov_b64 s[86:87], 0
	v_mov_b32_e32 v11, 0
	v_mov_b32_e32 v20, v6
                                        ; implicit-def: $sgpr88_sgpr89
	s_branch .LBB12_18
.LBB12_16:                              ;   in Loop: Header=BB12_18 Depth=4
	s_or_b64 exec, exec, s[54:55]
	v_cmp_le_i32_e32 vcc, v21, v45
	v_addc_co_u32_e32 v6, vcc, 0, v6, vcc
	v_cmp_ge_i32_e32 vcc, v21, v45
	v_addc_co_u32_e32 v20, vcc, 0, v20, vcc
	v_cmp_ge_i32_e32 vcc, v6, v38
	s_andn2_b64 s[54:55], s[88:89], exec
	s_and_b64 s[66:67], vcc, exec
	s_or_b64 s[88:89], s[54:55], s[66:67]
.LBB12_17:                              ;   in Loop: Header=BB12_18 Depth=4
	s_or_b64 exec, exec, s[52:53]
	s_and_b64 s[52:53], exec, s[88:89]
	s_or_b64 s[86:87], s[52:53], s[86:87]
	s_andn2_b64 exec, exec, s[86:87]
	s_cbranch_execz .LBB12_21
.LBB12_18:                              ;   Parent Loop BB12_5 Depth=1
                                        ;     Parent Loop BB12_9 Depth=2
                                        ;       Parent Loop BB12_14 Depth=3
                                        ; =>      This Inner Loop Header: Depth=4
	v_cmp_lt_i32_e32 vcc, v20, v42
	s_or_b64 s[88:89], s[88:89], exec
	s_and_saveexec_b64 s[52:53], vcc
	s_cbranch_execz .LBB12_17
; %bb.19:                               ;   in Loop: Header=BB12_18 Depth=4
	v_lshlrev_b64 v[24:25], 2, v[6:7]
	v_add_co_u32_e32 v26, vcc, v13, v24
	v_addc_co_u32_e32 v27, vcc, v39, v25, vcc
	v_mov_b32_e32 v21, v7
	global_load_dword v45, v[26:27], off
	v_lshlrev_b64 v[26:27], 2, v[20:21]
	v_add_co_u32_e32 v46, vcc, v17, v26
	v_addc_co_u32_e32 v47, vcc, v19, v27, vcc
	global_load_dword v46, v[46:47], off
	s_waitcnt vmcnt(1)
	v_subrev_u32_e32 v21, s68, v45
	s_waitcnt vmcnt(0)
	v_subrev_u32_e32 v45, s69, v46
	v_cmp_eq_u32_e32 vcc, v21, v45
	s_and_saveexec_b64 s[54:55], vcc
	s_cbranch_execz .LBB12_16
; %bb.20:                               ;   in Loop: Header=BB12_18 Depth=4
	v_add_co_u32_e32 v24, vcc, v40, v24
	v_addc_co_u32_e32 v25, vcc, v41, v25, vcc
	v_add_co_u32_e32 v26, vcc, v43, v26
	v_addc_co_u32_e32 v27, vcc, v44, v27, vcc
	global_load_dword v24, v[24:25], off
	s_nop 0
	global_load_dword v25, v[26:27], off
	s_waitcnt vmcnt(0)
	v_fmac_f32_e32 v11, v24, v25
	s_branch .LBB12_16
.LBB12_21:                              ;   in Loop: Header=BB12_14 Depth=3
	s_or_b64 exec, exec, s[86:87]
.LBB12_22:                              ;   in Loop: Header=BB12_14 Depth=3
	s_or_b64 exec, exec, s[20:21]
	v_mov_b32_e32 v17, s51
	v_add_co_u32_e32 v22, vcc, s50, v22
	v_addc_co_u32_e32 v23, vcc, v17, v23, vcc
	global_load_dword v17, v[22:23], off
	v_cmp_le_i32_e64 s[20:21], v8, v16
	v_cmp_gt_i32_e32 vcc, v8, v16
	s_waitcnt vmcnt(0)
	v_sub_f32_e32 v19, v17, v11
	s_and_saveexec_b64 s[52:53], vcc
	s_cbranch_execnz .LBB12_25
; %bb.23:                               ;   in Loop: Header=BB12_14 Depth=3
	s_or_b64 exec, exec, s[52:53]
	v_cmp_class_f32_e64 s[86:87], v19, s77
	s_and_saveexec_b64 s[88:89], s[86:87]
	s_cbranch_execnz .LBB12_28
.LBB12_24:                              ;   in Loop: Header=BB12_14 Depth=3
	s_or_b64 exec, exec, s[88:89]
	s_and_b64 s[52:53], s[86:87], s[22:23]
	s_and_saveexec_b64 s[20:21], s[52:53]
	s_cbranch_execz .LBB12_13
	s_branch .LBB12_63
.LBB12_25:                              ;   in Loop: Header=BB12_14 Depth=3
	v_mov_b32_e32 v21, s57
	v_add_co_u32_e32 v22, vcc, s56, v14
	v_addc_co_u32_e32 v23, vcc, v21, v15, vcc
	global_load_dword v21, v[22:23], off
	v_mov_b32_e32 v22, 0
	s_waitcnt vmcnt(0)
	v_cmp_lg_f32_e32 vcc, 0, v21
	s_and_saveexec_b64 s[54:55], vcc
; %bb.26:                               ;   in Loop: Header=BB12_14 Depth=3
	v_div_scale_f32 v22, s[66:67], v21, v21, v19
	v_rcp_f32_e32 v23, v22
	v_div_scale_f32 v24, vcc, v19, v21, v19
	v_fma_f32 v25, -v22, v23, 1.0
	v_fmac_f32_e32 v23, v25, v23
	v_mul_f32_e32 v25, v24, v23
	v_fma_f32 v26, -v22, v25, v24
	v_fmac_f32_e32 v25, v26, v23
	v_fma_f32 v22, -v22, v25, v24
	v_div_fmas_f32 v22, v22, v23, v25
	v_div_fixup_f32 v22, v22, v21, v19
; %bb.27:                               ;   in Loop: Header=BB12_14 Depth=3
	s_or_b64 exec, exec, s[54:55]
	v_mov_b32_e32 v19, v22
	s_or_b64 exec, exec, s[52:53]
	v_cmp_class_f32_e64 s[86:87], v19, s77
	s_and_saveexec_b64 s[88:89], s[86:87]
	s_cbranch_execz .LBB12_24
.LBB12_28:                              ;   in Loop: Header=BB12_14 Depth=3
	s_and_saveexec_b64 s[52:53], s[20:21]
	s_xor_b64 s[20:21], exec, s[52:53]
	s_cbranch_execz .LBB12_49
; %bb.29:                               ;   in Loop: Header=BB12_14 Depth=3
	v_cmp_ge_i32_e32 vcc, v8, v16
	s_and_saveexec_b64 s[52:53], vcc
	s_xor_b64 s[52:53], exec, s[52:53]
	s_cbranch_execz .LBB12_35
; %bb.30:                               ;   in Loop: Header=BB12_14 Depth=3
	v_mov_b32_e32 v21, s59
	v_add_co_u32_e32 v22, vcc, s58, v14
	v_addc_co_u32_e32 v23, vcc, v21, v15, vcc
	s_andn2_b64 vcc, exec, s[34:35]
	global_store_dword v[22:23], v19, off
	s_cbranch_vccnz .LBB12_34
; %bb.31:                               ;   in Loop: Header=BB12_14 Depth=3
	v_mov_b32_e32 v21, s57
	v_add_co_u32_e32 v22, vcc, s56, v14
	v_addc_co_u32_e32 v23, vcc, v21, v15, vcc
	global_load_dword v21, v[22:23], off
	s_waitcnt vmcnt(0)
	v_sub_f32_e32 v19, v21, v19
	v_cmp_class_f32_e64 s[66:67], v19, s77
	s_and_saveexec_b64 s[54:55], s[66:67]
; %bb.32:                               ;   in Loop: Header=BB12_14 Depth=3
	v_cmp_lt_f32_e64 s[66:67], v4, |v19|
	v_cndmask_b32_e64 v4, v4, |v19|, s[66:67]
; %bb.33:                               ;   in Loop: Header=BB12_14 Depth=3
	s_or_b64 exec, exec, s[54:55]
.LBB12_34:                              ;   in Loop: Header=BB12_14 Depth=3
                                        ; implicit-def: $vgpr19
.LBB12_35:                              ;   in Loop: Header=BB12_14 Depth=3
	s_andn2_saveexec_b64 s[90:91], s[52:53]
	s_cbranch_execz .LBB12_48
; %bb.36:                               ;   in Loop: Header=BB12_14 Depth=3
	v_cmp_lt_i32_e32 vcc, v20, v42
	s_and_saveexec_b64 s[92:93], vcc
	s_cbranch_execz .LBB12_47
; %bb.37:                               ;   in Loop: Header=BB12_14 Depth=3
	s_mov_b64 s[94:95], 0
	v_mov_b32_e32 v21, v20
                                        ; implicit-def: $sgpr66_sgpr67
                                        ; implicit-def: $sgpr52_sgpr53
                                        ; implicit-def: $sgpr70_sgpr71
	s_branch .LBB12_39
.LBB12_38:                              ;   in Loop: Header=BB12_39 Depth=4
	s_or_b64 exec, exec, s[54:55]
	s_and_b64 s[54:55], exec, s[52:53]
	s_or_b64 s[94:95], s[54:55], s[94:95]
	s_andn2_b64 s[54:55], s[66:67], exec
	s_and_b64 s[66:67], s[70:71], exec
	s_or_b64 s[66:67], s[54:55], s[66:67]
	s_andn2_b64 exec, exec, s[94:95]
	s_cbranch_execz .LBB12_41
.LBB12_39:                              ;   Parent Loop BB12_5 Depth=1
                                        ;     Parent Loop BB12_9 Depth=2
                                        ;       Parent Loop BB12_14 Depth=3
                                        ; =>      This Inner Loop Header: Depth=4
	v_add_u32_e32 v22, v18, v21
	v_ashrrev_i32_e32 v23, 31, v22
	v_lshlrev_b64 v[22:23], 2, v[22:23]
	v_mov_b32_e32 v25, s29
	v_add_co_u32_e32 v24, vcc, s28, v22
	v_addc_co_u32_e32 v25, vcc, v25, v23, vcc
	global_load_dword v24, v[24:25], off
	s_or_b64 s[70:71], s[70:71], exec
	s_or_b64 s[52:53], s[52:53], exec
	s_waitcnt vmcnt(0)
	v_subrev_u32_e32 v24, s69, v24
	v_cmp_ne_u32_e32 vcc, v24, v8
	s_and_saveexec_b64 s[54:55], vcc
	s_cbranch_execz .LBB12_38
; %bb.40:                               ;   in Loop: Header=BB12_39 Depth=4
	v_add_u32_e32 v21, 1, v21
	v_cmp_ge_i32_e32 vcc, v21, v42
	s_andn2_b64 s[52:53], s[52:53], exec
	s_and_b64 vcc, vcc, exec
	s_andn2_b64 s[70:71], s[70:71], exec
	s_or_b64 s[52:53], s[52:53], vcc
	s_branch .LBB12_38
.LBB12_41:                              ;   in Loop: Header=BB12_14 Depth=3
	s_or_b64 exec, exec, s[94:95]
	s_and_saveexec_b64 s[52:53], s[66:67]
	s_xor_b64 s[52:53], exec, s[52:53]
	s_cbranch_execz .LBB12_46
; %bb.42:                               ;   in Loop: Header=BB12_14 Depth=3
	v_mov_b32_e32 v21, s75
	v_add_co_u32_e32 v24, vcc, s74, v22
	v_addc_co_u32_e32 v25, vcc, v21, v23, vcc
	s_andn2_b64 vcc, exec, s[34:35]
	global_store_dword v[24:25], v19, off
	s_cbranch_vccnz .LBB12_46
; %bb.43:                               ;   in Loop: Header=BB12_14 Depth=3
	v_mov_b32_e32 v21, s31
	v_add_co_u32_e32 v22, vcc, s30, v22
	v_addc_co_u32_e32 v23, vcc, v21, v23, vcc
	global_load_dword v21, v[22:23], off
	s_waitcnt vmcnt(0)
	v_sub_f32_e32 v19, v21, v19
	v_cmp_class_f32_e64 s[66:67], v19, s77
	s_and_saveexec_b64 s[54:55], s[66:67]
; %bb.44:                               ;   in Loop: Header=BB12_14 Depth=3
	v_cmp_lt_f32_e64 s[66:67], v4, |v19|
	v_cndmask_b32_e64 v4, v4, |v19|, s[66:67]
; %bb.45:                               ;   in Loop: Header=BB12_14 Depth=3
	s_or_b64 exec, exec, s[54:55]
.LBB12_46:                              ;   in Loop: Header=BB12_14 Depth=3
	s_or_b64 exec, exec, s[52:53]
.LBB12_47:                              ;   in Loop: Header=BB12_14 Depth=3
	s_or_b64 exec, exec, s[92:93]
.LBB12_48:                              ;   in Loop: Header=BB12_14 Depth=3
	s_or_b64 exec, exec, s[90:91]
                                        ; implicit-def: $vgpr19
.LBB12_49:                              ;   in Loop: Header=BB12_14 Depth=3
	s_andn2_saveexec_b64 s[20:21], s[20:21]
	s_cbranch_execz .LBB12_62
; %bb.50:                               ;   in Loop: Header=BB12_14 Depth=3
	v_cmp_lt_i32_e32 vcc, v6, v38
	s_and_saveexec_b64 s[90:91], vcc
	s_cbranch_execz .LBB12_61
; %bb.51:                               ;   in Loop: Header=BB12_14 Depth=3
	s_mov_b64 s[92:93], 0
	v_mov_b32_e32 v21, v6
                                        ; implicit-def: $sgpr66_sgpr67
                                        ; implicit-def: $sgpr52_sgpr53
                                        ; implicit-def: $sgpr70_sgpr71
	s_branch .LBB12_53
.LBB12_52:                              ;   in Loop: Header=BB12_53 Depth=4
	s_or_b64 exec, exec, s[54:55]
	s_and_b64 s[54:55], exec, s[52:53]
	s_or_b64 s[92:93], s[54:55], s[92:93]
	s_andn2_b64 s[54:55], s[66:67], exec
	s_and_b64 s[66:67], s[70:71], exec
	s_or_b64 s[66:67], s[54:55], s[66:67]
	s_andn2_b64 exec, exec, s[92:93]
	s_cbranch_execz .LBB12_55
.LBB12_53:                              ;   Parent Loop BB12_5 Depth=1
                                        ;     Parent Loop BB12_9 Depth=2
                                        ;       Parent Loop BB12_14 Depth=3
                                        ; =>      This Inner Loop Header: Depth=4
	v_add_u32_e32 v22, v12, v21
	v_ashrrev_i32_e32 v23, 31, v22
	v_lshlrev_b64 v[22:23], 2, v[22:23]
	v_mov_b32_e32 v25, s41
	v_add_co_u32_e32 v24, vcc, s40, v22
	v_addc_co_u32_e32 v25, vcc, v25, v23, vcc
	global_load_dword v24, v[24:25], off
	s_or_b64 s[70:71], s[70:71], exec
	s_or_b64 s[52:53], s[52:53], exec
	s_waitcnt vmcnt(0)
	v_subrev_u32_e32 v24, s68, v24
	v_cmp_ne_u32_e32 vcc, v24, v16
	s_and_saveexec_b64 s[54:55], vcc
	s_cbranch_execz .LBB12_52
; %bb.54:                               ;   in Loop: Header=BB12_53 Depth=4
	v_add_u32_e32 v21, 1, v21
	v_cmp_ge_i32_e32 vcc, v21, v38
	s_andn2_b64 s[52:53], s[52:53], exec
	s_and_b64 s[94:95], vcc, exec
	s_andn2_b64 s[70:71], s[70:71], exec
	s_or_b64 s[52:53], s[52:53], s[94:95]
	s_branch .LBB12_52
.LBB12_55:                              ;   in Loop: Header=BB12_14 Depth=3
	s_or_b64 exec, exec, s[92:93]
	s_and_saveexec_b64 s[52:53], s[66:67]
	s_xor_b64 s[52:53], exec, s[52:53]
	s_cbranch_execz .LBB12_60
; %bb.56:                               ;   in Loop: Header=BB12_14 Depth=3
	v_mov_b32_e32 v21, s73
	v_add_co_u32_e32 v24, vcc, s72, v22
	v_addc_co_u32_e32 v25, vcc, v21, v23, vcc
	s_andn2_b64 vcc, exec, s[34:35]
	global_store_dword v[24:25], v19, off
	s_cbranch_vccnz .LBB12_60
; %bb.57:                               ;   in Loop: Header=BB12_14 Depth=3
	v_mov_b32_e32 v21, s43
	v_add_co_u32_e32 v22, vcc, s42, v22
	v_addc_co_u32_e32 v23, vcc, v21, v23, vcc
	global_load_dword v21, v[22:23], off
	s_waitcnt vmcnt(0)
	v_sub_f32_e32 v19, v21, v19
	v_cmp_class_f32_e64 s[66:67], v19, s77
	s_and_saveexec_b64 s[54:55], s[66:67]
; %bb.58:                               ;   in Loop: Header=BB12_14 Depth=3
	v_cmp_lt_f32_e64 s[66:67], v4, |v19|
	v_cndmask_b32_e64 v4, v4, |v19|, s[66:67]
; %bb.59:                               ;   in Loop: Header=BB12_14 Depth=3
	s_or_b64 exec, exec, s[54:55]
.LBB12_60:                              ;   in Loop: Header=BB12_14 Depth=3
	s_or_b64 exec, exec, s[52:53]
.LBB12_61:                              ;   in Loop: Header=BB12_14 Depth=3
	s_or_b64 exec, exec, s[90:91]
.LBB12_62:                              ;   in Loop: Header=BB12_14 Depth=3
	s_or_b64 exec, exec, s[20:21]
	s_or_b64 exec, exec, s[88:89]
	s_and_b64 s[52:53], s[86:87], s[22:23]
	s_and_saveexec_b64 s[20:21], s[52:53]
	s_cbranch_execz .LBB12_13
.LBB12_63:                              ;   in Loop: Header=BB12_14 Depth=3
	v_cmp_ge_i32_e32 vcc, v20, v42
	s_and_saveexec_b64 s[52:53], vcc
	s_xor_b64 s[86:87], exec, s[52:53]
	s_cbranch_execnz .LBB12_69
; %bb.64:                               ;   in Loop: Header=BB12_14 Depth=3
	s_andn2_saveexec_b64 s[86:87], s[86:87]
	s_cbranch_execnz .LBB12_78
.LBB12_65:                              ;   in Loop: Header=BB12_14 Depth=3
	s_or_b64 exec, exec, s[86:87]
	v_cmp_eq_u32_e32 vcc, v8, v16
	s_and_saveexec_b64 s[52:53], vcc
	s_cbranch_execz .LBB12_67
.LBB12_66:                              ;   in Loop: Header=BB12_14 Depth=3
	v_mov_b32_e32 v6, s57
	v_add_co_u32_e32 v14, vcc, s56, v14
	v_addc_co_u32_e32 v15, vcc, v6, v15, vcc
	global_load_dword v6, v[14:15], off
	s_waitcnt vmcnt(0)
	v_add_f32_e32 v11, v11, v6
.LBB12_67:                              ;   in Loop: Header=BB12_14 Depth=3
	s_or_b64 exec, exec, s[52:53]
	v_sub_f32_e32 v6, v17, v11
	v_cmp_class_f32_e64 s[54:55], v6, s77
	s_and_saveexec_b64 s[52:53], s[54:55]
	s_cbranch_execz .LBB12_12
; %bb.68:                               ;   in Loop: Header=BB12_14 Depth=3
	v_cmp_lt_f32_e64 s[54:55], v2, |v6|
	v_cndmask_b32_e64 v2, v2, |v6|, s[54:55]
	s_branch .LBB12_12
.LBB12_69:                              ;   in Loop: Header=BB12_14 Depth=3
	v_cmp_lt_i32_e32 vcc, v6, v38
	s_and_saveexec_b64 s[88:89], vcc
	s_cbranch_execz .LBB12_77
; %bb.70:                               ;   in Loop: Header=BB12_14 Depth=3
	s_mov_b64 s[90:91], 0
                                        ; implicit-def: $sgpr66_sgpr67
                                        ; implicit-def: $sgpr52_sgpr53
                                        ; implicit-def: $sgpr70_sgpr71
	s_branch .LBB12_72
.LBB12_71:                              ;   in Loop: Header=BB12_72 Depth=4
	s_or_b64 exec, exec, s[54:55]
	s_and_b64 s[54:55], exec, s[52:53]
	s_or_b64 s[90:91], s[54:55], s[90:91]
	s_andn2_b64 s[54:55], s[66:67], exec
	s_and_b64 s[66:67], s[70:71], exec
	s_or_b64 s[66:67], s[54:55], s[66:67]
	s_andn2_b64 exec, exec, s[90:91]
	s_cbranch_execz .LBB12_74
.LBB12_72:                              ;   Parent Loop BB12_5 Depth=1
                                        ;     Parent Loop BB12_9 Depth=2
                                        ;       Parent Loop BB12_14 Depth=3
                                        ; =>      This Inner Loop Header: Depth=4
	v_add_u32_e32 v18, v12, v6
	v_ashrrev_i32_e32 v19, 31, v18
	v_lshlrev_b64 v[18:19], 2, v[18:19]
	v_mov_b32_e32 v21, s41
	v_add_co_u32_e32 v20, vcc, s40, v18
	v_addc_co_u32_e32 v21, vcc, v21, v19, vcc
	global_load_dword v20, v[20:21], off
	s_or_b64 s[70:71], s[70:71], exec
	s_or_b64 s[52:53], s[52:53], exec
	s_waitcnt vmcnt(0)
	v_subrev_u32_e32 v20, s68, v20
	v_cmp_ne_u32_e32 vcc, v20, v16
	s_and_saveexec_b64 s[54:55], vcc
	s_cbranch_execz .LBB12_71
; %bb.73:                               ;   in Loop: Header=BB12_72 Depth=4
	v_add_u32_e32 v6, 1, v6
	v_cmp_ge_i32_e32 vcc, v6, v38
	s_andn2_b64 s[52:53], s[52:53], exec
	s_and_b64 s[92:93], vcc, exec
	s_andn2_b64 s[70:71], s[70:71], exec
	s_or_b64 s[52:53], s[52:53], s[92:93]
	s_branch .LBB12_71
.LBB12_74:                              ;   in Loop: Header=BB12_14 Depth=3
	s_or_b64 exec, exec, s[90:91]
	s_and_saveexec_b64 s[52:53], s[66:67]
	s_xor_b64 s[52:53], exec, s[52:53]
	s_cbranch_execz .LBB12_76
; %bb.75:                               ;   in Loop: Header=BB12_14 Depth=3
	v_mov_b32_e32 v6, s43
	v_add_co_u32_e32 v18, vcc, s42, v18
	v_addc_co_u32_e32 v19, vcc, v6, v19, vcc
	global_load_dword v6, v[18:19], off
	v_mov_b32_e32 v19, s57
	v_add_co_u32_e32 v18, vcc, s56, v14
	v_addc_co_u32_e32 v19, vcc, v19, v15, vcc
	global_load_dword v18, v[18:19], off
	s_waitcnt vmcnt(0)
	v_fmac_f32_e32 v11, v6, v18
.LBB12_76:                              ;   in Loop: Header=BB12_14 Depth=3
	s_or_b64 exec, exec, s[52:53]
.LBB12_77:                              ;   in Loop: Header=BB12_14 Depth=3
	s_or_b64 exec, exec, s[88:89]
                                        ; implicit-def: $vgpr20
                                        ; implicit-def: $vgpr18
                                        ; implicit-def: $vgpr42
	s_andn2_saveexec_b64 s[86:87], s[86:87]
	s_cbranch_execz .LBB12_65
.LBB12_78:                              ;   in Loop: Header=BB12_14 Depth=3
	s_mov_b64 s[88:89], 0
                                        ; implicit-def: $sgpr66_sgpr67
                                        ; implicit-def: $sgpr52_sgpr53
                                        ; implicit-def: $sgpr70_sgpr71
	s_branch .LBB12_80
.LBB12_79:                              ;   in Loop: Header=BB12_80 Depth=4
	s_or_b64 exec, exec, s[54:55]
	s_and_b64 s[54:55], exec, s[52:53]
	s_or_b64 s[88:89], s[54:55], s[88:89]
	s_andn2_b64 s[54:55], s[66:67], exec
	s_and_b64 s[66:67], s[70:71], exec
	s_or_b64 s[66:67], s[54:55], s[66:67]
	s_andn2_b64 exec, exec, s[88:89]
	s_cbranch_execz .LBB12_82
.LBB12_80:                              ;   Parent Loop BB12_5 Depth=1
                                        ;     Parent Loop BB12_9 Depth=2
                                        ;       Parent Loop BB12_14 Depth=3
                                        ; =>      This Inner Loop Header: Depth=4
	v_add_u32_e32 v22, v18, v20
	v_ashrrev_i32_e32 v23, 31, v22
	v_lshlrev_b64 v[22:23], 2, v[22:23]
	v_mov_b32_e32 v6, s29
	v_add_co_u32_e32 v24, vcc, s28, v22
	v_addc_co_u32_e32 v25, vcc, v6, v23, vcc
	global_load_dword v6, v[24:25], off
	s_or_b64 s[70:71], s[70:71], exec
	s_or_b64 s[52:53], s[52:53], exec
	s_waitcnt vmcnt(0)
	v_subrev_u32_e32 v6, s69, v6
	v_cmp_ne_u32_e32 vcc, v6, v8
	s_and_saveexec_b64 s[54:55], vcc
	s_cbranch_execz .LBB12_79
; %bb.81:                               ;   in Loop: Header=BB12_80 Depth=4
	v_add_u32_e32 v20, 1, v20
	v_cmp_ge_i32_e32 vcc, v20, v42
	s_andn2_b64 s[52:53], s[52:53], exec
	s_and_b64 s[90:91], vcc, exec
	s_andn2_b64 s[70:71], s[70:71], exec
	s_or_b64 s[52:53], s[52:53], s[90:91]
	s_branch .LBB12_79
.LBB12_82:                              ;   in Loop: Header=BB12_14 Depth=3
	s_or_b64 exec, exec, s[88:89]
	s_and_saveexec_b64 s[52:53], s[66:67]
	s_xor_b64 s[52:53], exec, s[52:53]
	s_cbranch_execz .LBB12_84
; %bb.83:                               ;   in Loop: Header=BB12_14 Depth=3
	v_mov_b32_e32 v6, s31
	v_add_co_u32_e32 v18, vcc, s30, v22
	v_addc_co_u32_e32 v19, vcc, v6, v23, vcc
	global_load_dword v6, v[18:19], off
	s_waitcnt vmcnt(0)
	v_add_f32_e32 v11, v11, v6
.LBB12_84:                              ;   in Loop: Header=BB12_14 Depth=3
	s_or_b64 exec, exec, s[52:53]
	s_or_b64 exec, exec, s[86:87]
	v_cmp_eq_u32_e32 vcc, v8, v16
	s_and_saveexec_b64 s[52:53], vcc
	s_cbranch_execnz .LBB12_66
	s_branch .LBB12_67
.LBB12_85:                              ;   in Loop: Header=BB12_5 Depth=1
	s_and_b64 vcc, exec, s[34:35]
	s_cbranch_vccnz .LBB12_88
; %bb.86:                               ;   in Loop: Header=BB12_5 Depth=1
	s_andn2_b64 vcc, exec, s[22:23]
	s_cbranch_vccz .LBB12_101
.LBB12_87:                              ;   in Loop: Header=BB12_5 Depth=1
	s_and_saveexec_b64 s[20:21], s[0:1]
	s_cbranch_execnz .LBB12_114
	s_branch .LBB12_135
.LBB12_88:                              ;   in Loop: Header=BB12_5 Depth=1
	v_mov_b32_dpp v6, v4 row_shr:1 row_mask:0xf bank_mask:0xf
	v_cmp_lt_f32_e32 vcc, v4, v6
	v_cndmask_b32_e32 v4, v4, v6, vcc
	s_nop 1
	v_mov_b32_dpp v6, v4 row_shr:2 row_mask:0xf bank_mask:0xf
	v_cmp_lt_f32_e32 vcc, v4, v6
	v_cndmask_b32_e32 v4, v4, v6, vcc
	s_nop 1
	;; [unrolled: 4-line block ×4, first 2 shown]
	v_mov_b32_dpp v6, v4 row_bcast:15 row_mask:0xa bank_mask:0xf
	s_and_saveexec_b64 s[18:19], s[2:3]
	s_cbranch_execz .LBB12_90
; %bb.89:                               ;   in Loop: Header=BB12_5 Depth=1
	v_cmp_lt_f32_e32 vcc, v4, v6
	v_cndmask_b32_e32 v4, v4, v6, vcc
	ds_write_b32 v30, v4
.LBB12_90:                              ;   in Loop: Header=BB12_5 Depth=1
	s_or_b64 exec, exec, s[18:19]
	s_waitcnt lgkmcnt(0)
	s_barrier
	s_and_saveexec_b64 s[18:19], s[6:7]
	s_cbranch_execz .LBB12_92
; %bb.91:                               ;   in Loop: Header=BB12_5 Depth=1
	ds_read2_b32 v[8:9], v1 offset1:16
	s_waitcnt lgkmcnt(0)
	v_cmp_lt_f32_e32 vcc, v8, v9
	v_cndmask_b32_e32 v4, v8, v9, vcc
	ds_write_b32 v1, v4
.LBB12_92:                              ;   in Loop: Header=BB12_5 Depth=1
	s_or_b64 exec, exec, s[18:19]
	s_waitcnt lgkmcnt(0)
	s_barrier
	s_and_saveexec_b64 s[18:19], s[8:9]
	s_cbranch_execz .LBB12_94
; %bb.93:                               ;   in Loop: Header=BB12_5 Depth=1
	ds_read2_b32 v[8:9], v1 offset1:8
	s_waitcnt lgkmcnt(0)
	v_cmp_lt_f32_e32 vcc, v8, v9
	v_cndmask_b32_e32 v4, v8, v9, vcc
	ds_write_b32 v1, v4
.LBB12_94:                              ;   in Loop: Header=BB12_5 Depth=1
	;; [unrolled: 12-line block ×4, first 2 shown]
	s_or_b64 exec, exec, s[18:19]
	s_waitcnt lgkmcnt(0)
	s_barrier
	s_and_saveexec_b64 s[18:19], s[14:15]
	s_cbranch_execz .LBB12_100
; %bb.99:                               ;   in Loop: Header=BB12_5 Depth=1
	ds_read_b64 v[8:9], v37
	s_waitcnt lgkmcnt(0)
	v_cmp_lt_f32_e32 vcc, v8, v9
	v_cndmask_b32_e32 v4, v8, v9, vcc
	ds_write_b32 v37, v4
.LBB12_100:                             ;   in Loop: Header=BB12_5 Depth=1
	s_or_b64 exec, exec, s[18:19]
	s_load_dwordx2 s[18:19], s[4:5], 0xc8
	s_waitcnt lgkmcnt(0)
	s_barrier
	ds_read_b32 v4, v37
	s_load_dword s20, s[18:19], 0x0
	s_waitcnt lgkmcnt(0)
	v_div_scale_f32 v6, s[18:19], s20, s20, v4
	v_rcp_f32_e32 v8, v6
	v_div_scale_f32 v9, vcc, v4, s20, v4
	v_fma_f32 v10, -v6, v8, 1.0
	v_fmac_f32_e32 v8, v10, v8
	v_mul_f32_e32 v10, v9, v8
	v_fma_f32 v11, -v6, v10, v9
	v_fmac_f32_e32 v10, v11, v8
	v_fma_f32 v6, -v6, v10, v9
	v_div_fmas_f32 v6, v6, v8, v10
	v_div_fixup_f32 v4, v6, s20, v4
	s_andn2_b64 vcc, exec, s[22:23]
	s_cbranch_vccnz .LBB12_87
.LBB12_101:                             ;   in Loop: Header=BB12_5 Depth=1
	v_mov_b32_dpp v6, v2 row_shr:1 row_mask:0xf bank_mask:0xf
	v_cmp_lt_f32_e32 vcc, v2, v6
	v_cndmask_b32_e32 v2, v2, v6, vcc
	s_nop 1
	v_mov_b32_dpp v6, v2 row_shr:2 row_mask:0xf bank_mask:0xf
	v_cmp_lt_f32_e32 vcc, v2, v6
	v_cndmask_b32_e32 v2, v2, v6, vcc
	s_nop 1
	v_mov_b32_dpp v6, v2 row_shr:4 row_mask:0xf bank_mask:0xe
	v_cmp_lt_f32_e32 vcc, v2, v6
	v_cndmask_b32_e32 v2, v2, v6, vcc
	s_nop 1
	v_mov_b32_dpp v6, v2 row_shr:8 row_mask:0xf bank_mask:0xc
	v_cmp_lt_f32_e32 vcc, v2, v6
	v_cndmask_b32_e32 v2, v2, v6, vcc
	s_nop 1
	v_mov_b32_dpp v6, v2 row_bcast:15 row_mask:0xa bank_mask:0xf
	s_and_saveexec_b64 s[18:19], s[2:3]
	s_cbranch_execz .LBB12_103
; %bb.102:                              ;   in Loop: Header=BB12_5 Depth=1
	v_cmp_lt_f32_e32 vcc, v2, v6
	v_cndmask_b32_e32 v2, v2, v6, vcc
	ds_write_b32 v30, v2
.LBB12_103:                             ;   in Loop: Header=BB12_5 Depth=1
	s_or_b64 exec, exec, s[18:19]
	s_waitcnt lgkmcnt(0)
	s_barrier
	s_and_saveexec_b64 s[18:19], s[6:7]
	s_cbranch_execz .LBB12_105
; %bb.104:                              ;   in Loop: Header=BB12_5 Depth=1
	ds_read2_b32 v[8:9], v1 offset1:16
	s_waitcnt lgkmcnt(0)
	v_cmp_lt_f32_e32 vcc, v8, v9
	v_cndmask_b32_e32 v2, v8, v9, vcc
	ds_write_b32 v1, v2
.LBB12_105:                             ;   in Loop: Header=BB12_5 Depth=1
	s_or_b64 exec, exec, s[18:19]
	s_waitcnt lgkmcnt(0)
	s_barrier
	s_and_saveexec_b64 s[18:19], s[8:9]
	s_cbranch_execz .LBB12_107
; %bb.106:                              ;   in Loop: Header=BB12_5 Depth=1
	ds_read2_b32 v[8:9], v1 offset1:8
	s_waitcnt lgkmcnt(0)
	v_cmp_lt_f32_e32 vcc, v8, v9
	v_cndmask_b32_e32 v2, v8, v9, vcc
	ds_write_b32 v1, v2
.LBB12_107:                             ;   in Loop: Header=BB12_5 Depth=1
	;; [unrolled: 12-line block ×4, first 2 shown]
	s_or_b64 exec, exec, s[18:19]
	s_waitcnt lgkmcnt(0)
	s_barrier
	s_and_saveexec_b64 s[18:19], s[14:15]
	s_cbranch_execz .LBB12_113
; %bb.112:                              ;   in Loop: Header=BB12_5 Depth=1
	ds_read_b64 v[8:9], v37
	s_waitcnt lgkmcnt(0)
	v_cmp_lt_f32_e32 vcc, v8, v9
	v_cndmask_b32_e32 v2, v8, v9, vcc
	ds_write_b32 v37, v2
.LBB12_113:                             ;   in Loop: Header=BB12_5 Depth=1
	s_or_b64 exec, exec, s[18:19]
	s_load_dwordx2 s[18:19], s[4:5], 0xc8
	s_waitcnt lgkmcnt(0)
	s_barrier
	ds_read_b32 v2, v37
	s_load_dword s20, s[18:19], 0x0
	s_waitcnt lgkmcnt(0)
	v_div_scale_f32 v6, s[18:19], s20, s20, v2
	v_rcp_f32_e32 v8, v6
	v_div_scale_f32 v9, vcc, v2, s20, v2
	v_fma_f32 v10, -v6, v8, 1.0
	v_fmac_f32_e32 v8, v10, v8
	v_mul_f32_e32 v10, v9, v8
	v_fma_f32 v11, -v6, v10, v9
	v_fmac_f32_e32 v10, v11, v8
	v_fma_f32 v6, -v6, v10, v9
	v_div_fmas_f32 v6, v6, v8, v10
	v_div_fixup_f32 v2, v6, s20, v2
	s_and_saveexec_b64 s[20:21], s[0:1]
	s_cbranch_execz .LBB12_135
.LBB12_114:                             ;   in Loop: Header=BB12_5 Depth=1
	s_mov_b64 s[80:81], 0
	v_mov_b32_e32 v8, v28
	s_branch .LBB12_116
.LBB12_115:                             ;   in Loop: Header=BB12_116 Depth=2
	s_or_b64 exec, exec, s[82:83]
	v_add_u32_e32 v8, 32, v8
	v_cmp_le_u32_e32 vcc, s76, v8
	s_or_b64 s[80:81], vcc, s[80:81]
	s_andn2_b64 exec, exec, s[80:81]
	s_cbranch_execz .LBB12_135
.LBB12_116:                             ;   Parent Loop BB12_5 Depth=1
                                        ; =>  This Loop Header: Depth=2
                                        ;       Child Loop BB12_120 Depth 3
                                        ;       Child Loop BB12_124 Depth 3
	;; [unrolled: 1-line block ×4, first 2 shown]
	v_cmp_gt_i32_e32 vcc, s65, v8
	s_and_saveexec_b64 s[82:83], vcc
	s_cbranch_execz .LBB12_115
; %bb.117:                              ;   in Loop: Header=BB12_116 Depth=2
	v_ashrrev_i32_e32 v9, 31, v8
	v_lshlrev_b64 v[10:11], 2, v[8:9]
	v_mov_b32_e32 v6, s37
	v_add_co_u32_e32 v12, vcc, s36, v10
	v_addc_co_u32_e32 v13, vcc, v6, v11, vcc
	global_load_dword v9, v[12:13], off
	v_mov_b32_e32 v6, s39
	v_add_co_u32_e32 v12, vcc, s38, v10
	v_addc_co_u32_e32 v13, vcc, v6, v11, vcc
	global_load_dword v6, v[12:13], off
	s_waitcnt vmcnt(1)
	v_add_u32_e32 v12, v31, v9
	s_waitcnt vmcnt(0)
	v_subrev_u32_e32 v6, s68, v6
	v_cmp_lt_i32_e32 vcc, v12, v6
	s_and_saveexec_b64 s[84:85], vcc
	s_cbranch_execz .LBB12_125
; %bb.118:                              ;   in Loop: Header=BB12_116 Depth=2
	v_add_u32_e32 v13, v36, v9
	v_max_i32_e32 v13, v13, v6
	v_add_u32_e32 v13, v35, v13
	v_sub_u32_e32 v9, v13, v9
	v_cmp_lt_u32_e32 vcc, 31, v9
	s_mov_b64 s[18:19], -1
	s_and_saveexec_b64 s[86:87], vcc
	s_cbranch_execz .LBB12_122
; %bb.119:                              ;   in Loop: Header=BB12_116 Depth=2
	v_lshrrev_b32_e32 v9, 5, v9
	v_add_u32_e32 v9, 1, v9
	v_and_b32_e32 v16, 0xffffffe, v9
	v_add_u32_e32 v13, 32, v12
	s_mov_b64 s[52:53], 0
	v_mov_b32_e32 v17, v16
	v_pk_mov_b32 v[14:15], v[12:13], v[12:13] op_sel:[0,1]
.LBB12_120:                             ;   Parent Loop BB12_5 Depth=1
                                        ;     Parent Loop BB12_116 Depth=2
                                        ; =>    This Inner Loop Header: Depth=3
	v_ashrrev_i32_e32 v21, 31, v14
	v_mov_b32_e32 v20, v14
	v_lshlrev_b64 v[20:21], 2, v[20:21]
	v_ashrrev_i32_e32 v19, 31, v15
	v_mov_b32_e32 v18, v15
	v_mov_b32_e32 v13, s73
	v_add_co_u32_e32 v22, vcc, s72, v20
	v_lshlrev_b64 v[18:19], 2, v[18:19]
	v_addc_co_u32_e32 v23, vcc, v13, v21, vcc
	v_add_co_u32_e32 v24, vcc, s72, v18
	v_addc_co_u32_e32 v25, vcc, v13, v19, vcc
	global_load_dword v13, v[22:23], off
	s_nop 0
	global_load_dword v22, v[24:25], off
	v_mov_b32_e32 v23, s43
	v_add_u32_e32 v17, -2, v17
	v_add_co_u32_e64 v20, s[18:19], s42, v20
	v_cmp_eq_u32_e32 vcc, 0, v17
	v_addc_co_u32_e64 v21, s[18:19], v23, v21, s[18:19]
	v_add_u32_e32 v15, 64, v15
	v_add_u32_e32 v14, 64, v14
	v_add_co_u32_e64 v18, s[18:19], s42, v18
	s_or_b64 s[52:53], vcc, s[52:53]
	v_addc_co_u32_e64 v19, s[18:19], v23, v19, s[18:19]
	s_waitcnt vmcnt(1)
	global_store_dword v[20:21], v13, off
	s_waitcnt vmcnt(1)
	global_store_dword v[18:19], v22, off
	s_andn2_b64 exec, exec, s[52:53]
	s_cbranch_execnz .LBB12_120
; %bb.121:                              ;   in Loop: Header=BB12_116 Depth=2
	s_or_b64 exec, exec, s[52:53]
	v_cmp_ne_u32_e32 vcc, v9, v16
	v_lshl_add_u32 v12, v16, 5, v12
	s_orn2_b64 s[18:19], vcc, exec
.LBB12_122:                             ;   in Loop: Header=BB12_116 Depth=2
	s_or_b64 exec, exec, s[86:87]
	s_and_b64 exec, exec, s[18:19]
	s_cbranch_execz .LBB12_125
; %bb.123:                              ;   in Loop: Header=BB12_116 Depth=2
	v_ashrrev_i32_e32 v13, 31, v12
	v_lshlrev_b64 v[16:17], 2, v[12:13]
	v_mov_b32_e32 v9, s73
	v_add_co_u32_e32 v14, vcc, s72, v16
	v_addc_co_u32_e32 v15, vcc, v9, v17, vcc
	v_mov_b32_e32 v9, s43
	v_add_co_u32_e32 v16, vcc, s42, v16
	v_addc_co_u32_e32 v17, vcc, v9, v17, vcc
	s_mov_b64 s[18:19], 0
.LBB12_124:                             ;   Parent Loop BB12_5 Depth=1
                                        ;     Parent Loop BB12_116 Depth=2
                                        ; =>    This Inner Loop Header: Depth=3
	global_load_dword v9, v[14:15], off
	v_add_co_u32_e32 v14, vcc, 0x80, v14
	v_add_u32_e32 v12, 32, v12
	v_addc_co_u32_e32 v15, vcc, 0, v15, vcc
	v_cmp_ge_i32_e32 vcc, v12, v6
	s_or_b64 s[18:19], vcc, s[18:19]
	s_waitcnt vmcnt(0)
	global_store_dword v[16:17], v9, off
	v_add_co_u32_e32 v16, vcc, 0x80, v16
	v_addc_co_u32_e32 v17, vcc, 0, v17, vcc
	s_andn2_b64 exec, exec, s[18:19]
	s_cbranch_execnz .LBB12_124
.LBB12_125:                             ;   in Loop: Header=BB12_116 Depth=2
	s_or_b64 exec, exec, s[84:85]
	v_mov_b32_e32 v6, s25
	v_add_co_u32_e32 v12, vcc, s24, v10
	v_addc_co_u32_e32 v13, vcc, v6, v11, vcc
	global_load_dword v9, v[12:13], off
	v_mov_b32_e32 v6, s27
	v_add_co_u32_e32 v12, vcc, s26, v10
	v_addc_co_u32_e32 v13, vcc, v6, v11, vcc
	global_load_dword v6, v[12:13], off
	s_waitcnt vmcnt(1)
	v_add_u32_e32 v12, v32, v9
	s_waitcnt vmcnt(0)
	v_subrev_u32_e32 v6, s69, v6
	v_cmp_lt_i32_e32 vcc, v12, v6
	s_and_saveexec_b64 s[84:85], vcc
	s_cbranch_execz .LBB12_133
; %bb.126:                              ;   in Loop: Header=BB12_116 Depth=2
	v_add_u32_e32 v13, v34, v9
	v_max_i32_e32 v13, v13, v6
	v_add_u32_e32 v13, v33, v13
	v_sub_u32_e32 v9, v13, v9
	v_cmp_lt_u32_e32 vcc, 31, v9
	s_mov_b64 s[18:19], -1
	s_and_saveexec_b64 s[86:87], vcc
	s_cbranch_execz .LBB12_130
; %bb.127:                              ;   in Loop: Header=BB12_116 Depth=2
	v_lshrrev_b32_e32 v9, 5, v9
	v_add_u32_e32 v9, 1, v9
	v_and_b32_e32 v16, 0xffffffe, v9
	v_add_u32_e32 v13, 32, v12
	s_mov_b64 s[52:53], 0
	v_mov_b32_e32 v17, v16
	v_pk_mov_b32 v[14:15], v[12:13], v[12:13] op_sel:[0,1]
.LBB12_128:                             ;   Parent Loop BB12_5 Depth=1
                                        ;     Parent Loop BB12_116 Depth=2
                                        ; =>    This Inner Loop Header: Depth=3
	v_ashrrev_i32_e32 v21, 31, v14
	v_mov_b32_e32 v20, v14
	v_lshlrev_b64 v[20:21], 2, v[20:21]
	v_ashrrev_i32_e32 v19, 31, v15
	v_mov_b32_e32 v18, v15
	v_mov_b32_e32 v13, s75
	v_add_co_u32_e32 v22, vcc, s74, v20
	v_lshlrev_b64 v[18:19], 2, v[18:19]
	v_addc_co_u32_e32 v23, vcc, v13, v21, vcc
	v_add_co_u32_e32 v24, vcc, s74, v18
	v_addc_co_u32_e32 v25, vcc, v13, v19, vcc
	global_load_dword v13, v[22:23], off
	s_nop 0
	global_load_dword v22, v[24:25], off
	v_mov_b32_e32 v23, s31
	v_add_u32_e32 v17, -2, v17
	v_add_co_u32_e64 v20, s[18:19], s30, v20
	v_cmp_eq_u32_e32 vcc, 0, v17
	v_addc_co_u32_e64 v21, s[18:19], v23, v21, s[18:19]
	v_add_u32_e32 v15, 64, v15
	v_add_u32_e32 v14, 64, v14
	v_add_co_u32_e64 v18, s[18:19], s30, v18
	s_or_b64 s[52:53], vcc, s[52:53]
	v_addc_co_u32_e64 v19, s[18:19], v23, v19, s[18:19]
	s_waitcnt vmcnt(1)
	global_store_dword v[20:21], v13, off
	s_waitcnt vmcnt(1)
	global_store_dword v[18:19], v22, off
	s_andn2_b64 exec, exec, s[52:53]
	s_cbranch_execnz .LBB12_128
; %bb.129:                              ;   in Loop: Header=BB12_116 Depth=2
	s_or_b64 exec, exec, s[52:53]
	v_cmp_ne_u32_e32 vcc, v9, v16
	v_lshl_add_u32 v12, v16, 5, v12
	s_orn2_b64 s[18:19], vcc, exec
.LBB12_130:                             ;   in Loop: Header=BB12_116 Depth=2
	s_or_b64 exec, exec, s[86:87]
	s_and_b64 exec, exec, s[18:19]
	s_cbranch_execz .LBB12_133
; %bb.131:                              ;   in Loop: Header=BB12_116 Depth=2
	v_ashrrev_i32_e32 v13, 31, v12
	v_lshlrev_b64 v[16:17], 2, v[12:13]
	v_mov_b32_e32 v9, s75
	v_add_co_u32_e32 v14, vcc, s74, v16
	v_addc_co_u32_e32 v15, vcc, v9, v17, vcc
	v_mov_b32_e32 v9, s31
	v_add_co_u32_e32 v16, vcc, s30, v16
	v_addc_co_u32_e32 v17, vcc, v9, v17, vcc
	s_mov_b64 s[18:19], 0
.LBB12_132:                             ;   Parent Loop BB12_5 Depth=1
                                        ;     Parent Loop BB12_116 Depth=2
                                        ; =>    This Inner Loop Header: Depth=3
	global_load_dword v9, v[14:15], off
	v_add_co_u32_e32 v14, vcc, 0x80, v14
	v_add_u32_e32 v12, 32, v12
	v_addc_co_u32_e32 v15, vcc, 0, v15, vcc
	v_cmp_ge_i32_e32 vcc, v12, v6
	s_or_b64 s[18:19], vcc, s[18:19]
	s_waitcnt vmcnt(0)
	global_store_dword v[16:17], v9, off
	v_add_co_u32_e32 v16, vcc, 0x80, v16
	v_addc_co_u32_e32 v17, vcc, 0, v17, vcc
	s_andn2_b64 exec, exec, s[18:19]
	s_cbranch_execnz .LBB12_132
.LBB12_133:                             ;   in Loop: Header=BB12_116 Depth=2
	s_or_b64 exec, exec, s[84:85]
	s_and_b64 exec, exec, s[16:17]
	s_cbranch_execz .LBB12_115
; %bb.134:                              ;   in Loop: Header=BB12_116 Depth=2
	v_mov_b32_e32 v6, s59
	v_add_co_u32_e32 v12, vcc, s58, v10
	v_addc_co_u32_e32 v13, vcc, v6, v11, vcc
	global_load_dword v6, v[12:13], off
	v_mov_b32_e32 v9, s57
	v_add_co_u32_e32 v10, vcc, s56, v10
	v_addc_co_u32_e32 v11, vcc, v9, v11, vcc
	s_waitcnt vmcnt(0)
	global_store_dword v[10:11], v6, off
	s_branch .LBB12_115
.LBB12_135:                             ;   in Loop: Header=BB12_5 Depth=1
	s_or_b64 exec, exec, s[20:21]
	s_mov_b64 s[20:21], -1
	s_mov_b64 s[18:19], -1
	s_and_b64 vcc, exec, s[60:61]
	s_cbranch_vccz .LBB12_145
; %bb.136:                              ;   in Loop: Header=BB12_5 Depth=1
	v_readlane_b32 s52, v48, 4
	v_readlane_b32 s53, v48, 5
	s_and_b64 vcc, exec, s[52:53]
                                        ; implicit-def: $sgpr52_sgpr53
	s_cbranch_vccz .LBB12_142
; %bb.137:                              ;   in Loop: Header=BB12_5 Depth=1
	v_readlane_b32 s52, v48, 2
	v_readlane_b32 s53, v48, 3
	s_and_b64 vcc, exec, s[52:53]
                                        ; implicit-def: $sgpr52_sgpr53
	s_cbranch_vccz .LBB12_139
; %bb.138:                              ;   in Loop: Header=BB12_5 Depth=1
	v_cmp_ge_f32_e32 vcc, s64, v2
	s_mov_b64 s[18:19], 0
	s_and_b64 s[52:53], vcc, exec
.LBB12_139:                             ;   in Loop: Header=BB12_5 Depth=1
	s_andn2_b64 vcc, exec, s[18:19]
	s_cbranch_vccnz .LBB12_141
; %bb.140:                              ;   in Loop: Header=BB12_5 Depth=1
	v_cmp_ge_f32_e32 vcc, s64, v4
	s_andn2_b64 s[18:19], s[52:53], exec
	s_and_b64 s[52:53], vcc, exec
	s_or_b64 s[52:53], s[18:19], s[52:53]
.LBB12_141:                             ;   in Loop: Header=BB12_5 Depth=1
	s_mov_b64 s[18:19], 0
.LBB12_142:                             ;   in Loop: Header=BB12_5 Depth=1
	s_andn2_b64 vcc, exec, s[18:19]
	s_cbranch_vccnz .LBB12_144
; %bb.143:                              ;   in Loop: Header=BB12_5 Depth=1
	v_cmp_ge_f32_e32 vcc, s64, v4
	v_cmp_ge_f32_e64 s[18:19], s64, v2
	s_and_b64 s[18:19], vcc, s[18:19]
	s_andn2_b64 s[52:53], s[52:53], exec
	s_and_b64 s[18:19], s[18:19], exec
	s_or_b64 s[52:53], s[52:53], s[18:19]
.LBB12_144:                             ;   in Loop: Header=BB12_5 Depth=1
	s_xor_b64 s[18:19], s[52:53], -1
.LBB12_145:                             ;   in Loop: Header=BB12_5 Depth=1
	v_mov_b32_e32 v6, s33
	s_and_saveexec_b64 s[52:53], s[18:19]
	s_cbranch_execz .LBB12_4
; %bb.146:                              ;   in Loop: Header=BB12_5 Depth=1
	s_load_dwordx2 s[18:19], s[4:5], 0x0
	s_add_i32 s33, s33, 1
	s_waitcnt lgkmcnt(0)
	s_cmp_eq_u32 s33, s19
	s_mov_b32 s21, s19
	s_cselect_b64 s[18:19], -1, 0
	v_mov_b32_e32 v6, s21
	s_orn2_b64 s[20:21], s[18:19], exec
	s_branch .LBB12_4
.LBB12_147:
	s_or_b64 exec, exec, s[78:79]
	s_load_dwordx4 s[24:27], s[4:5], 0xb8
	v_readlane_b32 s2, v48, 0
	v_readlane_b32 s3, v48, 1
	s_or_b64 exec, exec, s[2:3]
	s_andn2_b64 vcc, exec, s[60:61]
	s_cbranch_vccnz .LBB12_2
.LBB12_148:
	v_mov_b32_dpp v7, v6 row_shr:1 row_mask:0xf bank_mask:0xf
	v_max_i32_e32 v6, v6, v7
	v_cmp_eq_u32_e32 vcc, 31, v5
	s_nop 0
	v_mov_b32_dpp v7, v6 row_shr:2 row_mask:0xf bank_mask:0xf
	v_max_i32_e32 v6, v6, v7
	s_nop 1
	v_mov_b32_dpp v7, v6 row_shr:4 row_mask:0xf bank_mask:0xe
	v_max_i32_e32 v6, v6, v7
	;; [unrolled: 3-line block ×3, first 2 shown]
	s_nop 1
	v_mov_b32_dpp v7, v6 row_bcast:15 row_mask:0xa bank_mask:0xf
	s_and_saveexec_b64 s[0:1], vcc
	s_cbranch_execz .LBB12_150
; %bb.149:
	v_lshlrev_b32_e32 v3, 2, v3
	v_max_i32_e32 v5, v6, v7
	ds_write_b32 v3, v5 offset:128
.LBB12_150:
	s_or_b64 exec, exec, s[0:1]
	v_cmp_gt_u32_e32 vcc, 16, v0
	s_waitcnt lgkmcnt(0)
	s_barrier
	s_and_saveexec_b64 s[0:1], vcc
	s_cbranch_execz .LBB12_152
; %bb.151:
	ds_read2_b32 v[6:7], v1 offset0:32 offset1:48
	s_waitcnt lgkmcnt(0)
	v_max_i32_e32 v3, v6, v7
	ds_write_b32 v1, v3 offset:128
.LBB12_152:
	s_or_b64 exec, exec, s[0:1]
	v_cmp_gt_u32_e32 vcc, 8, v0
	s_waitcnt lgkmcnt(0)
	s_barrier
	s_and_saveexec_b64 s[0:1], vcc
	s_cbranch_execz .LBB12_154
; %bb.153:
	ds_read2_b32 v[6:7], v1 offset0:32 offset1:40
	s_waitcnt lgkmcnt(0)
	v_max_i32_e32 v3, v6, v7
	ds_write_b32 v1, v3 offset:128
.LBB12_154:
	;; [unrolled: 12-line block ×4, first 2 shown]
	s_or_b64 exec, exec, s[0:1]
	v_cmp_eq_u32_e32 vcc, 0, v0
	s_waitcnt lgkmcnt(0)
	s_barrier
	s_and_saveexec_b64 s[0:1], vcc
	s_cbranch_execz .LBB12_160
; %bb.159:
	v_mov_b32_e32 v1, 0
	ds_read_b64 v[6:7], v1 offset:128
	s_waitcnt lgkmcnt(0)
	v_max_i32_e32 v3, v6, v7
	ds_write_b32 v1, v3 offset:128
.LBB12_160:
	s_or_b64 exec, exec, s[0:1]
	s_waitcnt lgkmcnt(0)
	s_barrier
	s_and_saveexec_b64 s[0:1], vcc
	s_cbranch_execz .LBB12_163
; %bb.161:
	v_mbcnt_lo_u32_b32 v1, exec_lo, 0
	v_mbcnt_hi_u32_b32 v1, exec_hi, v1
	v_cmp_eq_u32_e32 vcc, 0, v1
	s_and_b64 exec, exec, vcc
	s_cbranch_execz .LBB12_163
; %bb.162:
	v_mov_b32_e32 v1, 0
	ds_read_b32 v3, v1 offset:128
	s_load_dwordx2 s[2:3], s[4:5], 0x8
	s_waitcnt lgkmcnt(0)
	v_add_u32_e32 v3, 1, v3
	global_atomic_smax v1, v3, s[2:3]
.LBB12_163:
	s_or_b64 exec, exec, s[0:1]
	v_cmp_eq_u32_e32 vcc, 0, v0
	s_and_b64 s[0:1], vcc, s[34:35]
	s_and_saveexec_b64 s[4:5], s[0:1]
	s_cbranch_execz .LBB12_168
.LBB12_164:
	v_mov_b32_e32 v0, 0
	s_waitcnt lgkmcnt(0)
	global_load_dword v5, v0, s[24:25] glc
	s_brev_b32 s2, 1
	v_cmp_eq_f32_e64 s[0:1], 0, v4
	s_mov_b64 s[6:7], 0
                                        ; implicit-def: $sgpr8_sgpr9
                                        ; implicit-def: $sgpr12_sgpr13
	s_waitcnt vmcnt(0)
	v_cmp_eq_u32_e64 s[10:11], s2, v5
	s_branch .LBB12_166
.LBB12_165:                             ;   in Loop: Header=BB12_166 Depth=1
	s_or_b64 exec, exec, s[14:15]
	s_and_b64 s[2:3], exec, s[8:9]
	s_or_b64 s[6:7], s[2:3], s[6:7]
	s_andn2_b64 s[2:3], s[10:11], exec
	s_and_b64 s[10:11], s[12:13], exec
	s_or_b64 s[10:11], s[2:3], s[10:11]
	s_andn2_b64 exec, exec, s[6:7]
	s_cbranch_execz .LBB12_168
.LBB12_166:                             ; =>This Inner Loop Header: Depth=1
	v_cmp_lt_f32_e64 s[2:3], v5, v4
	s_and_b64 s[14:15], s[0:1], s[10:11]
	s_or_b64 s[2:3], s[2:3], s[14:15]
	s_andn2_b64 s[12:13], s[12:13], exec
	s_or_b64 s[8:9], s[8:9], exec
	s_and_saveexec_b64 s[14:15], s[2:3]
	s_cbranch_execz .LBB12_165
; %bb.167:                              ;   in Loop: Header=BB12_166 Depth=1
	global_atomic_cmpswap v1, v0, v[4:5], s[24:25] glc
	s_andn2_b64 s[12:13], s[12:13], exec
	s_andn2_b64 s[8:9], s[8:9], exec
                                        ; implicit-def: $sgpr10_sgpr11
	s_waitcnt vmcnt(0)
	v_cmp_eq_u32_e64 s[2:3], v1, v5
	v_cndmask_b32_e64 v3, v1, v5, s[2:3]
	v_cmp_class_f32_e64 s[16:17], v3, 32
	s_and_b64 s[2:3], s[2:3], exec
	s_and_b64 s[16:17], s[16:17], exec
	s_or_b64 s[8:9], s[8:9], s[2:3]
	s_or_b64 s[12:13], s[12:13], s[16:17]
	v_mov_b32_e32 v5, v1
	s_branch .LBB12_165
.LBB12_168:
	s_or_b64 exec, exec, s[4:5]
	s_and_b64 s[0:1], vcc, s[22:23]
	s_and_saveexec_b64 s[2:3], s[0:1]
	s_cbranch_execz .LBB12_173
; %bb.169:
	v_mov_b32_e32 v0, 0
	s_waitcnt lgkmcnt(0)
	global_load_dword v3, v0, s[26:27] glc
	s_brev_b32 s0, 1
	v_cmp_eq_f32_e32 vcc, 0, v2
	s_mov_b64 s[2:3], 0
                                        ; implicit-def: $sgpr4_sgpr5
                                        ; implicit-def: $sgpr8_sgpr9
	s_waitcnt vmcnt(0)
	v_cmp_eq_u32_e64 s[6:7], s0, v3
	s_branch .LBB12_171
.LBB12_170:                             ;   in Loop: Header=BB12_171 Depth=1
	s_or_b64 exec, exec, s[10:11]
	s_and_b64 s[0:1], exec, s[4:5]
	s_or_b64 s[2:3], s[0:1], s[2:3]
	s_andn2_b64 s[0:1], s[6:7], exec
	s_and_b64 s[6:7], s[8:9], exec
	s_or_b64 s[6:7], s[0:1], s[6:7]
	s_andn2_b64 exec, exec, s[2:3]
	s_cbranch_execz .LBB12_173
.LBB12_171:                             ; =>This Inner Loop Header: Depth=1
	v_cmp_lt_f32_e64 s[0:1], v3, v2
	s_and_b64 s[10:11], vcc, s[6:7]
	s_or_b64 s[0:1], s[0:1], s[10:11]
	s_andn2_b64 s[8:9], s[8:9], exec
	s_or_b64 s[4:5], s[4:5], exec
	s_and_saveexec_b64 s[10:11], s[0:1]
	s_cbranch_execz .LBB12_170
; %bb.172:                              ;   in Loop: Header=BB12_171 Depth=1
	global_atomic_cmpswap v1, v0, v[2:3], s[26:27] glc
	s_andn2_b64 s[8:9], s[8:9], exec
	s_andn2_b64 s[4:5], s[4:5], exec
                                        ; implicit-def: $sgpr6_sgpr7
	s_waitcnt vmcnt(0)
	v_cmp_eq_u32_e64 s[0:1], v1, v3
	v_cndmask_b32_e64 v3, v1, v3, s[0:1]
	v_cmp_class_f32_e64 s[12:13], v3, 32
	s_and_b64 s[0:1], s[0:1], exec
	s_and_b64 s[12:13], s[12:13], exec
	s_or_b64 s[4:5], s[4:5], s[0:1]
	s_or_b64 s[8:9], s[8:9], s[12:13]
	v_mov_b32_e32 v3, v1
	s_branch .LBB12_170
.LBB12_173:
	s_endpgm
	.section	.rodata,"a",@progbits
	.p2align	6, 0x0
	.amdhsa_kernel _ZN9rocsparseL6kernelILi1024ELi32EfiiEEvbbbT3_PS1_NS_15floating_traitsIT1_E6data_tES1_T2_PKS7_S9_PKS1_PKS4_21rocsparse_index_base_S9_S9_SB_PS4_SF_SE_S9_S9_SB_SF_SF_SE_SF_SF_PS6_SG_PKS6_
		.amdhsa_group_segment_fixed_size 256
		.amdhsa_private_segment_fixed_size 0
		.amdhsa_kernarg_size 208
		.amdhsa_user_sgpr_count 6
		.amdhsa_user_sgpr_private_segment_buffer 1
		.amdhsa_user_sgpr_dispatch_ptr 0
		.amdhsa_user_sgpr_queue_ptr 0
		.amdhsa_user_sgpr_kernarg_segment_ptr 1
		.amdhsa_user_sgpr_dispatch_id 0
		.amdhsa_user_sgpr_flat_scratch_init 0
		.amdhsa_user_sgpr_kernarg_preload_length 0
		.amdhsa_user_sgpr_kernarg_preload_offset 0
		.amdhsa_user_sgpr_private_segment_size 0
		.amdhsa_uses_dynamic_stack 0
		.amdhsa_system_sgpr_private_segment_wavefront_offset 0
		.amdhsa_system_sgpr_workgroup_id_x 1
		.amdhsa_system_sgpr_workgroup_id_y 0
		.amdhsa_system_sgpr_workgroup_id_z 0
		.amdhsa_system_sgpr_workgroup_info 0
		.amdhsa_system_vgpr_workitem_id 0
		.amdhsa_next_free_vgpr 49
		.amdhsa_next_free_sgpr 96
		.amdhsa_accum_offset 52
		.amdhsa_reserve_vcc 1
		.amdhsa_reserve_flat_scratch 0
		.amdhsa_float_round_mode_32 0
		.amdhsa_float_round_mode_16_64 0
		.amdhsa_float_denorm_mode_32 3
		.amdhsa_float_denorm_mode_16_64 3
		.amdhsa_dx10_clamp 1
		.amdhsa_ieee_mode 1
		.amdhsa_fp16_overflow 0
		.amdhsa_tg_split 0
		.amdhsa_exception_fp_ieee_invalid_op 0
		.amdhsa_exception_fp_denorm_src 0
		.amdhsa_exception_fp_ieee_div_zero 0
		.amdhsa_exception_fp_ieee_overflow 0
		.amdhsa_exception_fp_ieee_underflow 0
		.amdhsa_exception_fp_ieee_inexact 0
		.amdhsa_exception_int_div_zero 0
	.end_amdhsa_kernel
	.section	.text._ZN9rocsparseL6kernelILi1024ELi32EfiiEEvbbbT3_PS1_NS_15floating_traitsIT1_E6data_tES1_T2_PKS7_S9_PKS1_PKS4_21rocsparse_index_base_S9_S9_SB_PS4_SF_SE_S9_S9_SB_SF_SF_SE_SF_SF_PS6_SG_PKS6_,"axG",@progbits,_ZN9rocsparseL6kernelILi1024ELi32EfiiEEvbbbT3_PS1_NS_15floating_traitsIT1_E6data_tES1_T2_PKS7_S9_PKS1_PKS4_21rocsparse_index_base_S9_S9_SB_PS4_SF_SE_S9_S9_SB_SF_SF_SE_SF_SF_PS6_SG_PKS6_,comdat
.Lfunc_end12:
	.size	_ZN9rocsparseL6kernelILi1024ELi32EfiiEEvbbbT3_PS1_NS_15floating_traitsIT1_E6data_tES1_T2_PKS7_S9_PKS1_PKS4_21rocsparse_index_base_S9_S9_SB_PS4_SF_SE_S9_S9_SB_SF_SF_SE_SF_SF_PS6_SG_PKS6_, .Lfunc_end12-_ZN9rocsparseL6kernelILi1024ELi32EfiiEEvbbbT3_PS1_NS_15floating_traitsIT1_E6data_tES1_T2_PKS7_S9_PKS1_PKS4_21rocsparse_index_base_S9_S9_SB_PS4_SF_SE_S9_S9_SB_SF_SF_SE_SF_SF_PS6_SG_PKS6_
                                        ; -- End function
	.section	.AMDGPU.csdata,"",@progbits
; Kernel info:
; codeLenInByte = 5596
; NumSgprs: 100
; NumVgprs: 49
; NumAgprs: 0
; TotalNumVgprs: 49
; ScratchSize: 0
; MemoryBound: 0
; FloatMode: 240
; IeeeMode: 1
; LDSByteSize: 256 bytes/workgroup (compile time only)
; SGPRBlocks: 12
; VGPRBlocks: 6
; NumSGPRsForWavesPerEU: 100
; NumVGPRsForWavesPerEU: 49
; AccumOffset: 52
; Occupancy: 8
; WaveLimiterHint : 1
; COMPUTE_PGM_RSRC2:SCRATCH_EN: 0
; COMPUTE_PGM_RSRC2:USER_SGPR: 6
; COMPUTE_PGM_RSRC2:TRAP_HANDLER: 0
; COMPUTE_PGM_RSRC2:TGID_X_EN: 1
; COMPUTE_PGM_RSRC2:TGID_Y_EN: 0
; COMPUTE_PGM_RSRC2:TGID_Z_EN: 0
; COMPUTE_PGM_RSRC2:TIDIG_COMP_CNT: 0
; COMPUTE_PGM_RSRC3_GFX90A:ACCUM_OFFSET: 12
; COMPUTE_PGM_RSRC3_GFX90A:TG_SPLIT: 0
	.section	.text._ZN9rocsparseL6kernelILi1024ELi64EfiiEEvbbbT3_PS1_NS_15floating_traitsIT1_E6data_tES1_T2_PKS7_S9_PKS1_PKS4_21rocsparse_index_base_S9_S9_SB_PS4_SF_SE_S9_S9_SB_SF_SF_SE_SF_SF_PS6_SG_PKS6_,"axG",@progbits,_ZN9rocsparseL6kernelILi1024ELi64EfiiEEvbbbT3_PS1_NS_15floating_traitsIT1_E6data_tES1_T2_PKS7_S9_PKS1_PKS4_21rocsparse_index_base_S9_S9_SB_PS4_SF_SE_S9_S9_SB_SF_SF_SE_SF_SF_PS6_SG_PKS6_,comdat
	.globl	_ZN9rocsparseL6kernelILi1024ELi64EfiiEEvbbbT3_PS1_NS_15floating_traitsIT1_E6data_tES1_T2_PKS7_S9_PKS1_PKS4_21rocsparse_index_base_S9_S9_SB_PS4_SF_SE_S9_S9_SB_SF_SF_SE_SF_SF_PS6_SG_PKS6_ ; -- Begin function _ZN9rocsparseL6kernelILi1024ELi64EfiiEEvbbbT3_PS1_NS_15floating_traitsIT1_E6data_tES1_T2_PKS7_S9_PKS1_PKS4_21rocsparse_index_base_S9_S9_SB_PS4_SF_SE_S9_S9_SB_SF_SF_SE_SF_SF_PS6_SG_PKS6_
	.p2align	8
	.type	_ZN9rocsparseL6kernelILi1024ELi64EfiiEEvbbbT3_PS1_NS_15floating_traitsIT1_E6data_tES1_T2_PKS7_S9_PKS1_PKS4_21rocsparse_index_base_S9_S9_SB_PS4_SF_SE_S9_S9_SB_SF_SF_SE_SF_SF_PS6_SG_PKS6_,@function
_ZN9rocsparseL6kernelILi1024ELi64EfiiEEvbbbT3_PS1_NS_15floating_traitsIT1_E6data_tES1_T2_PKS7_S9_PKS1_PKS4_21rocsparse_index_base_S9_S9_SB_PS4_SF_SE_S9_S9_SB_SF_SF_SE_SF_SF_PS6_SG_PKS6_: ; @_ZN9rocsparseL6kernelILi1024ELi64EfiiEEvbbbT3_PS1_NS_15floating_traitsIT1_E6data_tES1_T2_PKS7_S9_PKS1_PKS4_21rocsparse_index_base_S9_S9_SB_PS4_SF_SE_S9_S9_SB_SF_SF_SE_SF_SF_PS6_SG_PKS6_
; %bb.0:
	s_load_dword s0, s[4:5], 0x0
	s_load_dwordx2 s[60:61], s[4:5], 0x0
	s_load_dwordx2 s[62:63], s[4:5], 0x10
	s_load_dwordx4 s[20:23], s[4:5], 0xb8
	v_lshrrev_b32_e32 v3, 6, v0
	s_waitcnt lgkmcnt(0)
	s_bitcmp1_b32 s0, 0
	s_cselect_b64 s[58:59], -1, 0
	s_bitcmp1_b32 s0, 8
	s_cselect_b64 s[56:57], -1, 0
	;; [unrolled: 2-line block ×3, first 2 shown]
	s_lshl_b32 s66, s6, 10
	v_or_b32_e32 v28, s66, v3
	s_cmp_gt_i32 s61, 0
	v_cmp_gt_i32_e32 vcc, s63, v28
	s_cselect_b64 s[0:1], -1, 0
	v_and_b32_e32 v5, 63, v0
	v_lshlrev_b32_e32 v1, 2, v0
	v_mov_b32_e32 v2, 0
	s_and_b64 s[0:1], s[0:1], vcc
	s_mov_b32 s30, 0
	v_mov_b32_e32 v4, 0
	v_mov_b32_e32 v6, 0
	ds_write_b32 v1, v2
	s_waitcnt lgkmcnt(0)
	s_barrier
	s_and_saveexec_b64 s[2:3], s[0:1]
	s_cbranch_execnz .LBB13_3
; %bb.1:
	s_or_b64 exec, exec, s[2:3]
	s_andn2_b64 vcc, exec, s[58:59]
	s_cbranch_vccz .LBB13_144
.LBB13_2:
	v_cmp_eq_u32_e32 vcc, 0, v0
	s_and_b64 s[0:1], vcc, s[56:57]
	s_and_saveexec_b64 s[4:5], s[0:1]
	s_cbranch_execnz .LBB13_158
	s_branch .LBB13_162
.LBB13_3:
	s_load_dwordx4 s[52:55], s[4:5], 0xa8
	s_load_dwordx8 s[20:27], s[4:5], 0x78
	s_load_dwordx8 s[36:43], s[4:5], 0x48
	;; [unrolled: 1-line block ×3, first 2 shown]
                                        ; implicit-def: $vgpr48 : SGPR spill to VGPR lane
	s_load_dword s31, s[4:5], 0x40
	s_load_dwordx2 s[70:71], s[4:5], 0x68
	s_load_dword s33, s[4:5], 0x70
	s_load_dwordx2 s[72:73], s[4:5], 0x98
	s_load_dword s60, s[4:5], 0xa0
	v_writelane_b32 v48, s2, 0
	v_writelane_b32 v48, s3, 1
	s_xor_b64 s[0:1], s[56:57], -1
	v_writelane_b32 v48, s0, 2
	s_and_b64 s[16:17], s[56:57], s[34:35]
	v_writelane_b32 v48, s1, 3
	s_addk_i32 s66, 0x400
	s_xor_b64 s[16:17], s[16:17], -1
	v_not_b32_e32 v2, v5
	v_or_b32_e32 v4, 64, v5
	s_waitcnt lgkmcnt(0)
	v_subrev_u32_e32 v29, s31, v5
	v_cmp_gt_u32_e64 s[0:1], s66, v28
	v_cmp_eq_u32_e64 s[2:3], 63, v5
	v_lshlrev_b32_e32 v30, 2, v3
	v_cmp_gt_u32_e64 s[6:7], 8, v0
	v_cmp_gt_u32_e64 s[8:9], 4, v0
	;; [unrolled: 1-line block ×3, first 2 shown]
	v_cmp_eq_u32_e64 s[12:13], 0, v0
	v_subrev_u32_e32 v31, s33, v5
	v_subrev_u32_e32 v32, s60, v5
	v_cmp_eq_u32_e64 s[14:15], 0, v5
	v_writelane_b32 v48, s16, 4
	v_add_u32_e32 v33, s60, v2
	v_subrev_u32_e32 v34, s60, v4
	v_add_u32_e32 v35, s33, v2
	v_subrev_u32_e32 v36, s33, v4
	s_mov_b64 s[76:77], 0
	v_mov_b32_e32 v7, 0
	s_movk_i32 s67, 0x1f8
	v_mov_b32_e32 v37, 0
	v_mov_b32_e32 v4, 0
	;; [unrolled: 1-line block ×3, first 2 shown]
	v_writelane_b32 v48, s17, 5
	s_branch .LBB13_5
.LBB13_4:                               ;   in Loop: Header=BB13_5 Depth=1
	s_or_b64 exec, exec, s[28:29]
	s_and_b64 s[16:17], exec, s[18:19]
	s_or_b64 s[76:77], s[16:17], s[76:77]
	s_andn2_b64 exec, exec, s[76:77]
	s_cbranch_execz .LBB13_143
.LBB13_5:                               ; =>This Loop Header: Depth=1
                                        ;     Child Loop BB13_9 Depth 2
                                        ;       Child Loop BB13_14 Depth 3
                                        ;         Child Loop BB13_18 Depth 4
                                        ;         Child Loop BB13_39 Depth 4
	;; [unrolled: 1-line block ×5, first 2 shown]
                                        ;     Child Loop BB13_112 Depth 2
                                        ;       Child Loop BB13_116 Depth 3
                                        ;       Child Loop BB13_120 Depth 3
	;; [unrolled: 1-line block ×4, first 2 shown]
	v_cndmask_b32_e64 v4, v4, 0, s[56:57]
	v_cndmask_b32_e64 v2, v2, 0, s[34:35]
	s_mov_b32 s74, 0
	s_branch .LBB13_9
.LBB13_6:                               ;   in Loop: Header=BB13_9 Depth=2
	s_or_b64 exec, exec, s[82:83]
.LBB13_7:                               ;   in Loop: Header=BB13_9 Depth=2
	s_or_b64 exec, exec, s[80:81]
.LBB13_8:                               ;   in Loop: Header=BB13_9 Depth=2
	s_or_b64 exec, exec, s[78:79]
	s_add_i32 s74, s74, 1
	s_cmp_eq_u32 s74, 64
	s_cbranch_scc1 .LBB13_85
.LBB13_9:                               ;   Parent Loop BB13_5 Depth=1
                                        ; =>  This Loop Header: Depth=2
                                        ;       Child Loop BB13_14 Depth 3
                                        ;         Child Loop BB13_18 Depth 4
                                        ;         Child Loop BB13_39 Depth 4
	;; [unrolled: 1-line block ×5, first 2 shown]
	v_lshl_add_u32 v8, s74, 4, v28
	v_cmp_gt_i32_e32 vcc, s63, v8
	s_and_saveexec_b64 s[78:79], vcc
	s_cbranch_execz .LBB13_8
; %bb.10:                               ;   in Loop: Header=BB13_9 Depth=2
	v_ashrrev_i32_e32 v9, 31, v8
	v_lshlrev_b64 v[12:13], 2, v[8:9]
	v_mov_b32_e32 v6, s45
	v_add_co_u32_e32 v10, vcc, s44, v12
	v_addc_co_u32_e32 v11, vcc, v6, v13, vcc
	global_load_dword v6, v[10:11], off
	v_mov_b32_e32 v9, s47
	v_add_co_u32_e32 v10, vcc, s46, v12
	v_addc_co_u32_e32 v11, vcc, v9, v13, vcc
	global_load_dword v9, v[10:11], off
	s_waitcnt vmcnt(1)
	v_add_u32_e32 v10, v29, v6
	s_waitcnt vmcnt(0)
	v_subrev_u32_e32 v9, s31, v9
	v_cmp_lt_i32_e32 vcc, v10, v9
	s_and_saveexec_b64 s[80:81], vcc
	s_cbranch_execz .LBB13_7
; %bb.11:                               ;   in Loop: Header=BB13_9 Depth=2
	v_mov_b32_e32 v6, s39
	v_add_co_u32_e32 v14, vcc, s38, v12
	v_addc_co_u32_e32 v15, vcc, v6, v13, vcc
	v_mov_b32_e32 v6, s37
	v_add_co_u32_e32 v12, vcc, s36, v12
	v_addc_co_u32_e32 v13, vcc, v6, v13, vcc
	global_load_dword v6, v[12:13], off
	global_load_dword v11, v[14:15], off
	v_mov_b32_e32 v16, s41
	v_mov_b32_e32 v17, s43
	s_mov_b64 s[82:83], 0
	s_waitcnt vmcnt(1)
	v_subrev_u32_e32 v12, s33, v6
	v_ashrrev_i32_e32 v13, 31, v12
	v_lshlrev_b64 v[14:15], 2, v[12:13]
	v_add_co_u32_e32 v13, vcc, s40, v14
	v_addc_co_u32_e32 v39, vcc, v16, v15, vcc
	s_waitcnt vmcnt(0)
	v_sub_u32_e32 v38, v11, v6
	v_add_co_u32_e32 v40, vcc, s42, v14
	v_cmp_lt_i32_e64 s[16:17], 0, v38
	v_addc_co_u32_e32 v41, vcc, v17, v15, vcc
	s_branch .LBB13_14
.LBB13_12:                              ;   in Loop: Header=BB13_14 Depth=3
	s_or_b64 exec, exec, s[28:29]
.LBB13_13:                              ;   in Loop: Header=BB13_14 Depth=3
	s_or_b64 exec, exec, s[18:19]
	v_add_u32_e32 v10, 64, v10
	v_cmp_ge_i32_e32 vcc, v10, v9
	s_or_b64 s[82:83], vcc, s[82:83]
	s_andn2_b64 exec, exec, s[82:83]
	s_cbranch_execz .LBB13_6
.LBB13_14:                              ;   Parent Loop BB13_5 Depth=1
                                        ;     Parent Loop BB13_9 Depth=2
                                        ; =>    This Loop Header: Depth=3
                                        ;         Child Loop BB13_18 Depth 4
                                        ;         Child Loop BB13_39 Depth 4
	;; [unrolled: 1-line block ×5, first 2 shown]
	v_ashrrev_i32_e32 v11, 31, v10
	v_lshlrev_b64 v[22:23], 2, v[10:11]
	v_mov_b32_e32 v6, s49
	v_add_co_u32_e32 v14, vcc, s48, v22
	v_addc_co_u32_e32 v15, vcc, v6, v23, vcc
	global_load_dword v6, v[14:15], off
	v_mov_b32_e32 v11, s21
	v_mov_b32_e32 v21, s23
	s_waitcnt vmcnt(0)
	v_subrev_u32_e32 v16, s31, v6
	v_ashrrev_i32_e32 v17, 31, v16
	v_lshlrev_b64 v[14:15], 2, v[16:17]
	v_add_co_u32_e32 v18, vcc, s20, v14
	v_addc_co_u32_e32 v19, vcc, v11, v15, vcc
	v_add_co_u32_e32 v20, vcc, s22, v14
	v_addc_co_u32_e32 v21, vcc, v21, v15, vcc
	global_load_dword v6, v[18:19], off
	global_load_dword v17, v[20:21], off
	v_mov_b32_e32 v11, 0
	v_mov_b32_e32 v20, 0
	s_waitcnt vmcnt(1)
	v_subrev_u32_e32 v18, s60, v6
	s_waitcnt vmcnt(0)
	v_sub_u32_e32 v42, v17, v6
	v_mov_b32_e32 v6, 0
	s_and_saveexec_b64 s[18:19], s[16:17]
	s_cbranch_execz .LBB13_22
; %bb.15:                               ;   in Loop: Header=BB13_14 Depth=3
	v_ashrrev_i32_e32 v19, 31, v18
	v_lshlrev_b64 v[20:21], 2, v[18:19]
	v_mov_b32_e32 v6, s25
	v_add_co_u32_e32 v17, vcc, s24, v20
	v_addc_co_u32_e32 v19, vcc, v6, v21, vcc
	v_mov_b32_e32 v6, s27
	v_add_co_u32_e32 v43, vcc, s26, v20
	v_addc_co_u32_e32 v44, vcc, v6, v21, vcc
	v_mov_b32_e32 v6, 0
	s_mov_b64 s[84:85], 0
	v_mov_b32_e32 v11, 0
	v_mov_b32_e32 v20, v6
                                        ; implicit-def: $sgpr86_sgpr87
	s_branch .LBB13_18
.LBB13_16:                              ;   in Loop: Header=BB13_18 Depth=4
	s_or_b64 exec, exec, s[68:69]
	v_cmp_le_i32_e32 vcc, v21, v45
	v_addc_co_u32_e32 v6, vcc, 0, v6, vcc
	v_cmp_ge_i32_e32 vcc, v21, v45
	v_addc_co_u32_e32 v20, vcc, 0, v20, vcc
	v_cmp_ge_i32_e32 vcc, v6, v38
	s_andn2_b64 s[28:29], s[86:87], exec
	s_and_b64 s[68:69], vcc, exec
	s_or_b64 s[86:87], s[28:29], s[68:69]
.LBB13_17:                              ;   in Loop: Header=BB13_18 Depth=4
	s_or_b64 exec, exec, s[64:65]
	s_and_b64 s[28:29], exec, s[86:87]
	s_or_b64 s[84:85], s[28:29], s[84:85]
	s_andn2_b64 exec, exec, s[84:85]
	s_cbranch_execz .LBB13_21
.LBB13_18:                              ;   Parent Loop BB13_5 Depth=1
                                        ;     Parent Loop BB13_9 Depth=2
                                        ;       Parent Loop BB13_14 Depth=3
                                        ; =>      This Inner Loop Header: Depth=4
	v_cmp_lt_i32_e32 vcc, v20, v42
	s_or_b64 s[86:87], s[86:87], exec
	s_and_saveexec_b64 s[64:65], vcc
	s_cbranch_execz .LBB13_17
; %bb.19:                               ;   in Loop: Header=BB13_18 Depth=4
	v_lshlrev_b64 v[24:25], 2, v[6:7]
	v_add_co_u32_e32 v26, vcc, v13, v24
	v_addc_co_u32_e32 v27, vcc, v39, v25, vcc
	v_mov_b32_e32 v21, v7
	global_load_dword v45, v[26:27], off
	v_lshlrev_b64 v[26:27], 2, v[20:21]
	v_add_co_u32_e32 v46, vcc, v17, v26
	v_addc_co_u32_e32 v47, vcc, v19, v27, vcc
	global_load_dword v46, v[46:47], off
	s_waitcnt vmcnt(1)
	v_subrev_u32_e32 v21, s33, v45
	s_waitcnt vmcnt(0)
	v_subrev_u32_e32 v45, s60, v46
	v_cmp_eq_u32_e32 vcc, v21, v45
	s_and_saveexec_b64 s[68:69], vcc
	s_cbranch_execz .LBB13_16
; %bb.20:                               ;   in Loop: Header=BB13_18 Depth=4
	v_add_co_u32_e32 v24, vcc, v40, v24
	v_addc_co_u32_e32 v25, vcc, v41, v25, vcc
	v_add_co_u32_e32 v26, vcc, v43, v26
	v_addc_co_u32_e32 v27, vcc, v44, v27, vcc
	global_load_dword v24, v[24:25], off
	s_nop 0
	global_load_dword v25, v[26:27], off
	s_waitcnt vmcnt(0)
	v_fmac_f32_e32 v11, v24, v25
	s_branch .LBB13_16
.LBB13_21:                              ;   in Loop: Header=BB13_14 Depth=3
	s_or_b64 exec, exec, s[84:85]
.LBB13_22:                              ;   in Loop: Header=BB13_14 Depth=3
	s_or_b64 exec, exec, s[18:19]
	v_mov_b32_e32 v17, s51
	v_add_co_u32_e32 v22, vcc, s50, v22
	v_addc_co_u32_e32 v23, vcc, v17, v23, vcc
	global_load_dword v17, v[22:23], off
	v_cmp_le_i32_e64 s[18:19], v8, v16
	v_cmp_gt_i32_e32 vcc, v8, v16
	s_waitcnt vmcnt(0)
	v_sub_f32_e32 v19, v17, v11
	s_and_saveexec_b64 s[64:65], vcc
	s_cbranch_execnz .LBB13_25
; %bb.23:                               ;   in Loop: Header=BB13_14 Depth=3
	s_or_b64 exec, exec, s[64:65]
	v_cmp_class_f32_e64 s[84:85], v19, s67
	s_and_saveexec_b64 s[86:87], s[84:85]
	s_cbranch_execnz .LBB13_28
.LBB13_24:                              ;   in Loop: Header=BB13_14 Depth=3
	s_or_b64 exec, exec, s[86:87]
	s_and_b64 s[28:29], s[84:85], s[34:35]
	s_and_saveexec_b64 s[18:19], s[28:29]
	s_cbranch_execz .LBB13_13
	s_branch .LBB13_63
.LBB13_25:                              ;   in Loop: Header=BB13_14 Depth=3
	v_mov_b32_e32 v21, s53
	v_add_co_u32_e32 v22, vcc, s52, v14
	v_addc_co_u32_e32 v23, vcc, v21, v15, vcc
	global_load_dword v21, v[22:23], off
	v_mov_b32_e32 v22, 0
	s_waitcnt vmcnt(0)
	v_cmp_lg_f32_e32 vcc, 0, v21
	s_and_saveexec_b64 s[68:69], vcc
; %bb.26:                               ;   in Loop: Header=BB13_14 Depth=3
	v_div_scale_f32 v22, s[28:29], v21, v21, v19
	v_rcp_f32_e32 v23, v22
	v_div_scale_f32 v24, vcc, v19, v21, v19
	v_fma_f32 v25, -v22, v23, 1.0
	v_fmac_f32_e32 v23, v25, v23
	v_mul_f32_e32 v25, v24, v23
	v_fma_f32 v26, -v22, v25, v24
	v_fmac_f32_e32 v25, v26, v23
	v_fma_f32 v22, -v22, v25, v24
	v_div_fmas_f32 v22, v22, v23, v25
	v_div_fixup_f32 v22, v22, v21, v19
; %bb.27:                               ;   in Loop: Header=BB13_14 Depth=3
	s_or_b64 exec, exec, s[68:69]
	v_mov_b32_e32 v19, v22
	s_or_b64 exec, exec, s[64:65]
	v_cmp_class_f32_e64 s[84:85], v19, s67
	s_and_saveexec_b64 s[86:87], s[84:85]
	s_cbranch_execz .LBB13_24
.LBB13_28:                              ;   in Loop: Header=BB13_14 Depth=3
	s_and_saveexec_b64 s[28:29], s[18:19]
	s_xor_b64 s[18:19], exec, s[28:29]
	s_cbranch_execz .LBB13_49
; %bb.29:                               ;   in Loop: Header=BB13_14 Depth=3
	v_cmp_ge_i32_e32 vcc, v8, v16
	s_and_saveexec_b64 s[28:29], vcc
	s_xor_b64 s[64:65], exec, s[28:29]
	s_cbranch_execz .LBB13_35
; %bb.30:                               ;   in Loop: Header=BB13_14 Depth=3
	v_mov_b32_e32 v21, s55
	v_add_co_u32_e32 v22, vcc, s54, v14
	v_addc_co_u32_e32 v23, vcc, v21, v15, vcc
	s_andn2_b64 vcc, exec, s[56:57]
	global_store_dword v[22:23], v19, off
	s_cbranch_vccnz .LBB13_34
; %bb.31:                               ;   in Loop: Header=BB13_14 Depth=3
	v_mov_b32_e32 v21, s53
	v_add_co_u32_e32 v22, vcc, s52, v14
	v_addc_co_u32_e32 v23, vcc, v21, v15, vcc
	global_load_dword v21, v[22:23], off
	s_waitcnt vmcnt(0)
	v_sub_f32_e32 v19, v21, v19
	v_cmp_class_f32_e64 s[68:69], v19, s67
	s_and_saveexec_b64 s[28:29], s[68:69]
; %bb.32:                               ;   in Loop: Header=BB13_14 Depth=3
	v_cmp_lt_f32_e64 s[68:69], v4, |v19|
	v_cndmask_b32_e64 v4, v4, |v19|, s[68:69]
; %bb.33:                               ;   in Loop: Header=BB13_14 Depth=3
	s_or_b64 exec, exec, s[28:29]
.LBB13_34:                              ;   in Loop: Header=BB13_14 Depth=3
                                        ; implicit-def: $vgpr19
.LBB13_35:                              ;   in Loop: Header=BB13_14 Depth=3
	s_andn2_saveexec_b64 s[88:89], s[64:65]
	s_cbranch_execz .LBB13_48
; %bb.36:                               ;   in Loop: Header=BB13_14 Depth=3
	v_cmp_lt_i32_e32 vcc, v20, v42
	s_and_saveexec_b64 s[90:91], vcc
	s_cbranch_execz .LBB13_47
; %bb.37:                               ;   in Loop: Header=BB13_14 Depth=3
	s_mov_b64 s[92:93], 0
	v_mov_b32_e32 v21, v20
                                        ; implicit-def: $sgpr94_sgpr95
                                        ; implicit-def: $sgpr68_sgpr69
                                        ; implicit-def: $sgpr64_sgpr65
	s_branch .LBB13_39
.LBB13_38:                              ;   in Loop: Header=BB13_39 Depth=4
	s_or_b64 exec, exec, s[28:29]
	s_and_b64 s[28:29], exec, s[68:69]
	s_or_b64 s[92:93], s[28:29], s[92:93]
	s_andn2_b64 s[28:29], s[94:95], exec
	s_and_b64 s[94:95], s[64:65], exec
	s_or_b64 s[94:95], s[28:29], s[94:95]
	s_andn2_b64 exec, exec, s[92:93]
	s_cbranch_execz .LBB13_41
.LBB13_39:                              ;   Parent Loop BB13_5 Depth=1
                                        ;     Parent Loop BB13_9 Depth=2
                                        ;       Parent Loop BB13_14 Depth=3
                                        ; =>      This Inner Loop Header: Depth=4
	v_add_u32_e32 v22, v18, v21
	v_ashrrev_i32_e32 v23, 31, v22
	v_lshlrev_b64 v[22:23], 2, v[22:23]
	v_mov_b32_e32 v25, s25
	v_add_co_u32_e32 v24, vcc, s24, v22
	v_addc_co_u32_e32 v25, vcc, v25, v23, vcc
	global_load_dword v24, v[24:25], off
	s_or_b64 s[64:65], s[64:65], exec
	s_or_b64 s[68:69], s[68:69], exec
	s_waitcnt vmcnt(0)
	v_subrev_u32_e32 v24, s60, v24
	v_cmp_ne_u32_e32 vcc, v24, v8
	s_and_saveexec_b64 s[28:29], vcc
	s_cbranch_execz .LBB13_38
; %bb.40:                               ;   in Loop: Header=BB13_39 Depth=4
	v_add_u32_e32 v21, 1, v21
	v_cmp_ge_i32_e32 vcc, v21, v42
	s_andn2_b64 s[68:69], s[68:69], exec
	s_and_b64 vcc, vcc, exec
	s_andn2_b64 s[64:65], s[64:65], exec
	s_or_b64 s[68:69], s[68:69], vcc
	s_branch .LBB13_38
.LBB13_41:                              ;   in Loop: Header=BB13_14 Depth=3
	s_or_b64 exec, exec, s[92:93]
	s_and_saveexec_b64 s[28:29], s[94:95]
	s_xor_b64 s[64:65], exec, s[28:29]
	s_cbranch_execz .LBB13_46
; %bb.42:                               ;   in Loop: Header=BB13_14 Depth=3
	v_mov_b32_e32 v21, s73
	v_add_co_u32_e32 v24, vcc, s72, v22
	v_addc_co_u32_e32 v25, vcc, v21, v23, vcc
	s_andn2_b64 vcc, exec, s[56:57]
	global_store_dword v[24:25], v19, off
	s_cbranch_vccnz .LBB13_46
; %bb.43:                               ;   in Loop: Header=BB13_14 Depth=3
	v_mov_b32_e32 v21, s27
	v_add_co_u32_e32 v22, vcc, s26, v22
	v_addc_co_u32_e32 v23, vcc, v21, v23, vcc
	global_load_dword v21, v[22:23], off
	s_waitcnt vmcnt(0)
	v_sub_f32_e32 v19, v21, v19
	v_cmp_class_f32_e64 s[68:69], v19, s67
	s_and_saveexec_b64 s[28:29], s[68:69]
; %bb.44:                               ;   in Loop: Header=BB13_14 Depth=3
	v_cmp_lt_f32_e64 s[68:69], v4, |v19|
	v_cndmask_b32_e64 v4, v4, |v19|, s[68:69]
; %bb.45:                               ;   in Loop: Header=BB13_14 Depth=3
	s_or_b64 exec, exec, s[28:29]
.LBB13_46:                              ;   in Loop: Header=BB13_14 Depth=3
	s_or_b64 exec, exec, s[64:65]
.LBB13_47:                              ;   in Loop: Header=BB13_14 Depth=3
	s_or_b64 exec, exec, s[90:91]
.LBB13_48:                              ;   in Loop: Header=BB13_14 Depth=3
	s_or_b64 exec, exec, s[88:89]
                                        ; implicit-def: $vgpr19
.LBB13_49:                              ;   in Loop: Header=BB13_14 Depth=3
	s_andn2_saveexec_b64 s[18:19], s[18:19]
	s_cbranch_execz .LBB13_62
; %bb.50:                               ;   in Loop: Header=BB13_14 Depth=3
	v_cmp_lt_i32_e32 vcc, v6, v38
	s_and_saveexec_b64 s[88:89], vcc
	s_cbranch_execz .LBB13_61
; %bb.51:                               ;   in Loop: Header=BB13_14 Depth=3
	s_mov_b64 s[90:91], 0
	v_mov_b32_e32 v21, v6
                                        ; implicit-def: $sgpr92_sgpr93
                                        ; implicit-def: $sgpr68_sgpr69
                                        ; implicit-def: $sgpr64_sgpr65
	s_branch .LBB13_53
.LBB13_52:                              ;   in Loop: Header=BB13_53 Depth=4
	s_or_b64 exec, exec, s[94:95]
	s_and_b64 s[28:29], exec, s[68:69]
	s_or_b64 s[90:91], s[28:29], s[90:91]
	s_andn2_b64 s[28:29], s[92:93], exec
	s_and_b64 s[92:93], s[64:65], exec
	s_or_b64 s[92:93], s[28:29], s[92:93]
	s_andn2_b64 exec, exec, s[90:91]
	s_cbranch_execz .LBB13_55
.LBB13_53:                              ;   Parent Loop BB13_5 Depth=1
                                        ;     Parent Loop BB13_9 Depth=2
                                        ;       Parent Loop BB13_14 Depth=3
                                        ; =>      This Inner Loop Header: Depth=4
	v_add_u32_e32 v22, v12, v21
	v_ashrrev_i32_e32 v23, 31, v22
	v_lshlrev_b64 v[22:23], 2, v[22:23]
	v_mov_b32_e32 v25, s41
	v_add_co_u32_e32 v24, vcc, s40, v22
	v_addc_co_u32_e32 v25, vcc, v25, v23, vcc
	global_load_dword v24, v[24:25], off
	s_or_b64 s[64:65], s[64:65], exec
	s_or_b64 s[68:69], s[68:69], exec
	s_waitcnt vmcnt(0)
	v_subrev_u32_e32 v24, s33, v24
	v_cmp_ne_u32_e32 vcc, v24, v16
	s_and_saveexec_b64 s[94:95], vcc
	s_cbranch_execz .LBB13_52
; %bb.54:                               ;   in Loop: Header=BB13_53 Depth=4
	v_add_u32_e32 v21, 1, v21
	v_cmp_ge_i32_e32 vcc, v21, v38
	s_andn2_b64 s[28:29], s[68:69], exec
	s_and_b64 s[68:69], vcc, exec
	s_andn2_b64 s[64:65], s[64:65], exec
	s_or_b64 s[68:69], s[28:29], s[68:69]
	s_branch .LBB13_52
.LBB13_55:                              ;   in Loop: Header=BB13_14 Depth=3
	s_or_b64 exec, exec, s[90:91]
	s_and_saveexec_b64 s[28:29], s[92:93]
	s_xor_b64 s[64:65], exec, s[28:29]
	s_cbranch_execz .LBB13_60
; %bb.56:                               ;   in Loop: Header=BB13_14 Depth=3
	v_mov_b32_e32 v21, s71
	v_add_co_u32_e32 v24, vcc, s70, v22
	v_addc_co_u32_e32 v25, vcc, v21, v23, vcc
	s_andn2_b64 vcc, exec, s[56:57]
	global_store_dword v[24:25], v19, off
	s_cbranch_vccnz .LBB13_60
; %bb.57:                               ;   in Loop: Header=BB13_14 Depth=3
	v_mov_b32_e32 v21, s43
	v_add_co_u32_e32 v22, vcc, s42, v22
	v_addc_co_u32_e32 v23, vcc, v21, v23, vcc
	global_load_dword v21, v[22:23], off
	s_waitcnt vmcnt(0)
	v_sub_f32_e32 v19, v21, v19
	v_cmp_class_f32_e64 s[68:69], v19, s67
	s_and_saveexec_b64 s[28:29], s[68:69]
; %bb.58:                               ;   in Loop: Header=BB13_14 Depth=3
	v_cmp_lt_f32_e64 s[68:69], v4, |v19|
	v_cndmask_b32_e64 v4, v4, |v19|, s[68:69]
; %bb.59:                               ;   in Loop: Header=BB13_14 Depth=3
	s_or_b64 exec, exec, s[28:29]
.LBB13_60:                              ;   in Loop: Header=BB13_14 Depth=3
	s_or_b64 exec, exec, s[64:65]
.LBB13_61:                              ;   in Loop: Header=BB13_14 Depth=3
	s_or_b64 exec, exec, s[88:89]
.LBB13_62:                              ;   in Loop: Header=BB13_14 Depth=3
	s_or_b64 exec, exec, s[18:19]
	s_or_b64 exec, exec, s[86:87]
	s_and_b64 s[28:29], s[84:85], s[34:35]
	s_and_saveexec_b64 s[18:19], s[28:29]
	s_cbranch_execz .LBB13_13
.LBB13_63:                              ;   in Loop: Header=BB13_14 Depth=3
	v_cmp_ge_i32_e32 vcc, v20, v42
	s_and_saveexec_b64 s[28:29], vcc
	s_xor_b64 s[84:85], exec, s[28:29]
	s_cbranch_execnz .LBB13_69
; %bb.64:                               ;   in Loop: Header=BB13_14 Depth=3
	s_andn2_saveexec_b64 s[84:85], s[84:85]
	s_cbranch_execnz .LBB13_78
.LBB13_65:                              ;   in Loop: Header=BB13_14 Depth=3
	s_or_b64 exec, exec, s[84:85]
	v_cmp_eq_u32_e32 vcc, v8, v16
	s_and_saveexec_b64 s[28:29], vcc
	s_cbranch_execz .LBB13_67
.LBB13_66:                              ;   in Loop: Header=BB13_14 Depth=3
	v_mov_b32_e32 v6, s53
	v_add_co_u32_e32 v14, vcc, s52, v14
	v_addc_co_u32_e32 v15, vcc, v6, v15, vcc
	global_load_dword v6, v[14:15], off
	s_waitcnt vmcnt(0)
	v_add_f32_e32 v11, v11, v6
.LBB13_67:                              ;   in Loop: Header=BB13_14 Depth=3
	s_or_b64 exec, exec, s[28:29]
	v_sub_f32_e32 v6, v17, v11
	v_cmp_class_f32_e64 s[64:65], v6, s67
	s_and_saveexec_b64 s[28:29], s[64:65]
	s_cbranch_execz .LBB13_12
; %bb.68:                               ;   in Loop: Header=BB13_14 Depth=3
	v_cmp_lt_f32_e64 s[64:65], v2, |v6|
	v_cndmask_b32_e64 v2, v2, |v6|, s[64:65]
	s_branch .LBB13_12
.LBB13_69:                              ;   in Loop: Header=BB13_14 Depth=3
	v_cmp_lt_i32_e32 vcc, v6, v38
	s_and_saveexec_b64 s[86:87], vcc
	s_cbranch_execz .LBB13_77
; %bb.70:                               ;   in Loop: Header=BB13_14 Depth=3
	s_mov_b64 s[88:89], 0
                                        ; implicit-def: $sgpr90_sgpr91
                                        ; implicit-def: $sgpr68_sgpr69
                                        ; implicit-def: $sgpr64_sgpr65
	s_branch .LBB13_72
.LBB13_71:                              ;   in Loop: Header=BB13_72 Depth=4
	s_or_b64 exec, exec, s[28:29]
	s_and_b64 s[28:29], exec, s[68:69]
	s_or_b64 s[88:89], s[28:29], s[88:89]
	s_andn2_b64 s[28:29], s[90:91], exec
	s_and_b64 s[90:91], s[64:65], exec
	s_or_b64 s[90:91], s[28:29], s[90:91]
	s_andn2_b64 exec, exec, s[88:89]
	s_cbranch_execz .LBB13_74
.LBB13_72:                              ;   Parent Loop BB13_5 Depth=1
                                        ;     Parent Loop BB13_9 Depth=2
                                        ;       Parent Loop BB13_14 Depth=3
                                        ; =>      This Inner Loop Header: Depth=4
	v_add_u32_e32 v18, v12, v6
	v_ashrrev_i32_e32 v19, 31, v18
	v_lshlrev_b64 v[18:19], 2, v[18:19]
	v_mov_b32_e32 v21, s41
	v_add_co_u32_e32 v20, vcc, s40, v18
	v_addc_co_u32_e32 v21, vcc, v21, v19, vcc
	global_load_dword v20, v[20:21], off
	s_or_b64 s[64:65], s[64:65], exec
	s_or_b64 s[68:69], s[68:69], exec
	s_waitcnt vmcnt(0)
	v_subrev_u32_e32 v20, s33, v20
	v_cmp_ne_u32_e32 vcc, v20, v16
	s_and_saveexec_b64 s[28:29], vcc
	s_cbranch_execz .LBB13_71
; %bb.73:                               ;   in Loop: Header=BB13_72 Depth=4
	v_add_u32_e32 v6, 1, v6
	v_cmp_ge_i32_e32 vcc, v6, v38
	s_andn2_b64 s[68:69], s[68:69], exec
	s_and_b64 s[92:93], vcc, exec
	s_andn2_b64 s[64:65], s[64:65], exec
	s_or_b64 s[68:69], s[68:69], s[92:93]
	s_branch .LBB13_71
.LBB13_74:                              ;   in Loop: Header=BB13_14 Depth=3
	s_or_b64 exec, exec, s[88:89]
	s_and_saveexec_b64 s[28:29], s[90:91]
	s_xor_b64 s[64:65], exec, s[28:29]
	s_cbranch_execz .LBB13_76
; %bb.75:                               ;   in Loop: Header=BB13_14 Depth=3
	v_mov_b32_e32 v6, s43
	v_add_co_u32_e32 v18, vcc, s42, v18
	v_addc_co_u32_e32 v19, vcc, v6, v19, vcc
	global_load_dword v6, v[18:19], off
	v_mov_b32_e32 v19, s53
	v_add_co_u32_e32 v18, vcc, s52, v14
	v_addc_co_u32_e32 v19, vcc, v19, v15, vcc
	global_load_dword v18, v[18:19], off
	s_waitcnt vmcnt(0)
	v_fmac_f32_e32 v11, v6, v18
.LBB13_76:                              ;   in Loop: Header=BB13_14 Depth=3
	s_or_b64 exec, exec, s[64:65]
.LBB13_77:                              ;   in Loop: Header=BB13_14 Depth=3
	s_or_b64 exec, exec, s[86:87]
                                        ; implicit-def: $vgpr20
                                        ; implicit-def: $vgpr18
                                        ; implicit-def: $vgpr42
	s_andn2_saveexec_b64 s[84:85], s[84:85]
	s_cbranch_execz .LBB13_65
.LBB13_78:                              ;   in Loop: Header=BB13_14 Depth=3
	s_mov_b64 s[86:87], 0
                                        ; implicit-def: $sgpr88_sgpr89
                                        ; implicit-def: $sgpr68_sgpr69
                                        ; implicit-def: $sgpr64_sgpr65
	s_branch .LBB13_80
.LBB13_79:                              ;   in Loop: Header=BB13_80 Depth=4
	s_or_b64 exec, exec, s[28:29]
	s_and_b64 s[28:29], exec, s[68:69]
	s_or_b64 s[86:87], s[28:29], s[86:87]
	s_andn2_b64 s[28:29], s[88:89], exec
	s_and_b64 s[88:89], s[64:65], exec
	s_or_b64 s[88:89], s[28:29], s[88:89]
	s_andn2_b64 exec, exec, s[86:87]
	s_cbranch_execz .LBB13_82
.LBB13_80:                              ;   Parent Loop BB13_5 Depth=1
                                        ;     Parent Loop BB13_9 Depth=2
                                        ;       Parent Loop BB13_14 Depth=3
                                        ; =>      This Inner Loop Header: Depth=4
	v_add_u32_e32 v22, v18, v20
	v_ashrrev_i32_e32 v23, 31, v22
	v_lshlrev_b64 v[22:23], 2, v[22:23]
	v_mov_b32_e32 v6, s25
	v_add_co_u32_e32 v24, vcc, s24, v22
	v_addc_co_u32_e32 v25, vcc, v6, v23, vcc
	global_load_dword v6, v[24:25], off
	s_or_b64 s[64:65], s[64:65], exec
	s_or_b64 s[68:69], s[68:69], exec
	s_waitcnt vmcnt(0)
	v_subrev_u32_e32 v6, s60, v6
	v_cmp_ne_u32_e32 vcc, v6, v8
	s_and_saveexec_b64 s[28:29], vcc
	s_cbranch_execz .LBB13_79
; %bb.81:                               ;   in Loop: Header=BB13_80 Depth=4
	v_add_u32_e32 v20, 1, v20
	v_cmp_ge_i32_e32 vcc, v20, v42
	s_andn2_b64 s[68:69], s[68:69], exec
	s_and_b64 s[90:91], vcc, exec
	s_andn2_b64 s[64:65], s[64:65], exec
	s_or_b64 s[68:69], s[68:69], s[90:91]
	s_branch .LBB13_79
.LBB13_82:                              ;   in Loop: Header=BB13_14 Depth=3
	s_or_b64 exec, exec, s[86:87]
	s_and_saveexec_b64 s[28:29], s[88:89]
	s_xor_b64 s[28:29], exec, s[28:29]
	s_cbranch_execz .LBB13_84
; %bb.83:                               ;   in Loop: Header=BB13_14 Depth=3
	v_mov_b32_e32 v6, s27
	v_add_co_u32_e32 v18, vcc, s26, v22
	v_addc_co_u32_e32 v19, vcc, v6, v23, vcc
	global_load_dword v6, v[18:19], off
	s_waitcnt vmcnt(0)
	v_add_f32_e32 v11, v11, v6
.LBB13_84:                              ;   in Loop: Header=BB13_14 Depth=3
	s_or_b64 exec, exec, s[28:29]
	s_or_b64 exec, exec, s[84:85]
	v_cmp_eq_u32_e32 vcc, v8, v16
	s_and_saveexec_b64 s[28:29], vcc
	s_cbranch_execnz .LBB13_66
	s_branch .LBB13_67
.LBB13_85:                              ;   in Loop: Header=BB13_5 Depth=1
	s_and_b64 vcc, exec, s[56:57]
	s_cbranch_vccnz .LBB13_88
; %bb.86:                               ;   in Loop: Header=BB13_5 Depth=1
	s_andn2_b64 vcc, exec, s[34:35]
	s_cbranch_vccz .LBB13_99
.LBB13_87:                              ;   in Loop: Header=BB13_5 Depth=1
	s_and_saveexec_b64 s[18:19], s[0:1]
	s_cbranch_execnz .LBB13_110
	s_branch .LBB13_131
.LBB13_88:                              ;   in Loop: Header=BB13_5 Depth=1
	v_mov_b32_dpp v6, v4 row_shr:1 row_mask:0xf bank_mask:0xf
	v_cmp_lt_f32_e32 vcc, v4, v6
	v_cndmask_b32_e32 v4, v4, v6, vcc
	s_nop 1
	v_mov_b32_dpp v6, v4 row_shr:2 row_mask:0xf bank_mask:0xf
	v_cmp_lt_f32_e32 vcc, v4, v6
	v_cndmask_b32_e32 v4, v4, v6, vcc
	s_nop 1
	;; [unrolled: 4-line block ×4, first 2 shown]
	v_mov_b32_dpp v6, v4 row_bcast:15 row_mask:0xa bank_mask:0xf
	v_cmp_lt_f32_e32 vcc, v4, v6
	v_cndmask_b32_e32 v4, v4, v6, vcc
	s_nop 1
	v_mov_b32_dpp v6, v4 row_bcast:31 row_mask:0xc bank_mask:0xf
	s_and_saveexec_b64 s[16:17], s[2:3]
	s_cbranch_execz .LBB13_90
; %bb.89:                               ;   in Loop: Header=BB13_5 Depth=1
	v_cmp_lt_f32_e32 vcc, v4, v6
	v_cndmask_b32_e32 v4, v4, v6, vcc
	ds_write_b32 v30, v4
.LBB13_90:                              ;   in Loop: Header=BB13_5 Depth=1
	s_or_b64 exec, exec, s[16:17]
	s_waitcnt lgkmcnt(0)
	s_barrier
	s_and_saveexec_b64 s[16:17], s[6:7]
	s_cbranch_execz .LBB13_92
; %bb.91:                               ;   in Loop: Header=BB13_5 Depth=1
	ds_read2_b32 v[8:9], v1 offset1:8
	s_waitcnt lgkmcnt(0)
	v_cmp_lt_f32_e32 vcc, v8, v9
	v_cndmask_b32_e32 v4, v8, v9, vcc
	ds_write_b32 v1, v4
.LBB13_92:                              ;   in Loop: Header=BB13_5 Depth=1
	s_or_b64 exec, exec, s[16:17]
	s_waitcnt lgkmcnt(0)
	s_barrier
	s_and_saveexec_b64 s[16:17], s[8:9]
	s_cbranch_execz .LBB13_94
; %bb.93:                               ;   in Loop: Header=BB13_5 Depth=1
	ds_read2_b32 v[8:9], v1 offset1:4
	s_waitcnt lgkmcnt(0)
	v_cmp_lt_f32_e32 vcc, v8, v9
	v_cndmask_b32_e32 v4, v8, v9, vcc
	ds_write_b32 v1, v4
.LBB13_94:                              ;   in Loop: Header=BB13_5 Depth=1
	;; [unrolled: 12-line block ×3, first 2 shown]
	s_or_b64 exec, exec, s[16:17]
	s_waitcnt lgkmcnt(0)
	s_barrier
	s_and_saveexec_b64 s[16:17], s[12:13]
	s_cbranch_execz .LBB13_98
; %bb.97:                               ;   in Loop: Header=BB13_5 Depth=1
	ds_read_b64 v[8:9], v37
	s_waitcnt lgkmcnt(0)
	v_cmp_lt_f32_e32 vcc, v8, v9
	v_cndmask_b32_e32 v4, v8, v9, vcc
	ds_write_b32 v37, v4
.LBB13_98:                              ;   in Loop: Header=BB13_5 Depth=1
	s_or_b64 exec, exec, s[16:17]
	s_load_dwordx2 s[16:17], s[4:5], 0xc8
	s_waitcnt lgkmcnt(0)
	s_barrier
	ds_read_b32 v4, v37
	s_load_dword s18, s[16:17], 0x0
	s_waitcnt lgkmcnt(0)
	v_div_scale_f32 v6, s[16:17], s18, s18, v4
	v_rcp_f32_e32 v8, v6
	v_div_scale_f32 v9, vcc, v4, s18, v4
	v_fma_f32 v10, -v6, v8, 1.0
	v_fmac_f32_e32 v8, v10, v8
	v_mul_f32_e32 v10, v9, v8
	v_fma_f32 v11, -v6, v10, v9
	v_fmac_f32_e32 v10, v11, v8
	v_fma_f32 v6, -v6, v10, v9
	v_div_fmas_f32 v6, v6, v8, v10
	v_div_fixup_f32 v4, v6, s18, v4
	s_andn2_b64 vcc, exec, s[34:35]
	s_cbranch_vccnz .LBB13_87
.LBB13_99:                              ;   in Loop: Header=BB13_5 Depth=1
	v_mov_b32_dpp v6, v2 row_shr:1 row_mask:0xf bank_mask:0xf
	v_cmp_lt_f32_e32 vcc, v2, v6
	v_cndmask_b32_e32 v2, v2, v6, vcc
	s_nop 1
	v_mov_b32_dpp v6, v2 row_shr:2 row_mask:0xf bank_mask:0xf
	v_cmp_lt_f32_e32 vcc, v2, v6
	v_cndmask_b32_e32 v2, v2, v6, vcc
	s_nop 1
	;; [unrolled: 4-line block ×4, first 2 shown]
	v_mov_b32_dpp v6, v2 row_bcast:15 row_mask:0xa bank_mask:0xf
	v_cmp_lt_f32_e32 vcc, v2, v6
	v_cndmask_b32_e32 v2, v2, v6, vcc
	s_nop 1
	v_mov_b32_dpp v6, v2 row_bcast:31 row_mask:0xc bank_mask:0xf
	s_and_saveexec_b64 s[16:17], s[2:3]
	s_cbranch_execz .LBB13_101
; %bb.100:                              ;   in Loop: Header=BB13_5 Depth=1
	v_cmp_lt_f32_e32 vcc, v2, v6
	v_cndmask_b32_e32 v2, v2, v6, vcc
	ds_write_b32 v30, v2
.LBB13_101:                             ;   in Loop: Header=BB13_5 Depth=1
	s_or_b64 exec, exec, s[16:17]
	s_waitcnt lgkmcnt(0)
	s_barrier
	s_and_saveexec_b64 s[16:17], s[6:7]
	s_cbranch_execz .LBB13_103
; %bb.102:                              ;   in Loop: Header=BB13_5 Depth=1
	ds_read2_b32 v[8:9], v1 offset1:8
	s_waitcnt lgkmcnt(0)
	v_cmp_lt_f32_e32 vcc, v8, v9
	v_cndmask_b32_e32 v2, v8, v9, vcc
	ds_write_b32 v1, v2
.LBB13_103:                             ;   in Loop: Header=BB13_5 Depth=1
	s_or_b64 exec, exec, s[16:17]
	s_waitcnt lgkmcnt(0)
	s_barrier
	s_and_saveexec_b64 s[16:17], s[8:9]
	s_cbranch_execz .LBB13_105
; %bb.104:                              ;   in Loop: Header=BB13_5 Depth=1
	ds_read2_b32 v[8:9], v1 offset1:4
	s_waitcnt lgkmcnt(0)
	v_cmp_lt_f32_e32 vcc, v8, v9
	v_cndmask_b32_e32 v2, v8, v9, vcc
	ds_write_b32 v1, v2
.LBB13_105:                             ;   in Loop: Header=BB13_5 Depth=1
	s_or_b64 exec, exec, s[16:17]
	s_waitcnt lgkmcnt(0)
	s_barrier
	s_and_saveexec_b64 s[16:17], s[10:11]
	s_cbranch_execz .LBB13_107
; %bb.106:                              ;   in Loop: Header=BB13_5 Depth=1
	ds_read2_b32 v[8:9], v1 offset1:2
	s_waitcnt lgkmcnt(0)
	v_cmp_lt_f32_e32 vcc, v8, v9
	v_cndmask_b32_e32 v2, v8, v9, vcc
	ds_write_b32 v1, v2
.LBB13_107:                             ;   in Loop: Header=BB13_5 Depth=1
	s_or_b64 exec, exec, s[16:17]
	s_waitcnt lgkmcnt(0)
	s_barrier
	s_and_saveexec_b64 s[16:17], s[12:13]
	s_cbranch_execz .LBB13_109
; %bb.108:                              ;   in Loop: Header=BB13_5 Depth=1
	ds_read_b64 v[8:9], v37
	s_waitcnt lgkmcnt(0)
	v_cmp_lt_f32_e32 vcc, v8, v9
	v_cndmask_b32_e32 v2, v8, v9, vcc
	ds_write_b32 v37, v2
.LBB13_109:                             ;   in Loop: Header=BB13_5 Depth=1
	s_or_b64 exec, exec, s[16:17]
	s_load_dwordx2 s[16:17], s[4:5], 0xc8
	s_waitcnt lgkmcnt(0)
	s_barrier
	ds_read_b32 v2, v37
	s_load_dword s18, s[16:17], 0x0
	s_waitcnt lgkmcnt(0)
	v_div_scale_f32 v6, s[16:17], s18, s18, v2
	v_rcp_f32_e32 v8, v6
	v_div_scale_f32 v9, vcc, v2, s18, v2
	v_fma_f32 v10, -v6, v8, 1.0
	v_fmac_f32_e32 v8, v10, v8
	v_mul_f32_e32 v10, v9, v8
	v_fma_f32 v11, -v6, v10, v9
	v_fmac_f32_e32 v10, v11, v8
	v_fma_f32 v6, -v6, v10, v9
	v_div_fmas_f32 v6, v6, v8, v10
	v_div_fixup_f32 v2, v6, s18, v2
	s_and_saveexec_b64 s[18:19], s[0:1]
	s_cbranch_execz .LBB13_131
.LBB13_110:                             ;   in Loop: Header=BB13_5 Depth=1
	s_mov_b64 s[78:79], 0
	v_mov_b32_e32 v8, v28
	s_branch .LBB13_112
.LBB13_111:                             ;   in Loop: Header=BB13_112 Depth=2
	s_or_b64 exec, exec, s[80:81]
	v_add_u32_e32 v8, 16, v8
	v_cmp_le_u32_e32 vcc, s66, v8
	s_or_b64 s[78:79], vcc, s[78:79]
	s_andn2_b64 exec, exec, s[78:79]
	s_cbranch_execz .LBB13_131
.LBB13_112:                             ;   Parent Loop BB13_5 Depth=1
                                        ; =>  This Loop Header: Depth=2
                                        ;       Child Loop BB13_116 Depth 3
                                        ;       Child Loop BB13_120 Depth 3
	;; [unrolled: 1-line block ×4, first 2 shown]
	v_cmp_gt_i32_e32 vcc, s63, v8
	s_and_saveexec_b64 s[80:81], vcc
	s_cbranch_execz .LBB13_111
; %bb.113:                              ;   in Loop: Header=BB13_112 Depth=2
	v_ashrrev_i32_e32 v9, 31, v8
	v_lshlrev_b64 v[10:11], 2, v[8:9]
	v_mov_b32_e32 v6, s37
	v_add_co_u32_e32 v12, vcc, s36, v10
	v_addc_co_u32_e32 v13, vcc, v6, v11, vcc
	global_load_dword v9, v[12:13], off
	v_mov_b32_e32 v6, s39
	v_add_co_u32_e32 v12, vcc, s38, v10
	v_addc_co_u32_e32 v13, vcc, v6, v11, vcc
	global_load_dword v6, v[12:13], off
	s_waitcnt vmcnt(1)
	v_add_u32_e32 v12, v31, v9
	s_waitcnt vmcnt(0)
	v_subrev_u32_e32 v6, s33, v6
	v_cmp_lt_i32_e32 vcc, v12, v6
	s_and_saveexec_b64 s[82:83], vcc
	s_cbranch_execz .LBB13_121
; %bb.114:                              ;   in Loop: Header=BB13_112 Depth=2
	v_add_u32_e32 v13, v36, v9
	v_max_i32_e32 v13, v13, v6
	v_add_u32_e32 v13, v35, v13
	v_sub_u32_e32 v9, v13, v9
	v_cmp_lt_u32_e32 vcc, 63, v9
	s_mov_b64 s[16:17], -1
	s_and_saveexec_b64 s[84:85], vcc
	s_cbranch_execz .LBB13_118
; %bb.115:                              ;   in Loop: Header=BB13_112 Depth=2
	v_lshrrev_b32_e32 v9, 6, v9
	v_add_u32_e32 v9, 1, v9
	v_and_b32_e32 v16, 0x7fffffe, v9
	v_add_u32_e32 v13, 64, v12
	s_mov_b64 s[64:65], 0
	v_mov_b32_e32 v17, v16
	v_pk_mov_b32 v[14:15], v[12:13], v[12:13] op_sel:[0,1]
.LBB13_116:                             ;   Parent Loop BB13_5 Depth=1
                                        ;     Parent Loop BB13_112 Depth=2
                                        ; =>    This Inner Loop Header: Depth=3
	v_ashrrev_i32_e32 v21, 31, v14
	v_mov_b32_e32 v20, v14
	v_lshlrev_b64 v[20:21], 2, v[20:21]
	v_ashrrev_i32_e32 v19, 31, v15
	v_mov_b32_e32 v18, v15
	v_mov_b32_e32 v13, s71
	v_add_co_u32_e32 v22, vcc, s70, v20
	v_lshlrev_b64 v[18:19], 2, v[18:19]
	v_addc_co_u32_e32 v23, vcc, v13, v21, vcc
	v_add_co_u32_e32 v24, vcc, s70, v18
	v_addc_co_u32_e32 v25, vcc, v13, v19, vcc
	global_load_dword v13, v[22:23], off
	s_nop 0
	global_load_dword v22, v[24:25], off
	v_mov_b32_e32 v23, s43
	v_add_u32_e32 v17, -2, v17
	v_add_co_u32_e64 v20, s[16:17], s42, v20
	v_cmp_eq_u32_e32 vcc, 0, v17
	v_addc_co_u32_e64 v21, s[16:17], v23, v21, s[16:17]
	v_add_u32_e32 v15, 0x80, v15
	v_add_u32_e32 v14, 0x80, v14
	v_add_co_u32_e64 v18, s[16:17], s42, v18
	s_or_b64 s[64:65], vcc, s[64:65]
	v_addc_co_u32_e64 v19, s[16:17], v23, v19, s[16:17]
	s_waitcnt vmcnt(1)
	global_store_dword v[20:21], v13, off
	s_waitcnt vmcnt(1)
	global_store_dword v[18:19], v22, off
	s_andn2_b64 exec, exec, s[64:65]
	s_cbranch_execnz .LBB13_116
; %bb.117:                              ;   in Loop: Header=BB13_112 Depth=2
	s_or_b64 exec, exec, s[64:65]
	v_cmp_ne_u32_e32 vcc, v9, v16
	v_lshl_add_u32 v12, v16, 6, v12
	s_orn2_b64 s[16:17], vcc, exec
.LBB13_118:                             ;   in Loop: Header=BB13_112 Depth=2
	s_or_b64 exec, exec, s[84:85]
	s_and_b64 exec, exec, s[16:17]
	s_cbranch_execz .LBB13_121
; %bb.119:                              ;   in Loop: Header=BB13_112 Depth=2
	v_ashrrev_i32_e32 v13, 31, v12
	v_lshlrev_b64 v[16:17], 2, v[12:13]
	v_mov_b32_e32 v9, s71
	v_add_co_u32_e32 v14, vcc, s70, v16
	v_addc_co_u32_e32 v15, vcc, v9, v17, vcc
	v_mov_b32_e32 v9, s43
	v_add_co_u32_e32 v16, vcc, s42, v16
	v_addc_co_u32_e32 v17, vcc, v9, v17, vcc
	s_mov_b64 s[16:17], 0
.LBB13_120:                             ;   Parent Loop BB13_5 Depth=1
                                        ;     Parent Loop BB13_112 Depth=2
                                        ; =>    This Inner Loop Header: Depth=3
	global_load_dword v9, v[14:15], off
	v_add_co_u32_e32 v14, vcc, 0x100, v14
	v_add_u32_e32 v12, 64, v12
	v_addc_co_u32_e32 v15, vcc, 0, v15, vcc
	v_cmp_ge_i32_e32 vcc, v12, v6
	s_or_b64 s[16:17], vcc, s[16:17]
	s_waitcnt vmcnt(0)
	global_store_dword v[16:17], v9, off
	v_add_co_u32_e32 v16, vcc, 0x100, v16
	v_addc_co_u32_e32 v17, vcc, 0, v17, vcc
	s_andn2_b64 exec, exec, s[16:17]
	s_cbranch_execnz .LBB13_120
.LBB13_121:                             ;   in Loop: Header=BB13_112 Depth=2
	s_or_b64 exec, exec, s[82:83]
	v_mov_b32_e32 v6, s21
	v_add_co_u32_e32 v12, vcc, s20, v10
	v_addc_co_u32_e32 v13, vcc, v6, v11, vcc
	global_load_dword v9, v[12:13], off
	v_mov_b32_e32 v6, s23
	v_add_co_u32_e32 v12, vcc, s22, v10
	v_addc_co_u32_e32 v13, vcc, v6, v11, vcc
	global_load_dword v6, v[12:13], off
	s_waitcnt vmcnt(1)
	v_add_u32_e32 v12, v32, v9
	s_waitcnt vmcnt(0)
	v_subrev_u32_e32 v6, s60, v6
	v_cmp_lt_i32_e32 vcc, v12, v6
	s_and_saveexec_b64 s[82:83], vcc
	s_cbranch_execz .LBB13_129
; %bb.122:                              ;   in Loop: Header=BB13_112 Depth=2
	v_add_u32_e32 v13, v34, v9
	v_max_i32_e32 v13, v13, v6
	v_add_u32_e32 v13, v33, v13
	v_sub_u32_e32 v9, v13, v9
	v_cmp_lt_u32_e32 vcc, 63, v9
	s_mov_b64 s[16:17], -1
	s_and_saveexec_b64 s[84:85], vcc
	s_cbranch_execz .LBB13_126
; %bb.123:                              ;   in Loop: Header=BB13_112 Depth=2
	v_lshrrev_b32_e32 v9, 6, v9
	v_add_u32_e32 v9, 1, v9
	v_and_b32_e32 v16, 0x7fffffe, v9
	v_add_u32_e32 v13, 64, v12
	s_mov_b64 s[64:65], 0
	v_mov_b32_e32 v17, v16
	v_pk_mov_b32 v[14:15], v[12:13], v[12:13] op_sel:[0,1]
.LBB13_124:                             ;   Parent Loop BB13_5 Depth=1
                                        ;     Parent Loop BB13_112 Depth=2
                                        ; =>    This Inner Loop Header: Depth=3
	v_ashrrev_i32_e32 v21, 31, v14
	v_mov_b32_e32 v20, v14
	v_lshlrev_b64 v[20:21], 2, v[20:21]
	v_ashrrev_i32_e32 v19, 31, v15
	v_mov_b32_e32 v18, v15
	v_mov_b32_e32 v13, s73
	v_add_co_u32_e32 v22, vcc, s72, v20
	v_lshlrev_b64 v[18:19], 2, v[18:19]
	v_addc_co_u32_e32 v23, vcc, v13, v21, vcc
	v_add_co_u32_e32 v24, vcc, s72, v18
	v_addc_co_u32_e32 v25, vcc, v13, v19, vcc
	global_load_dword v13, v[22:23], off
	s_nop 0
	global_load_dword v22, v[24:25], off
	v_mov_b32_e32 v23, s27
	v_add_u32_e32 v17, -2, v17
	v_add_co_u32_e64 v20, s[16:17], s26, v20
	v_cmp_eq_u32_e32 vcc, 0, v17
	v_addc_co_u32_e64 v21, s[16:17], v23, v21, s[16:17]
	v_add_u32_e32 v15, 0x80, v15
	v_add_u32_e32 v14, 0x80, v14
	v_add_co_u32_e64 v18, s[16:17], s26, v18
	s_or_b64 s[64:65], vcc, s[64:65]
	v_addc_co_u32_e64 v19, s[16:17], v23, v19, s[16:17]
	s_waitcnt vmcnt(1)
	global_store_dword v[20:21], v13, off
	s_waitcnt vmcnt(1)
	global_store_dword v[18:19], v22, off
	s_andn2_b64 exec, exec, s[64:65]
	s_cbranch_execnz .LBB13_124
; %bb.125:                              ;   in Loop: Header=BB13_112 Depth=2
	s_or_b64 exec, exec, s[64:65]
	v_cmp_ne_u32_e32 vcc, v9, v16
	v_lshl_add_u32 v12, v16, 6, v12
	s_orn2_b64 s[16:17], vcc, exec
.LBB13_126:                             ;   in Loop: Header=BB13_112 Depth=2
	s_or_b64 exec, exec, s[84:85]
	s_and_b64 exec, exec, s[16:17]
	s_cbranch_execz .LBB13_129
; %bb.127:                              ;   in Loop: Header=BB13_112 Depth=2
	v_ashrrev_i32_e32 v13, 31, v12
	v_lshlrev_b64 v[16:17], 2, v[12:13]
	v_mov_b32_e32 v9, s73
	v_add_co_u32_e32 v14, vcc, s72, v16
	v_addc_co_u32_e32 v15, vcc, v9, v17, vcc
	v_mov_b32_e32 v9, s27
	v_add_co_u32_e32 v16, vcc, s26, v16
	v_addc_co_u32_e32 v17, vcc, v9, v17, vcc
	s_mov_b64 s[16:17], 0
.LBB13_128:                             ;   Parent Loop BB13_5 Depth=1
                                        ;     Parent Loop BB13_112 Depth=2
                                        ; =>    This Inner Loop Header: Depth=3
	global_load_dword v9, v[14:15], off
	v_add_co_u32_e32 v14, vcc, 0x100, v14
	v_add_u32_e32 v12, 64, v12
	v_addc_co_u32_e32 v15, vcc, 0, v15, vcc
	v_cmp_ge_i32_e32 vcc, v12, v6
	s_or_b64 s[16:17], vcc, s[16:17]
	s_waitcnt vmcnt(0)
	global_store_dword v[16:17], v9, off
	v_add_co_u32_e32 v16, vcc, 0x100, v16
	v_addc_co_u32_e32 v17, vcc, 0, v17, vcc
	s_andn2_b64 exec, exec, s[16:17]
	s_cbranch_execnz .LBB13_128
.LBB13_129:                             ;   in Loop: Header=BB13_112 Depth=2
	s_or_b64 exec, exec, s[82:83]
	s_and_b64 exec, exec, s[14:15]
	s_cbranch_execz .LBB13_111
; %bb.130:                              ;   in Loop: Header=BB13_112 Depth=2
	v_mov_b32_e32 v6, s55
	v_add_co_u32_e32 v12, vcc, s54, v10
	v_addc_co_u32_e32 v13, vcc, v6, v11, vcc
	global_load_dword v6, v[12:13], off
	v_mov_b32_e32 v9, s53
	v_add_co_u32_e32 v10, vcc, s52, v10
	v_addc_co_u32_e32 v11, vcc, v9, v11, vcc
	s_waitcnt vmcnt(0)
	global_store_dword v[10:11], v6, off
	s_branch .LBB13_111
.LBB13_131:                             ;   in Loop: Header=BB13_5 Depth=1
	s_or_b64 exec, exec, s[18:19]
	s_mov_b64 s[18:19], -1
	s_mov_b64 s[16:17], -1
	s_and_b64 vcc, exec, s[58:59]
	s_cbranch_vccz .LBB13_141
; %bb.132:                              ;   in Loop: Header=BB13_5 Depth=1
	v_readlane_b32 s28, v48, 4
	v_readlane_b32 s29, v48, 5
	s_and_b64 vcc, exec, s[28:29]
                                        ; implicit-def: $sgpr64_sgpr65
	s_cbranch_vccz .LBB13_138
; %bb.133:                              ;   in Loop: Header=BB13_5 Depth=1
	v_readlane_b32 s28, v48, 2
	v_readlane_b32 s29, v48, 3
	s_and_b64 vcc, exec, s[28:29]
                                        ; implicit-def: $sgpr64_sgpr65
	s_cbranch_vccz .LBB13_135
; %bb.134:                              ;   in Loop: Header=BB13_5 Depth=1
	v_cmp_ge_f32_e32 vcc, s62, v2
	s_mov_b64 s[16:17], 0
	s_and_b64 s[64:65], vcc, exec
.LBB13_135:                             ;   in Loop: Header=BB13_5 Depth=1
	s_andn2_b64 vcc, exec, s[16:17]
	s_cbranch_vccnz .LBB13_137
; %bb.136:                              ;   in Loop: Header=BB13_5 Depth=1
	v_cmp_ge_f32_e32 vcc, s62, v4
	s_andn2_b64 s[16:17], s[64:65], exec
	s_and_b64 s[28:29], vcc, exec
	s_or_b64 s[64:65], s[16:17], s[28:29]
.LBB13_137:                             ;   in Loop: Header=BB13_5 Depth=1
	s_mov_b64 s[16:17], 0
.LBB13_138:                             ;   in Loop: Header=BB13_5 Depth=1
	s_andn2_b64 vcc, exec, s[16:17]
	s_cbranch_vccnz .LBB13_140
; %bb.139:                              ;   in Loop: Header=BB13_5 Depth=1
	v_cmp_ge_f32_e32 vcc, s62, v4
	v_cmp_ge_f32_e64 s[16:17], s62, v2
	s_and_b64 s[16:17], vcc, s[16:17]
	s_andn2_b64 s[28:29], s[64:65], exec
	s_and_b64 s[16:17], s[16:17], exec
	s_or_b64 s[64:65], s[28:29], s[16:17]
.LBB13_140:                             ;   in Loop: Header=BB13_5 Depth=1
	s_xor_b64 s[16:17], s[64:65], -1
.LBB13_141:                             ;   in Loop: Header=BB13_5 Depth=1
	v_mov_b32_e32 v6, s30
	s_and_saveexec_b64 s[28:29], s[16:17]
	s_cbranch_execz .LBB13_4
; %bb.142:                              ;   in Loop: Header=BB13_5 Depth=1
	s_add_i32 s30, s30, 1
	s_cmp_eq_u32 s30, s61
	s_cselect_b64 s[16:17], -1, 0
	v_mov_b32_e32 v6, s61
	s_orn2_b64 s[18:19], s[16:17], exec
	s_branch .LBB13_4
.LBB13_143:
	s_or_b64 exec, exec, s[76:77]
	s_load_dwordx4 s[20:23], s[4:5], 0xb8
	v_readlane_b32 s2, v48, 0
	v_readlane_b32 s3, v48, 1
	s_or_b64 exec, exec, s[2:3]
	s_andn2_b64 vcc, exec, s[58:59]
	s_cbranch_vccnz .LBB13_2
.LBB13_144:
	v_mov_b32_dpp v7, v6 row_shr:1 row_mask:0xf bank_mask:0xf
	v_max_i32_e32 v6, v6, v7
	v_cmp_eq_u32_e32 vcc, 63, v5
	s_nop 0
	v_mov_b32_dpp v7, v6 row_shr:2 row_mask:0xf bank_mask:0xf
	v_max_i32_e32 v6, v6, v7
	s_nop 1
	v_mov_b32_dpp v7, v6 row_shr:4 row_mask:0xf bank_mask:0xe
	v_max_i32_e32 v6, v6, v7
	;; [unrolled: 3-line block ×3, first 2 shown]
	s_nop 1
	v_mov_b32_dpp v7, v6 row_bcast:15 row_mask:0xa bank_mask:0xf
	v_max_i32_e32 v6, v6, v7
	s_nop 1
	v_mov_b32_dpp v7, v6 row_bcast:31 row_mask:0xc bank_mask:0xf
	s_and_saveexec_b64 s[0:1], vcc
	s_cbranch_execz .LBB13_146
; %bb.145:
	v_lshlrev_b32_e32 v3, 2, v3
	v_max_i32_e32 v5, v6, v7
	ds_write_b32 v3, v5 offset:64
.LBB13_146:
	s_or_b64 exec, exec, s[0:1]
	v_cmp_gt_u32_e32 vcc, 8, v0
	s_waitcnt lgkmcnt(0)
	s_barrier
	s_and_saveexec_b64 s[0:1], vcc
	s_cbranch_execz .LBB13_148
; %bb.147:
	ds_read2_b32 v[6:7], v1 offset0:16 offset1:24
	s_waitcnt lgkmcnt(0)
	v_max_i32_e32 v3, v6, v7
	ds_write_b32 v1, v3 offset:64
.LBB13_148:
	s_or_b64 exec, exec, s[0:1]
	v_cmp_gt_u32_e32 vcc, 4, v0
	s_waitcnt lgkmcnt(0)
	s_barrier
	s_and_saveexec_b64 s[0:1], vcc
	s_cbranch_execz .LBB13_150
; %bb.149:
	ds_read2_b32 v[6:7], v1 offset0:16 offset1:20
	s_waitcnt lgkmcnt(0)
	v_max_i32_e32 v3, v6, v7
	ds_write_b32 v1, v3 offset:64
.LBB13_150:
	;; [unrolled: 12-line block ×3, first 2 shown]
	s_or_b64 exec, exec, s[0:1]
	v_cmp_eq_u32_e32 vcc, 0, v0
	s_waitcnt lgkmcnt(0)
	s_barrier
	s_and_saveexec_b64 s[0:1], vcc
	s_cbranch_execz .LBB13_154
; %bb.153:
	v_mov_b32_e32 v1, 0
	ds_read_b64 v[6:7], v1 offset:64
	s_waitcnt lgkmcnt(0)
	v_max_i32_e32 v3, v6, v7
	ds_write_b32 v1, v3 offset:64
.LBB13_154:
	s_or_b64 exec, exec, s[0:1]
	s_waitcnt lgkmcnt(0)
	s_barrier
	s_and_saveexec_b64 s[0:1], vcc
	s_cbranch_execz .LBB13_157
; %bb.155:
	v_mbcnt_lo_u32_b32 v1, exec_lo, 0
	v_mbcnt_hi_u32_b32 v1, exec_hi, v1
	v_cmp_eq_u32_e32 vcc, 0, v1
	s_and_b64 exec, exec, vcc
	s_cbranch_execz .LBB13_157
; %bb.156:
	v_mov_b32_e32 v1, 0
	ds_read_b32 v3, v1 offset:64
	s_load_dwordx2 s[2:3], s[4:5], 0x8
	s_waitcnt lgkmcnt(0)
	v_add_u32_e32 v3, 1, v3
	global_atomic_smax v1, v3, s[2:3]
.LBB13_157:
	s_or_b64 exec, exec, s[0:1]
	v_cmp_eq_u32_e32 vcc, 0, v0
	s_and_b64 s[0:1], vcc, s[56:57]
	s_and_saveexec_b64 s[4:5], s[0:1]
	s_cbranch_execz .LBB13_162
.LBB13_158:
	v_mov_b32_e32 v0, 0
	s_waitcnt lgkmcnt(0)
	global_load_dword v5, v0, s[20:21] glc
	s_brev_b32 s2, 1
	v_cmp_eq_f32_e64 s[0:1], 0, v4
	s_mov_b64 s[6:7], 0
                                        ; implicit-def: $sgpr8_sgpr9
                                        ; implicit-def: $sgpr12_sgpr13
	s_waitcnt vmcnt(0)
	v_cmp_eq_u32_e64 s[10:11], s2, v5
	s_branch .LBB13_160
.LBB13_159:                             ;   in Loop: Header=BB13_160 Depth=1
	s_or_b64 exec, exec, s[14:15]
	s_and_b64 s[2:3], exec, s[8:9]
	s_or_b64 s[6:7], s[2:3], s[6:7]
	s_andn2_b64 s[2:3], s[10:11], exec
	s_and_b64 s[10:11], s[12:13], exec
	s_or_b64 s[10:11], s[2:3], s[10:11]
	s_andn2_b64 exec, exec, s[6:7]
	s_cbranch_execz .LBB13_162
.LBB13_160:                             ; =>This Inner Loop Header: Depth=1
	v_cmp_lt_f32_e64 s[2:3], v5, v4
	s_and_b64 s[14:15], s[0:1], s[10:11]
	s_or_b64 s[2:3], s[2:3], s[14:15]
	s_andn2_b64 s[12:13], s[12:13], exec
	s_or_b64 s[8:9], s[8:9], exec
	s_and_saveexec_b64 s[14:15], s[2:3]
	s_cbranch_execz .LBB13_159
; %bb.161:                              ;   in Loop: Header=BB13_160 Depth=1
	global_atomic_cmpswap v1, v0, v[4:5], s[20:21] glc
	s_andn2_b64 s[12:13], s[12:13], exec
	s_andn2_b64 s[8:9], s[8:9], exec
                                        ; implicit-def: $sgpr10_sgpr11
	s_waitcnt vmcnt(0)
	v_cmp_eq_u32_e64 s[2:3], v1, v5
	v_cndmask_b32_e64 v3, v1, v5, s[2:3]
	v_cmp_class_f32_e64 s[16:17], v3, 32
	s_and_b64 s[2:3], s[2:3], exec
	s_and_b64 s[16:17], s[16:17], exec
	s_or_b64 s[8:9], s[8:9], s[2:3]
	s_or_b64 s[12:13], s[12:13], s[16:17]
	v_mov_b32_e32 v5, v1
	s_branch .LBB13_159
.LBB13_162:
	s_or_b64 exec, exec, s[4:5]
	s_and_b64 s[0:1], vcc, s[34:35]
	s_and_saveexec_b64 s[2:3], s[0:1]
	s_cbranch_execz .LBB13_167
; %bb.163:
	v_mov_b32_e32 v0, 0
	s_waitcnt lgkmcnt(0)
	global_load_dword v3, v0, s[22:23] glc
	s_brev_b32 s0, 1
	v_cmp_eq_f32_e32 vcc, 0, v2
	s_mov_b64 s[2:3], 0
                                        ; implicit-def: $sgpr4_sgpr5
                                        ; implicit-def: $sgpr8_sgpr9
	s_waitcnt vmcnt(0)
	v_cmp_eq_u32_e64 s[6:7], s0, v3
	s_branch .LBB13_165
.LBB13_164:                             ;   in Loop: Header=BB13_165 Depth=1
	s_or_b64 exec, exec, s[10:11]
	s_and_b64 s[0:1], exec, s[4:5]
	s_or_b64 s[2:3], s[0:1], s[2:3]
	s_andn2_b64 s[0:1], s[6:7], exec
	s_and_b64 s[6:7], s[8:9], exec
	s_or_b64 s[6:7], s[0:1], s[6:7]
	s_andn2_b64 exec, exec, s[2:3]
	s_cbranch_execz .LBB13_167
.LBB13_165:                             ; =>This Inner Loop Header: Depth=1
	v_cmp_lt_f32_e64 s[0:1], v3, v2
	s_and_b64 s[10:11], vcc, s[6:7]
	s_or_b64 s[0:1], s[0:1], s[10:11]
	s_andn2_b64 s[8:9], s[8:9], exec
	s_or_b64 s[4:5], s[4:5], exec
	s_and_saveexec_b64 s[10:11], s[0:1]
	s_cbranch_execz .LBB13_164
; %bb.166:                              ;   in Loop: Header=BB13_165 Depth=1
	global_atomic_cmpswap v1, v0, v[2:3], s[22:23] glc
	s_andn2_b64 s[8:9], s[8:9], exec
	s_andn2_b64 s[4:5], s[4:5], exec
                                        ; implicit-def: $sgpr6_sgpr7
	s_waitcnt vmcnt(0)
	v_cmp_eq_u32_e64 s[0:1], v1, v3
	v_cndmask_b32_e64 v3, v1, v3, s[0:1]
	v_cmp_class_f32_e64 s[12:13], v3, 32
	s_and_b64 s[0:1], s[0:1], exec
	s_and_b64 s[12:13], s[12:13], exec
	s_or_b64 s[4:5], s[4:5], s[0:1]
	s_or_b64 s[8:9], s[8:9], s[12:13]
	v_mov_b32_e32 v3, v1
	s_branch .LBB13_164
.LBB13_167:
	s_endpgm
	.section	.rodata,"a",@progbits
	.p2align	6, 0x0
	.amdhsa_kernel _ZN9rocsparseL6kernelILi1024ELi64EfiiEEvbbbT3_PS1_NS_15floating_traitsIT1_E6data_tES1_T2_PKS7_S9_PKS1_PKS4_21rocsparse_index_base_S9_S9_SB_PS4_SF_SE_S9_S9_SB_SF_SF_SE_SF_SF_PS6_SG_PKS6_
		.amdhsa_group_segment_fixed_size 128
		.amdhsa_private_segment_fixed_size 0
		.amdhsa_kernarg_size 208
		.amdhsa_user_sgpr_count 6
		.amdhsa_user_sgpr_private_segment_buffer 1
		.amdhsa_user_sgpr_dispatch_ptr 0
		.amdhsa_user_sgpr_queue_ptr 0
		.amdhsa_user_sgpr_kernarg_segment_ptr 1
		.amdhsa_user_sgpr_dispatch_id 0
		.amdhsa_user_sgpr_flat_scratch_init 0
		.amdhsa_user_sgpr_kernarg_preload_length 0
		.amdhsa_user_sgpr_kernarg_preload_offset 0
		.amdhsa_user_sgpr_private_segment_size 0
		.amdhsa_uses_dynamic_stack 0
		.amdhsa_system_sgpr_private_segment_wavefront_offset 0
		.amdhsa_system_sgpr_workgroup_id_x 1
		.amdhsa_system_sgpr_workgroup_id_y 0
		.amdhsa_system_sgpr_workgroup_id_z 0
		.amdhsa_system_sgpr_workgroup_info 0
		.amdhsa_system_vgpr_workitem_id 0
		.amdhsa_next_free_vgpr 49
		.amdhsa_next_free_sgpr 96
		.amdhsa_accum_offset 52
		.amdhsa_reserve_vcc 1
		.amdhsa_reserve_flat_scratch 0
		.amdhsa_float_round_mode_32 0
		.amdhsa_float_round_mode_16_64 0
		.amdhsa_float_denorm_mode_32 3
		.amdhsa_float_denorm_mode_16_64 3
		.amdhsa_dx10_clamp 1
		.amdhsa_ieee_mode 1
		.amdhsa_fp16_overflow 0
		.amdhsa_tg_split 0
		.amdhsa_exception_fp_ieee_invalid_op 0
		.amdhsa_exception_fp_denorm_src 0
		.amdhsa_exception_fp_ieee_div_zero 0
		.amdhsa_exception_fp_ieee_overflow 0
		.amdhsa_exception_fp_ieee_underflow 0
		.amdhsa_exception_fp_ieee_inexact 0
		.amdhsa_exception_int_div_zero 0
	.end_amdhsa_kernel
	.section	.text._ZN9rocsparseL6kernelILi1024ELi64EfiiEEvbbbT3_PS1_NS_15floating_traitsIT1_E6data_tES1_T2_PKS7_S9_PKS1_PKS4_21rocsparse_index_base_S9_S9_SB_PS4_SF_SE_S9_S9_SB_SF_SF_SE_SF_SF_PS6_SG_PKS6_,"axG",@progbits,_ZN9rocsparseL6kernelILi1024ELi64EfiiEEvbbbT3_PS1_NS_15floating_traitsIT1_E6data_tES1_T2_PKS7_S9_PKS1_PKS4_21rocsparse_index_base_S9_S9_SB_PS4_SF_SE_S9_S9_SB_SF_SF_SE_SF_SF_PS6_SG_PKS6_,comdat
.Lfunc_end13:
	.size	_ZN9rocsparseL6kernelILi1024ELi64EfiiEEvbbbT3_PS1_NS_15floating_traitsIT1_E6data_tES1_T2_PKS7_S9_PKS1_PKS4_21rocsparse_index_base_S9_S9_SB_PS4_SF_SE_S9_S9_SB_SF_SF_SE_SF_SF_PS6_SG_PKS6_, .Lfunc_end13-_ZN9rocsparseL6kernelILi1024ELi64EfiiEEvbbbT3_PS1_NS_15floating_traitsIT1_E6data_tES1_T2_PKS7_S9_PKS1_PKS4_21rocsparse_index_base_S9_S9_SB_PS4_SF_SE_S9_S9_SB_SF_SF_SE_SF_SF_PS6_SG_PKS6_
                                        ; -- End function
	.section	.AMDGPU.csdata,"",@progbits
; Kernel info:
; codeLenInByte = 5500
; NumSgprs: 100
; NumVgprs: 49
; NumAgprs: 0
; TotalNumVgprs: 49
; ScratchSize: 0
; MemoryBound: 0
; FloatMode: 240
; IeeeMode: 1
; LDSByteSize: 128 bytes/workgroup (compile time only)
; SGPRBlocks: 12
; VGPRBlocks: 6
; NumSGPRsForWavesPerEU: 100
; NumVGPRsForWavesPerEU: 49
; AccumOffset: 52
; Occupancy: 8
; WaveLimiterHint : 1
; COMPUTE_PGM_RSRC2:SCRATCH_EN: 0
; COMPUTE_PGM_RSRC2:USER_SGPR: 6
; COMPUTE_PGM_RSRC2:TRAP_HANDLER: 0
; COMPUTE_PGM_RSRC2:TGID_X_EN: 1
; COMPUTE_PGM_RSRC2:TGID_Y_EN: 0
; COMPUTE_PGM_RSRC2:TGID_Z_EN: 0
; COMPUTE_PGM_RSRC2:TIDIG_COMP_CNT: 0
; COMPUTE_PGM_RSRC3_GFX90A:ACCUM_OFFSET: 12
; COMPUTE_PGM_RSRC3_GFX90A:TG_SPLIT: 0
	.section	.text._ZN9rocsparseL14kernel_freerunILi1024ELi1EdiiEEvT3_S1_T2_PKS2_S4_PKS1_PKT1_21rocsparse_index_base_S4_S4_S6_PS7_SB_SA_S4_S4_S6_SB_SB_SA_SB_SB_,"axG",@progbits,_ZN9rocsparseL14kernel_freerunILi1024ELi1EdiiEEvT3_S1_T2_PKS2_S4_PKS1_PKT1_21rocsparse_index_base_S4_S4_S6_PS7_SB_SA_S4_S4_S6_SB_SB_SA_SB_SB_,comdat
	.globl	_ZN9rocsparseL14kernel_freerunILi1024ELi1EdiiEEvT3_S1_T2_PKS2_S4_PKS1_PKT1_21rocsparse_index_base_S4_S4_S6_PS7_SB_SA_S4_S4_S6_SB_SB_SA_SB_SB_ ; -- Begin function _ZN9rocsparseL14kernel_freerunILi1024ELi1EdiiEEvT3_S1_T2_PKS2_S4_PKS1_PKT1_21rocsparse_index_base_S4_S4_S6_PS7_SB_SA_S4_S4_S6_SB_SB_SA_SB_SB_
	.p2align	8
	.type	_ZN9rocsparseL14kernel_freerunILi1024ELi1EdiiEEvT3_S1_T2_PKS2_S4_PKS1_PKT1_21rocsparse_index_base_S4_S4_S6_PS7_SB_SA_S4_S4_S6_SB_SB_SA_SB_SB_,@function
_ZN9rocsparseL14kernel_freerunILi1024ELi1EdiiEEvT3_S1_T2_PKS2_S4_PKS1_PKT1_21rocsparse_index_base_S4_S4_S6_PS7_SB_SA_S4_S4_S6_SB_SB_SA_SB_SB_: ; @_ZN9rocsparseL14kernel_freerunILi1024ELi1EdiiEEvT3_S1_T2_PKS2_S4_PKS1_PKT1_21rocsparse_index_base_S4_S4_S6_PS7_SB_SA_S4_S4_S6_SB_SB_SA_SB_SB_
; %bb.0:
	s_load_dwordx2 s[34:35], s[4:5], 0x0
	s_lshl_b32 s65, s6, 10
	v_or_b32_e32 v0, s65, v0
	s_mov_b32 s33, 0
	s_waitcnt lgkmcnt(0)
	s_cmp_gt_i32 s34, 0
	v_cmp_gt_i32_e32 vcc, s35, v0
	s_cselect_b64 s[0:1], -1, 0
	s_and_b64 s[0:1], vcc, s[0:1]
	s_and_saveexec_b64 s[2:3], s[0:1]
	s_cbranch_execz .LBB14_56
; %bb.1:
	s_load_dwordx8 s[8:15], s[4:5], 0x38
	s_load_dwordx8 s[16:23], s[4:5], 0x10
	v_ashrrev_i32_e32 v1, 31, v0
	v_lshlrev_b64 v[2:3], 2, v[0:1]
	s_addk_i32 s65, 0x400
	s_waitcnt lgkmcnt(0)
	v_mov_b32_e32 v1, s11
	v_add_co_u32_e32 v4, vcc, s10, v2
	v_addc_co_u32_e32 v5, vcc, v1, v3, vcc
	global_load_dword v1, v[4:5], off
	v_mov_b32_e32 v5, s9
	v_add_co_u32_e32 v4, vcc, s8, v2
	v_addc_co_u32_e32 v5, vcc, v5, v3, vcc
	global_load_dword v6, v[4:5], off
	v_mov_b32_e32 v5, s17
	v_add_co_u32_e32 v4, vcc, s16, v2
	v_addc_co_u32_e32 v5, vcc, v5, v3, vcc
	global_load_dword v4, v[4:5], off
	v_mov_b32_e32 v5, s19
	v_add_co_u32_e32 v2, vcc, s18, v2
	v_addc_co_u32_e32 v3, vcc, v5, v3, vcc
	global_load_dword v3, v[2:3], off
	s_load_dwordx4 s[16:19], s[4:5], 0x98
	s_load_dwordx8 s[24:31], s[4:5], 0x68
	s_load_dword s62, s[4:5], 0x30
	s_load_dwordx2 s[36:37], s[4:5], 0x58
	s_load_dword s63, s[4:5], 0x60
	s_load_dwordx2 s[38:39], s[4:5], 0x88
	s_load_dword s64, s[4:5], 0x90
	v_mov_b32_e32 v8, s13
	v_mov_b32_e32 v9, s15
	s_movk_i32 s66, 0x1f8
	v_cmp_gt_u32_e64 s[0:1], s65, v0
	s_waitcnt vmcnt(2) lgkmcnt(0)
	v_subrev_u32_e32 v2, s63, v6
	v_sub_u32_e32 v1, v1, v6
	v_cmp_lt_i32_e64 s[4:5], 0, v1
	s_waitcnt vmcnt(1)
	v_subrev_u32_e32 v20, s62, v4
	s_waitcnt vmcnt(0)
	v_subrev_u32_e32 v21, s62, v3
	v_cmp_lt_i32_e64 s[2:3], v4, v3
	v_ashrrev_i32_e32 v3, 31, v2
	v_lshlrev_b64 v[4:5], 2, v[2:3]
	v_lshlrev_b64 v[6:7], 3, v[2:3]
	v_add_co_u32_e32 v3, vcc, s12, v4
	v_addc_co_u32_e32 v22, vcc, v8, v5, vcc
	v_add_co_u32_e32 v23, vcc, s14, v6
	v_addc_co_u32_e32 v24, vcc, v9, v7, vcc
	v_mov_b32_e32 v5, 0
	s_branch .LBB14_3
.LBB14_2:                               ;   in Loop: Header=BB14_3 Depth=1
	s_or_b64 exec, exec, s[6:7]
	s_add_i32 s33, s33, 1
	s_cmp_eq_u32 s33, s34
	s_cbranch_scc1 .LBB14_56
.LBB14_3:                               ; =>This Loop Header: Depth=1
                                        ;     Child Loop BB14_6 Depth 2
                                        ;       Child Loop BB14_10 Depth 3
                                        ;       Child Loop BB14_28 Depth 3
	;; [unrolled: 1-line block ×3, first 2 shown]
                                        ;     Child Loop BB14_49 Depth 2
                                        ;       Child Loop BB14_52 Depth 3
                                        ;       Child Loop BB14_55 Depth 3
	s_and_saveexec_b64 s[40:41], s[2:3]
	s_cbranch_execz .LBB14_45
; %bb.4:                                ;   in Loop: Header=BB14_3 Depth=1
	s_mov_b64 s[42:43], 0
	v_mov_b32_e32 v6, v20
	s_branch .LBB14_6
.LBB14_5:                               ;   in Loop: Header=BB14_6 Depth=2
	s_or_b64 exec, exec, s[44:45]
	v_add_u32_e32 v6, 1, v6
	v_cmp_ge_i32_e32 vcc, v6, v21
	s_or_b64 s[42:43], vcc, s[42:43]
	s_andn2_b64 exec, exec, s[42:43]
	s_cbranch_execz .LBB14_45
.LBB14_6:                               ;   Parent Loop BB14_3 Depth=1
                                        ; =>  This Loop Header: Depth=2
                                        ;       Child Loop BB14_10 Depth 3
                                        ;       Child Loop BB14_28 Depth 3
                                        ;       Child Loop BB14_38 Depth 3
	v_ashrrev_i32_e32 v7, 31, v6
	v_lshlrev_b64 v[8:9], 2, v[6:7]
	v_mov_b32_e32 v4, s21
	v_add_co_u32_e32 v8, vcc, s20, v8
	v_addc_co_u32_e32 v9, vcc, v4, v9, vcc
	global_load_dword v4, v[8:9], off
	v_mov_b32_e32 v13, s25
	v_mov_b32_e32 v14, s27
	s_waitcnt vmcnt(0)
	v_subrev_u32_e32 v10, s62, v4
	v_ashrrev_i32_e32 v11, 31, v10
	v_lshlrev_b64 v[8:9], 2, v[10:11]
	v_add_co_u32_e32 v12, vcc, s24, v8
	v_addc_co_u32_e32 v13, vcc, v13, v9, vcc
	v_add_co_u32_e32 v8, vcc, s26, v8
	v_addc_co_u32_e32 v9, vcc, v14, v9, vcc
	global_load_dword v4, v[12:13], off
	s_nop 0
	global_load_dword v13, v[8:9], off
	v_pk_mov_b32 v[8:9], 0, 0
	v_mov_b32_e32 v14, 0
	s_waitcnt vmcnt(1)
	v_subrev_u32_e32 v12, s64, v4
	s_waitcnt vmcnt(0)
	v_sub_u32_e32 v25, v13, v4
	v_mov_b32_e32 v4, 0
	s_and_saveexec_b64 s[6:7], s[4:5]
	s_cbranch_execz .LBB14_14
; %bb.7:                                ;   in Loop: Header=BB14_6 Depth=2
	v_ashrrev_i32_e32 v13, 31, v12
	v_lshlrev_b64 v[8:9], 2, v[12:13]
	v_mov_b32_e32 v4, s29
	v_add_co_u32_e32 v16, vcc, s28, v8
	v_addc_co_u32_e32 v17, vcc, v4, v9, vcc
	v_lshlrev_b64 v[8:9], 3, v[12:13]
	v_mov_b32_e32 v4, s31
	v_add_co_u32_e32 v13, vcc, s30, v8
	v_addc_co_u32_e32 v18, vcc, v4, v9, vcc
	v_mov_b32_e32 v4, 0
	s_mov_b64 s[44:45], 0
	v_pk_mov_b32 v[8:9], 0, 0
	v_mov_b32_e32 v14, v4
                                        ; implicit-def: $sgpr46_sgpr47
	s_branch .LBB14_10
.LBB14_8:                               ;   in Loop: Header=BB14_10 Depth=3
	s_or_b64 exec, exec, s[50:51]
	v_cmp_le_i32_e32 vcc, v19, v26
	v_addc_co_u32_e32 v4, vcc, 0, v4, vcc
	v_cmp_ge_i32_e32 vcc, v19, v26
	v_addc_co_u32_e32 v14, vcc, 0, v14, vcc
	v_cmp_ge_i32_e32 vcc, v4, v1
	s_andn2_b64 s[46:47], s[46:47], exec
	s_and_b64 s[50:51], vcc, exec
	s_or_b64 s[46:47], s[46:47], s[50:51]
.LBB14_9:                               ;   in Loop: Header=BB14_10 Depth=3
	s_or_b64 exec, exec, s[48:49]
	s_and_b64 s[48:49], exec, s[46:47]
	s_or_b64 s[44:45], s[48:49], s[44:45]
	s_andn2_b64 exec, exec, s[44:45]
	s_cbranch_execz .LBB14_13
.LBB14_10:                              ;   Parent Loop BB14_3 Depth=1
                                        ;     Parent Loop BB14_6 Depth=2
                                        ; =>    This Inner Loop Header: Depth=3
	v_cmp_lt_i32_e32 vcc, v14, v25
	s_or_b64 s[46:47], s[46:47], exec
	s_and_saveexec_b64 s[48:49], vcc
	s_cbranch_execz .LBB14_9
; %bb.11:                               ;   in Loop: Header=BB14_10 Depth=3
	v_lshlrev_b64 v[26:27], 2, v[4:5]
	v_add_co_u32_e32 v26, vcc, v3, v26
	v_addc_co_u32_e32 v27, vcc, v22, v27, vcc
	v_mov_b32_e32 v15, v5
	global_load_dword v19, v[26:27], off
	v_lshlrev_b64 v[26:27], 2, v[14:15]
	v_add_co_u32_e32 v26, vcc, v16, v26
	v_addc_co_u32_e32 v27, vcc, v17, v27, vcc
	global_load_dword v26, v[26:27], off
	s_waitcnt vmcnt(1)
	v_subrev_u32_e32 v19, s63, v19
	s_waitcnt vmcnt(0)
	v_subrev_u32_e32 v26, s64, v26
	v_cmp_eq_u32_e32 vcc, v19, v26
	s_and_saveexec_b64 s[50:51], vcc
	s_cbranch_execz .LBB14_8
; %bb.12:                               ;   in Loop: Header=BB14_10 Depth=3
	v_lshlrev_b64 v[28:29], 3, v[4:5]
	v_add_co_u32_e32 v28, vcc, v23, v28
	v_addc_co_u32_e32 v29, vcc, v24, v29, vcc
	v_lshlrev_b64 v[30:31], 3, v[14:15]
	v_add_co_u32_e32 v30, vcc, v13, v30
	v_addc_co_u32_e32 v31, vcc, v18, v31, vcc
	global_load_dwordx2 v[28:29], v[28:29], off
	s_nop 0
	global_load_dwordx2 v[30:31], v[30:31], off
	s_waitcnt vmcnt(0)
	v_fmac_f64_e32 v[8:9], v[28:29], v[30:31]
	s_branch .LBB14_8
.LBB14_13:                              ;   in Loop: Header=BB14_6 Depth=2
	s_or_b64 exec, exec, s[44:45]
.LBB14_14:                              ;   in Loop: Header=BB14_6 Depth=2
	s_or_b64 exec, exec, s[6:7]
	v_lshlrev_b64 v[16:17], 3, v[6:7]
	v_mov_b32_e32 v7, s23
	v_add_co_u32_e32 v16, vcc, s22, v16
	v_addc_co_u32_e32 v17, vcc, v7, v17, vcc
	global_load_dwordx2 v[16:17], v[16:17], off
	v_cmp_le_i32_e64 s[6:7], v0, v10
	v_cmp_gt_i32_e32 vcc, v0, v10
	s_waitcnt vmcnt(0)
	v_add_f64 v[8:9], v[16:17], -v[8:9]
	s_and_saveexec_b64 s[44:45], vcc
	s_cbranch_execz .LBB14_18
; %bb.15:                               ;   in Loop: Header=BB14_6 Depth=2
	v_lshlrev_b64 v[16:17], 3, v[10:11]
	v_mov_b32_e32 v7, s17
	v_add_co_u32_e32 v16, vcc, s16, v16
	v_addc_co_u32_e32 v17, vcc, v7, v17, vcc
	global_load_dwordx2 v[16:17], v[16:17], off
	v_pk_mov_b32 v[18:19], 0, 0
	s_waitcnt vmcnt(0)
	v_cmp_lg_f64_e32 vcc, 0, v[16:17]
	s_and_saveexec_b64 s[46:47], vcc
; %bb.16:                               ;   in Loop: Header=BB14_6 Depth=2
	v_div_scale_f64 v[18:19], s[48:49], v[16:17], v[16:17], v[8:9]
	v_rcp_f64_e32 v[26:27], v[18:19]
	v_div_scale_f64 v[28:29], vcc, v[8:9], v[16:17], v[8:9]
	v_fma_f64 v[30:31], -v[18:19], v[26:27], 1.0
	v_fmac_f64_e32 v[26:27], v[26:27], v[30:31]
	v_fma_f64 v[30:31], -v[18:19], v[26:27], 1.0
	v_fmac_f64_e32 v[26:27], v[26:27], v[30:31]
	v_mul_f64 v[30:31], v[28:29], v[26:27]
	v_fma_f64 v[18:19], -v[18:19], v[30:31], v[28:29]
	v_div_fmas_f64 v[18:19], v[18:19], v[26:27], v[30:31]
	v_div_fixup_f64 v[18:19], v[18:19], v[16:17], v[8:9]
; %bb.17:                               ;   in Loop: Header=BB14_6 Depth=2
	s_or_b64 exec, exec, s[46:47]
	v_pk_mov_b32 v[8:9], v[18:19], v[18:19] op_sel:[0,1]
.LBB14_18:                              ;   in Loop: Header=BB14_6 Depth=2
	s_or_b64 exec, exec, s[44:45]
	v_cmp_class_f64_e64 s[46:47], v[8:9], s66
	s_and_saveexec_b64 s[44:45], s[46:47]
	s_cbranch_execz .LBB14_5
; %bb.19:                               ;   in Loop: Header=BB14_6 Depth=2
	s_mov_b64 s[46:47], 0
                                        ; implicit-def: $vgpr16_vgpr17
	s_and_saveexec_b64 s[48:49], s[6:7]
	s_xor_b64 s[6:7], exec, s[48:49]
	s_cbranch_execnz .LBB14_22
; %bb.20:                               ;   in Loop: Header=BB14_6 Depth=2
	s_andn2_saveexec_b64 s[6:7], s[6:7]
	s_cbranch_execnz .LBB14_35
.LBB14_21:                              ;   in Loop: Header=BB14_6 Depth=2
	s_or_b64 exec, exec, s[6:7]
	s_and_b64 exec, exec, s[46:47]
	s_cbranch_execz .LBB14_5
	s_branch .LBB14_44
.LBB14_22:                              ;   in Loop: Header=BB14_6 Depth=2
	v_cmp_ge_i32_e32 vcc, v0, v10
                                        ; implicit-def: $vgpr16_vgpr17
	s_and_saveexec_b64 s[48:49], vcc
	s_xor_b64 s[48:49], exec, s[48:49]
; %bb.23:                               ;   in Loop: Header=BB14_6 Depth=2
	v_lshlrev_b64 v[10:11], 3, v[10:11]
	v_mov_b32_e32 v4, s19
	v_add_co_u32_e32 v16, vcc, s18, v10
	s_mov_b64 s[46:47], exec
	v_addc_co_u32_e32 v17, vcc, v4, v11, vcc
                                        ; implicit-def: $vgpr14
                                        ; implicit-def: $vgpr25
                                        ; implicit-def: $vgpr12
; %bb.24:                               ;   in Loop: Header=BB14_6 Depth=2
	s_andn2_saveexec_b64 s[48:49], s[48:49]
	s_cbranch_execz .LBB14_34
; %bb.25:                               ;   in Loop: Header=BB14_6 Depth=2
	v_cmp_lt_i32_e32 vcc, v14, v25
	s_mov_b64 s[52:53], s[46:47]
                                        ; implicit-def: $vgpr16_vgpr17
	s_and_saveexec_b64 s[50:51], vcc
	s_cbranch_execz .LBB14_33
; %bb.26:                               ;   in Loop: Header=BB14_6 Depth=2
	s_mov_b64 s[54:55], 0
                                        ; implicit-def: $sgpr52_sgpr53
                                        ; implicit-def: $sgpr58_sgpr59
                                        ; implicit-def: $sgpr56_sgpr57
	s_branch .LBB14_28
.LBB14_27:                              ;   in Loop: Header=BB14_28 Depth=3
	s_or_b64 exec, exec, s[60:61]
	s_and_b64 s[60:61], exec, s[58:59]
	s_or_b64 s[54:55], s[60:61], s[54:55]
	s_andn2_b64 s[52:53], s[52:53], exec
	s_and_b64 s[60:61], s[56:57], exec
	s_or_b64 s[52:53], s[52:53], s[60:61]
	s_andn2_b64 exec, exec, s[54:55]
	s_cbranch_execz .LBB14_30
.LBB14_28:                              ;   Parent Loop BB14_3 Depth=1
                                        ;     Parent Loop BB14_6 Depth=2
                                        ; =>    This Inner Loop Header: Depth=3
	v_add_u32_e32 v10, v12, v14
	v_ashrrev_i32_e32 v11, 31, v10
	v_lshlrev_b64 v[16:17], 2, v[10:11]
	v_mov_b32_e32 v4, s29
	v_add_co_u32_e32 v16, vcc, s28, v16
	v_addc_co_u32_e32 v17, vcc, v4, v17, vcc
	global_load_dword v4, v[16:17], off
	s_or_b64 s[56:57], s[56:57], exec
	s_or_b64 s[58:59], s[58:59], exec
	s_waitcnt vmcnt(0)
	v_subrev_u32_e32 v4, s64, v4
	v_cmp_ne_u32_e32 vcc, v4, v0
	s_and_saveexec_b64 s[60:61], vcc
	s_cbranch_execz .LBB14_27
; %bb.29:                               ;   in Loop: Header=BB14_28 Depth=3
	v_add_u32_e32 v14, 1, v14
	v_cmp_ge_i32_e32 vcc, v14, v25
	s_andn2_b64 s[58:59], s[58:59], exec
	s_and_b64 s[68:69], vcc, exec
	s_andn2_b64 s[56:57], s[56:57], exec
	s_or_b64 s[58:59], s[58:59], s[68:69]
	s_branch .LBB14_27
.LBB14_30:                              ;   in Loop: Header=BB14_6 Depth=2
	s_or_b64 exec, exec, s[54:55]
	s_mov_b64 s[54:55], s[46:47]
                                        ; implicit-def: $vgpr16_vgpr17
	s_and_saveexec_b64 s[56:57], s[52:53]
	s_xor_b64 s[52:53], exec, s[56:57]
; %bb.31:                               ;   in Loop: Header=BB14_6 Depth=2
	v_lshlrev_b64 v[10:11], 3, v[10:11]
	v_mov_b32_e32 v4, s39
	v_add_co_u32_e32 v16, vcc, s38, v10
	v_addc_co_u32_e32 v17, vcc, v4, v11, vcc
	s_or_b64 s[54:55], s[46:47], exec
; %bb.32:                               ;   in Loop: Header=BB14_6 Depth=2
	s_or_b64 exec, exec, s[52:53]
	s_andn2_b64 s[52:53], s[46:47], exec
	s_and_b64 s[54:55], s[54:55], exec
	s_or_b64 s[52:53], s[52:53], s[54:55]
.LBB14_33:                              ;   in Loop: Header=BB14_6 Depth=2
	s_or_b64 exec, exec, s[50:51]
	s_andn2_b64 s[46:47], s[46:47], exec
	s_and_b64 s[50:51], s[52:53], exec
	s_or_b64 s[46:47], s[46:47], s[50:51]
.LBB14_34:                              ;   in Loop: Header=BB14_6 Depth=2
	s_or_b64 exec, exec, s[48:49]
	s_and_b64 s[46:47], s[46:47], exec
                                        ; implicit-def: $vgpr10_vgpr11
	s_andn2_saveexec_b64 s[6:7], s[6:7]
	s_cbranch_execz .LBB14_21
.LBB14_35:                              ;   in Loop: Header=BB14_6 Depth=2
	v_cmp_lt_i32_e32 vcc, v4, v1
	s_mov_b64 s[50:51], s[46:47]
                                        ; implicit-def: $vgpr16_vgpr17
	s_and_saveexec_b64 s[48:49], vcc
	s_cbranch_execz .LBB14_43
; %bb.36:                               ;   in Loop: Header=BB14_6 Depth=2
	s_mov_b64 s[52:53], 0
                                        ; implicit-def: $sgpr50_sgpr51
                                        ; implicit-def: $sgpr56_sgpr57
                                        ; implicit-def: $sgpr54_sgpr55
	s_branch .LBB14_38
.LBB14_37:                              ;   in Loop: Header=BB14_38 Depth=3
	s_or_b64 exec, exec, s[58:59]
	s_and_b64 s[58:59], exec, s[56:57]
	s_or_b64 s[52:53], s[58:59], s[52:53]
	s_andn2_b64 s[50:51], s[50:51], exec
	s_and_b64 s[58:59], s[54:55], exec
	s_or_b64 s[50:51], s[50:51], s[58:59]
	s_andn2_b64 exec, exec, s[52:53]
	s_cbranch_execz .LBB14_40
.LBB14_38:                              ;   Parent Loop BB14_3 Depth=1
                                        ;     Parent Loop BB14_6 Depth=2
                                        ; =>    This Inner Loop Header: Depth=3
	v_add_u32_e32 v12, v2, v4
	v_ashrrev_i32_e32 v13, 31, v12
	v_lshlrev_b64 v[14:15], 2, v[12:13]
	v_mov_b32_e32 v7, s13
	v_add_co_u32_e32 v14, vcc, s12, v14
	v_addc_co_u32_e32 v15, vcc, v7, v15, vcc
	global_load_dword v7, v[14:15], off
	s_or_b64 s[54:55], s[54:55], exec
	s_or_b64 s[56:57], s[56:57], exec
	s_waitcnt vmcnt(0)
	v_subrev_u32_e32 v7, s63, v7
	v_cmp_ne_u32_e32 vcc, v7, v10
	s_and_saveexec_b64 s[58:59], vcc
	s_cbranch_execz .LBB14_37
; %bb.39:                               ;   in Loop: Header=BB14_38 Depth=3
	v_add_u32_e32 v4, 1, v4
	v_cmp_ge_i32_e32 vcc, v4, v1
	s_andn2_b64 s[56:57], s[56:57], exec
	s_and_b64 s[60:61], vcc, exec
	s_andn2_b64 s[54:55], s[54:55], exec
	s_or_b64 s[56:57], s[56:57], s[60:61]
	s_branch .LBB14_37
.LBB14_40:                              ;   in Loop: Header=BB14_6 Depth=2
	s_or_b64 exec, exec, s[52:53]
	s_mov_b64 s[52:53], s[46:47]
                                        ; implicit-def: $vgpr16_vgpr17
	s_and_saveexec_b64 s[54:55], s[50:51]
	s_xor_b64 s[50:51], exec, s[54:55]
; %bb.41:                               ;   in Loop: Header=BB14_6 Depth=2
	v_lshlrev_b64 v[10:11], 3, v[12:13]
	v_mov_b32_e32 v4, s37
	v_add_co_u32_e32 v16, vcc, s36, v10
	v_addc_co_u32_e32 v17, vcc, v4, v11, vcc
	s_or_b64 s[52:53], s[46:47], exec
; %bb.42:                               ;   in Loop: Header=BB14_6 Depth=2
	s_or_b64 exec, exec, s[50:51]
	s_andn2_b64 s[50:51], s[46:47], exec
	s_and_b64 s[52:53], s[52:53], exec
	s_or_b64 s[50:51], s[50:51], s[52:53]
.LBB14_43:                              ;   in Loop: Header=BB14_6 Depth=2
	s_or_b64 exec, exec, s[48:49]
	s_andn2_b64 s[46:47], s[46:47], exec
	s_and_b64 s[48:49], s[50:51], exec
	s_or_b64 s[46:47], s[46:47], s[48:49]
	s_or_b64 exec, exec, s[6:7]
	s_and_b64 exec, exec, s[46:47]
	s_cbranch_execz .LBB14_5
.LBB14_44:                              ;   in Loop: Header=BB14_6 Depth=2
	global_store_dwordx2 v[16:17], v[8:9], off
	s_branch .LBB14_5
.LBB14_45:                              ;   in Loop: Header=BB14_3 Depth=1
	s_or_b64 exec, exec, s[40:41]
	s_and_saveexec_b64 s[6:7], s[0:1]
	s_cbranch_execz .LBB14_2
; %bb.46:                               ;   in Loop: Header=BB14_3 Depth=1
	s_mov_b64 s[40:41], 0
	v_mov_b32_e32 v6, v0
	s_branch .LBB14_49
.LBB14_47:                              ;   in Loop: Header=BB14_49 Depth=2
	s_or_b64 exec, exec, s[44:45]
	v_lshlrev_b64 v[8:9], 3, v[6:7]
	v_mov_b32_e32 v4, s19
	v_add_co_u32_e32 v10, vcc, s18, v8
	v_addc_co_u32_e32 v11, vcc, v4, v9, vcc
	global_load_dwordx2 v[10:11], v[10:11], off
	v_mov_b32_e32 v4, s17
	v_add_co_u32_e32 v8, vcc, s16, v8
	v_addc_co_u32_e32 v9, vcc, v4, v9, vcc
	s_waitcnt vmcnt(0)
	global_store_dwordx2 v[8:9], v[10:11], off
.LBB14_48:                              ;   in Loop: Header=BB14_49 Depth=2
	s_or_b64 exec, exec, s[42:43]
	v_add_u32_e32 v6, 0x400, v6
	v_cmp_le_u32_e32 vcc, s65, v6
	s_or_b64 s[40:41], vcc, s[40:41]
	s_andn2_b64 exec, exec, s[40:41]
	s_cbranch_execz .LBB14_2
.LBB14_49:                              ;   Parent Loop BB14_3 Depth=1
                                        ; =>  This Loop Header: Depth=2
                                        ;       Child Loop BB14_52 Depth 3
                                        ;       Child Loop BB14_55 Depth 3
	v_cmp_gt_i32_e32 vcc, s35, v6
	s_and_saveexec_b64 s[42:43], vcc
	s_cbranch_execz .LBB14_48
; %bb.50:                               ;   in Loop: Header=BB14_49 Depth=2
	v_ashrrev_i32_e32 v7, 31, v6
	v_lshlrev_b64 v[8:9], 2, v[6:7]
	v_mov_b32_e32 v4, s9
	v_add_co_u32_e32 v10, vcc, s8, v8
	v_addc_co_u32_e32 v11, vcc, v4, v9, vcc
	v_mov_b32_e32 v4, s11
	v_add_co_u32_e32 v12, vcc, s10, v8
	v_addc_co_u32_e32 v13, vcc, v4, v9, vcc
	global_load_dword v10, v[10:11], off
	s_nop 0
	global_load_dword v4, v[12:13], off
	s_waitcnt vmcnt(0)
	v_cmp_lt_i32_e32 vcc, v10, v4
	s_and_saveexec_b64 s[44:45], vcc
	s_cbranch_execz .LBB14_53
; %bb.51:                               ;   in Loop: Header=BB14_49 Depth=2
	v_subrev_u32_e32 v10, s63, v10
	v_ashrrev_i32_e32 v11, 31, v10
	v_lshlrev_b64 v[14:15], 3, v[10:11]
	v_mov_b32_e32 v11, s37
	v_add_co_u32_e32 v12, vcc, s36, v14
	v_addc_co_u32_e32 v13, vcc, v11, v15, vcc
	v_mov_b32_e32 v11, s15
	v_add_co_u32_e32 v14, vcc, s14, v14
	v_subrev_u32_e32 v4, s63, v4
	v_addc_co_u32_e32 v15, vcc, v11, v15, vcc
	s_mov_b64 s[46:47], 0
.LBB14_52:                              ;   Parent Loop BB14_3 Depth=1
                                        ;     Parent Loop BB14_49 Depth=2
                                        ; =>    This Inner Loop Header: Depth=3
	global_load_dwordx2 v[16:17], v[12:13], off
	v_add_co_u32_e32 v12, vcc, 8, v12
	v_add_u32_e32 v10, 1, v10
	v_addc_co_u32_e32 v13, vcc, 0, v13, vcc
	v_cmp_ge_i32_e32 vcc, v10, v4
	s_or_b64 s[46:47], vcc, s[46:47]
	s_waitcnt vmcnt(0)
	global_store_dwordx2 v[14:15], v[16:17], off
	v_add_co_u32_e32 v14, vcc, 8, v14
	v_addc_co_u32_e32 v15, vcc, 0, v15, vcc
	s_andn2_b64 exec, exec, s[46:47]
	s_cbranch_execnz .LBB14_52
.LBB14_53:                              ;   in Loop: Header=BB14_49 Depth=2
	s_or_b64 exec, exec, s[44:45]
	v_mov_b32_e32 v4, s25
	v_add_co_u32_e32 v10, vcc, s24, v8
	v_addc_co_u32_e32 v11, vcc, v4, v9, vcc
	v_mov_b32_e32 v4, s27
	v_add_co_u32_e32 v8, vcc, s26, v8
	v_addc_co_u32_e32 v9, vcc, v4, v9, vcc
	global_load_dword v10, v[10:11], off
	s_nop 0
	global_load_dword v4, v[8:9], off
	s_waitcnt vmcnt(0)
	v_cmp_lt_i32_e32 vcc, v10, v4
	s_and_saveexec_b64 s[44:45], vcc
	s_cbranch_execz .LBB14_47
; %bb.54:                               ;   in Loop: Header=BB14_49 Depth=2
	v_subrev_u32_e32 v8, s64, v10
	v_ashrrev_i32_e32 v9, 31, v8
	v_lshlrev_b64 v[12:13], 3, v[8:9]
	v_mov_b32_e32 v9, s39
	v_add_co_u32_e32 v10, vcc, s38, v12
	v_addc_co_u32_e32 v11, vcc, v9, v13, vcc
	v_mov_b32_e32 v9, s31
	v_add_co_u32_e32 v12, vcc, s30, v12
	v_subrev_u32_e32 v4, s64, v4
	v_addc_co_u32_e32 v13, vcc, v9, v13, vcc
	s_mov_b64 s[46:47], 0
.LBB14_55:                              ;   Parent Loop BB14_3 Depth=1
                                        ;     Parent Loop BB14_49 Depth=2
                                        ; =>    This Inner Loop Header: Depth=3
	global_load_dwordx2 v[14:15], v[10:11], off
	v_add_co_u32_e32 v10, vcc, 8, v10
	v_add_u32_e32 v8, 1, v8
	v_addc_co_u32_e32 v11, vcc, 0, v11, vcc
	v_cmp_ge_i32_e32 vcc, v8, v4
	s_or_b64 s[46:47], vcc, s[46:47]
	s_waitcnt vmcnt(0)
	global_store_dwordx2 v[12:13], v[14:15], off
	v_add_co_u32_e32 v12, vcc, 8, v12
	v_addc_co_u32_e32 v13, vcc, 0, v13, vcc
	s_andn2_b64 exec, exec, s[46:47]
	s_cbranch_execnz .LBB14_55
	s_branch .LBB14_47
.LBB14_56:
	s_endpgm
	.section	.rodata,"a",@progbits
	.p2align	6, 0x0
	.amdhsa_kernel _ZN9rocsparseL14kernel_freerunILi1024ELi1EdiiEEvT3_S1_T2_PKS2_S4_PKS1_PKT1_21rocsparse_index_base_S4_S4_S6_PS7_SB_SA_S4_S4_S6_SB_SB_SA_SB_SB_
		.amdhsa_group_segment_fixed_size 0
		.amdhsa_private_segment_fixed_size 0
		.amdhsa_kernarg_size 168
		.amdhsa_user_sgpr_count 6
		.amdhsa_user_sgpr_private_segment_buffer 1
		.amdhsa_user_sgpr_dispatch_ptr 0
		.amdhsa_user_sgpr_queue_ptr 0
		.amdhsa_user_sgpr_kernarg_segment_ptr 1
		.amdhsa_user_sgpr_dispatch_id 0
		.amdhsa_user_sgpr_flat_scratch_init 0
		.amdhsa_user_sgpr_kernarg_preload_length 0
		.amdhsa_user_sgpr_kernarg_preload_offset 0
		.amdhsa_user_sgpr_private_segment_size 0
		.amdhsa_uses_dynamic_stack 0
		.amdhsa_system_sgpr_private_segment_wavefront_offset 0
		.amdhsa_system_sgpr_workgroup_id_x 1
		.amdhsa_system_sgpr_workgroup_id_y 0
		.amdhsa_system_sgpr_workgroup_id_z 0
		.amdhsa_system_sgpr_workgroup_info 0
		.amdhsa_system_vgpr_workitem_id 0
		.amdhsa_next_free_vgpr 32
		.amdhsa_next_free_sgpr 70
		.amdhsa_accum_offset 32
		.amdhsa_reserve_vcc 1
		.amdhsa_reserve_flat_scratch 0
		.amdhsa_float_round_mode_32 0
		.amdhsa_float_round_mode_16_64 0
		.amdhsa_float_denorm_mode_32 3
		.amdhsa_float_denorm_mode_16_64 3
		.amdhsa_dx10_clamp 1
		.amdhsa_ieee_mode 1
		.amdhsa_fp16_overflow 0
		.amdhsa_tg_split 0
		.amdhsa_exception_fp_ieee_invalid_op 0
		.amdhsa_exception_fp_denorm_src 0
		.amdhsa_exception_fp_ieee_div_zero 0
		.amdhsa_exception_fp_ieee_overflow 0
		.amdhsa_exception_fp_ieee_underflow 0
		.amdhsa_exception_fp_ieee_inexact 0
		.amdhsa_exception_int_div_zero 0
	.end_amdhsa_kernel
	.section	.text._ZN9rocsparseL14kernel_freerunILi1024ELi1EdiiEEvT3_S1_T2_PKS2_S4_PKS1_PKT1_21rocsparse_index_base_S4_S4_S6_PS7_SB_SA_S4_S4_S6_SB_SB_SA_SB_SB_,"axG",@progbits,_ZN9rocsparseL14kernel_freerunILi1024ELi1EdiiEEvT3_S1_T2_PKS2_S4_PKS1_PKT1_21rocsparse_index_base_S4_S4_S6_PS7_SB_SA_S4_S4_S6_SB_SB_SA_SB_SB_,comdat
.Lfunc_end14:
	.size	_ZN9rocsparseL14kernel_freerunILi1024ELi1EdiiEEvT3_S1_T2_PKS2_S4_PKS1_PKT1_21rocsparse_index_base_S4_S4_S6_PS7_SB_SA_S4_S4_S6_SB_SB_SA_SB_SB_, .Lfunc_end14-_ZN9rocsparseL14kernel_freerunILi1024ELi1EdiiEEvT3_S1_T2_PKS2_S4_PKS1_PKT1_21rocsparse_index_base_S4_S4_S6_PS7_SB_SA_S4_S4_S6_SB_SB_SA_SB_SB_
                                        ; -- End function
	.section	.AMDGPU.csdata,"",@progbits
; Kernel info:
; codeLenInByte = 2068
; NumSgprs: 74
; NumVgprs: 32
; NumAgprs: 0
; TotalNumVgprs: 32
; ScratchSize: 0
; MemoryBound: 1
; FloatMode: 240
; IeeeMode: 1
; LDSByteSize: 0 bytes/workgroup (compile time only)
; SGPRBlocks: 9
; VGPRBlocks: 3
; NumSGPRsForWavesPerEU: 74
; NumVGPRsForWavesPerEU: 32
; AccumOffset: 32
; Occupancy: 8
; WaveLimiterHint : 1
; COMPUTE_PGM_RSRC2:SCRATCH_EN: 0
; COMPUTE_PGM_RSRC2:USER_SGPR: 6
; COMPUTE_PGM_RSRC2:TRAP_HANDLER: 0
; COMPUTE_PGM_RSRC2:TGID_X_EN: 1
; COMPUTE_PGM_RSRC2:TGID_Y_EN: 0
; COMPUTE_PGM_RSRC2:TGID_Z_EN: 0
; COMPUTE_PGM_RSRC2:TIDIG_COMP_CNT: 0
; COMPUTE_PGM_RSRC3_GFX90A:ACCUM_OFFSET: 7
; COMPUTE_PGM_RSRC3_GFX90A:TG_SPLIT: 0
	.section	.text._ZN9rocsparseL14kernel_freerunILi1024ELi2EdiiEEvT3_S1_T2_PKS2_S4_PKS1_PKT1_21rocsparse_index_base_S4_S4_S6_PS7_SB_SA_S4_S4_S6_SB_SB_SA_SB_SB_,"axG",@progbits,_ZN9rocsparseL14kernel_freerunILi1024ELi2EdiiEEvT3_S1_T2_PKS2_S4_PKS1_PKT1_21rocsparse_index_base_S4_S4_S6_PS7_SB_SA_S4_S4_S6_SB_SB_SA_SB_SB_,comdat
	.globl	_ZN9rocsparseL14kernel_freerunILi1024ELi2EdiiEEvT3_S1_T2_PKS2_S4_PKS1_PKT1_21rocsparse_index_base_S4_S4_S6_PS7_SB_SA_S4_S4_S6_SB_SB_SA_SB_SB_ ; -- Begin function _ZN9rocsparseL14kernel_freerunILi1024ELi2EdiiEEvT3_S1_T2_PKS2_S4_PKS1_PKT1_21rocsparse_index_base_S4_S4_S6_PS7_SB_SA_S4_S4_S6_SB_SB_SA_SB_SB_
	.p2align	8
	.type	_ZN9rocsparseL14kernel_freerunILi1024ELi2EdiiEEvT3_S1_T2_PKS2_S4_PKS1_PKT1_21rocsparse_index_base_S4_S4_S6_PS7_SB_SA_S4_S4_S6_SB_SB_SA_SB_SB_,@function
_ZN9rocsparseL14kernel_freerunILi1024ELi2EdiiEEvT3_S1_T2_PKS2_S4_PKS1_PKT1_21rocsparse_index_base_S4_S4_S6_PS7_SB_SA_S4_S4_S6_SB_SB_SA_SB_SB_: ; @_ZN9rocsparseL14kernel_freerunILi1024ELi2EdiiEEvT3_S1_T2_PKS2_S4_PKS1_PKT1_21rocsparse_index_base_S4_S4_S6_PS7_SB_SA_S4_S4_S6_SB_SB_SA_SB_SB_
; %bb.0:
	s_load_dwordx2 s[14:15], s[4:5], 0x0
	v_lshrrev_b32_e32 v1, 1, v0
	s_lshl_b32 s71, s6, 10
	v_or_b32_e32 v2, s71, v1
	s_mov_b32 s33, 0
	s_waitcnt lgkmcnt(0)
	s_cmp_gt_i32 s14, 0
	v_cmp_gt_i32_e32 vcc, s15, v2
	s_cselect_b64 s[0:1], -1, 0
	s_and_b64 s[0:1], vcc, s[0:1]
	s_and_saveexec_b64 s[2:3], s[0:1]
	s_cbranch_execz .LBB15_100
; %bb.1:
	s_load_dwordx8 s[16:23], s[4:5], 0x38
	s_load_dwordx8 s[24:31], s[4:5], 0x10
	v_ashrrev_i32_e32 v3, 31, v2
	v_lshlrev_b64 v[10:11], 2, v[2:3]
	v_and_b32_e32 v0, 1, v0
	s_waitcnt lgkmcnt(0)
	v_mov_b32_e32 v1, s19
	v_add_co_u32_e32 v4, vcc, s18, v10
	v_addc_co_u32_e32 v5, vcc, v1, v11, vcc
	v_mov_b32_e32 v3, s17
	v_add_co_u32_e32 v6, vcc, s16, v10
	v_addc_co_u32_e32 v7, vcc, v3, v11, vcc
	v_mov_b32_e32 v3, s25
	v_add_co_u32_e32 v8, vcc, s24, v10
	global_load_dword v12, v[6:7], off
	v_addc_co_u32_e32 v9, vcc, v3, v11, vcc
	global_load_dword v1, v[4:5], off
	v_mov_b32_e32 v3, s27
	v_add_co_u32_e32 v10, vcc, s26, v10
	global_load_dword v13, v[8:9], off
	v_addc_co_u32_e32 v11, vcc, v3, v11, vcc
	global_load_dword v14, v[10:11], off
	s_load_dwordx4 s[24:27], s[4:5], 0x98
	s_load_dwordx8 s[36:43], s[4:5], 0x68
	s_load_dword s68, s[4:5], 0x30
	s_load_dwordx2 s[34:35], s[4:5], 0x58
	s_load_dword s69, s[4:5], 0x60
	s_load_dwordx2 s[44:45], s[4:5], 0x88
	s_load_dword s70, s[4:5], 0x90
	v_cmp_eq_u32_e64 s[2:3], 0, v0
	s_waitcnt lgkmcnt(0)
	v_subrev_u32_e32 v30, s68, v0
	v_subrev_u32_e32 v31, s69, v0
	v_mov_b32_e32 v16, s21
	v_subrev_u32_e32 v32, s70, v0
	s_addk_i32 s71, 0x400
	v_or_b32_e32 v3, 0x200, v2
	v_mov_b32_e32 v17, s23
	s_movk_i32 s72, 0x1f8
	v_cmp_gt_u32_e64 s[0:1], s71, v2
	v_cmp_gt_i32_e64 s[4:5], s15, v3
	s_waitcnt vmcnt(3)
	v_subrev_u32_e32 v0, s69, v12
	s_waitcnt vmcnt(2)
	v_sub_u32_e32 v33, v1, v12
	v_ashrrev_i32_e32 v1, 31, v0
	v_cmp_lt_i32_e64 s[8:9], 0, v33
	s_waitcnt vmcnt(1)
	v_add_u32_e32 v34, v30, v13
	v_lshlrev_b64 v[12:13], 2, v[0:1]
	s_waitcnt vmcnt(0)
	v_subrev_u32_e32 v35, s68, v14
	v_lshlrev_b64 v[14:15], 3, v[0:1]
	v_add_co_u32_e32 v1, vcc, s20, v12
	v_addc_co_u32_e32 v36, vcc, v16, v13, vcc
	v_add_co_u32_e32 v37, vcc, s22, v14
	v_cmp_lt_i32_e64 s[6:7], v34, v35
	v_addc_co_u32_e32 v38, vcc, v17, v15, vcc
	v_mov_b32_e32 v13, 0
	s_branch .LBB15_3
.LBB15_2:                               ;   in Loop: Header=BB15_3 Depth=1
	s_or_b64 exec, exec, s[10:11]
	s_add_i32 s33, s33, 1
	s_cmp_eq_u32 s33, s14
	s_cbranch_scc1 .LBB15_100
.LBB15_3:                               ; =>This Loop Header: Depth=1
                                        ;     Child Loop BB15_6 Depth 2
                                        ;       Child Loop BB15_10 Depth 3
                                        ;       Child Loop BB15_28 Depth 3
	;; [unrolled: 1-line block ×3, first 2 shown]
                                        ;     Child Loop BB15_49 Depth 2
                                        ;       Child Loop BB15_53 Depth 3
                                        ;       Child Loop BB15_71 Depth 3
	;; [unrolled: 1-line block ×3, first 2 shown]
                                        ;     Child Loop BB15_91 Depth 2
                                        ;       Child Loop BB15_94 Depth 3
                                        ;       Child Loop BB15_97 Depth 3
	s_and_saveexec_b64 s[12:13], s[6:7]
	s_cbranch_execz .LBB15_45
; %bb.4:                                ;   in Loop: Header=BB15_3 Depth=1
	s_mov_b64 s[46:47], 0
	v_mov_b32_e32 v14, v34
	s_branch .LBB15_6
.LBB15_5:                               ;   in Loop: Header=BB15_6 Depth=2
	s_or_b64 exec, exec, s[48:49]
	v_add_u32_e32 v14, 2, v14
	v_cmp_ge_i32_e32 vcc, v14, v35
	s_or_b64 s[46:47], vcc, s[46:47]
	s_andn2_b64 exec, exec, s[46:47]
	s_cbranch_execz .LBB15_45
.LBB15_6:                               ;   Parent Loop BB15_3 Depth=1
                                        ; =>  This Loop Header: Depth=2
                                        ;       Child Loop BB15_10 Depth 3
                                        ;       Child Loop BB15_28 Depth 3
	;; [unrolled: 1-line block ×3, first 2 shown]
	v_ashrrev_i32_e32 v15, 31, v14
	v_lshlrev_b64 v[16:17], 2, v[14:15]
	v_mov_b32_e32 v12, s29
	v_add_co_u32_e32 v16, vcc, s28, v16
	v_addc_co_u32_e32 v17, vcc, v12, v17, vcc
	global_load_dword v12, v[16:17], off
	v_mov_b32_e32 v21, s37
	v_mov_b32_e32 v22, s39
	s_waitcnt vmcnt(0)
	v_subrev_u32_e32 v18, s68, v12
	v_ashrrev_i32_e32 v19, 31, v18
	v_lshlrev_b64 v[16:17], 2, v[18:19]
	v_add_co_u32_e32 v20, vcc, s36, v16
	v_addc_co_u32_e32 v21, vcc, v21, v17, vcc
	v_add_co_u32_e32 v16, vcc, s38, v16
	v_addc_co_u32_e32 v17, vcc, v22, v17, vcc
	global_load_dword v12, v[20:21], off
	s_nop 0
	global_load_dword v21, v[16:17], off
	v_pk_mov_b32 v[16:17], 0, 0
	v_mov_b32_e32 v22, 0
	s_waitcnt vmcnt(1)
	v_subrev_u32_e32 v20, s70, v12
	s_waitcnt vmcnt(0)
	v_sub_u32_e32 v28, v21, v12
	v_mov_b32_e32 v12, 0
	s_and_saveexec_b64 s[10:11], s[8:9]
	s_cbranch_execz .LBB15_14
; %bb.7:                                ;   in Loop: Header=BB15_6 Depth=2
	v_ashrrev_i32_e32 v21, 31, v20
	v_lshlrev_b64 v[16:17], 2, v[20:21]
	v_mov_b32_e32 v12, s41
	v_add_co_u32_e32 v24, vcc, s40, v16
	v_addc_co_u32_e32 v25, vcc, v12, v17, vcc
	v_lshlrev_b64 v[16:17], 3, v[20:21]
	v_mov_b32_e32 v12, s43
	v_add_co_u32_e32 v21, vcc, s42, v16
	v_addc_co_u32_e32 v26, vcc, v12, v17, vcc
	v_mov_b32_e32 v12, 0
	s_mov_b64 s[48:49], 0
	v_pk_mov_b32 v[16:17], 0, 0
	v_mov_b32_e32 v22, v12
                                        ; implicit-def: $sgpr50_sgpr51
	s_branch .LBB15_10
.LBB15_8:                               ;   in Loop: Header=BB15_10 Depth=3
	s_or_b64 exec, exec, s[54:55]
	v_cmp_le_i32_e32 vcc, v27, v29
	v_addc_co_u32_e32 v12, vcc, 0, v12, vcc
	v_cmp_ge_i32_e32 vcc, v27, v29
	v_addc_co_u32_e32 v22, vcc, 0, v22, vcc
	v_cmp_ge_i32_e32 vcc, v12, v33
	s_andn2_b64 s[50:51], s[50:51], exec
	s_and_b64 s[54:55], vcc, exec
	s_or_b64 s[50:51], s[50:51], s[54:55]
.LBB15_9:                               ;   in Loop: Header=BB15_10 Depth=3
	s_or_b64 exec, exec, s[52:53]
	s_and_b64 s[52:53], exec, s[50:51]
	s_or_b64 s[48:49], s[52:53], s[48:49]
	s_andn2_b64 exec, exec, s[48:49]
	s_cbranch_execz .LBB15_13
.LBB15_10:                              ;   Parent Loop BB15_3 Depth=1
                                        ;     Parent Loop BB15_6 Depth=2
                                        ; =>    This Inner Loop Header: Depth=3
	v_cmp_lt_i32_e32 vcc, v22, v28
	s_or_b64 s[50:51], s[50:51], exec
	s_and_saveexec_b64 s[52:53], vcc
	s_cbranch_execz .LBB15_9
; %bb.11:                               ;   in Loop: Header=BB15_10 Depth=3
	v_lshlrev_b64 v[40:41], 2, v[12:13]
	v_add_co_u32_e32 v40, vcc, v1, v40
	v_addc_co_u32_e32 v41, vcc, v36, v41, vcc
	v_mov_b32_e32 v23, v13
	global_load_dword v27, v[40:41], off
	v_lshlrev_b64 v[40:41], 2, v[22:23]
	v_add_co_u32_e32 v40, vcc, v24, v40
	v_addc_co_u32_e32 v41, vcc, v25, v41, vcc
	global_load_dword v29, v[40:41], off
	s_waitcnt vmcnt(1)
	v_subrev_u32_e32 v27, s69, v27
	s_waitcnt vmcnt(0)
	v_subrev_u32_e32 v29, s70, v29
	v_cmp_eq_u32_e32 vcc, v27, v29
	s_and_saveexec_b64 s[54:55], vcc
	s_cbranch_execz .LBB15_8
; %bb.12:                               ;   in Loop: Header=BB15_10 Depth=3
	v_lshlrev_b64 v[40:41], 3, v[12:13]
	v_add_co_u32_e32 v40, vcc, v37, v40
	v_addc_co_u32_e32 v41, vcc, v38, v41, vcc
	v_lshlrev_b64 v[42:43], 3, v[22:23]
	v_add_co_u32_e32 v42, vcc, v21, v42
	v_addc_co_u32_e32 v43, vcc, v26, v43, vcc
	global_load_dwordx2 v[40:41], v[40:41], off
	s_nop 0
	global_load_dwordx2 v[42:43], v[42:43], off
	s_waitcnt vmcnt(0)
	v_fmac_f64_e32 v[16:17], v[40:41], v[42:43]
	s_branch .LBB15_8
.LBB15_13:                              ;   in Loop: Header=BB15_6 Depth=2
	s_or_b64 exec, exec, s[48:49]
.LBB15_14:                              ;   in Loop: Header=BB15_6 Depth=2
	s_or_b64 exec, exec, s[10:11]
	v_lshlrev_b64 v[24:25], 3, v[14:15]
	v_mov_b32_e32 v15, s31
	v_add_co_u32_e32 v24, vcc, s30, v24
	v_addc_co_u32_e32 v25, vcc, v15, v25, vcc
	global_load_dwordx2 v[24:25], v[24:25], off
	v_cmp_le_i32_e64 s[10:11], v2, v18
	v_cmp_gt_i32_e32 vcc, v2, v18
	s_waitcnt vmcnt(0)
	v_add_f64 v[16:17], v[24:25], -v[16:17]
	s_and_saveexec_b64 s[48:49], vcc
	s_cbranch_execz .LBB15_18
; %bb.15:                               ;   in Loop: Header=BB15_6 Depth=2
	v_lshlrev_b64 v[24:25], 3, v[18:19]
	v_mov_b32_e32 v15, s25
	v_add_co_u32_e32 v24, vcc, s24, v24
	v_addc_co_u32_e32 v25, vcc, v15, v25, vcc
	global_load_dwordx2 v[24:25], v[24:25], off
	v_pk_mov_b32 v[26:27], 0, 0
	s_waitcnt vmcnt(0)
	v_cmp_lg_f64_e32 vcc, 0, v[24:25]
	s_and_saveexec_b64 s[50:51], vcc
; %bb.16:                               ;   in Loop: Header=BB15_6 Depth=2
	v_div_scale_f64 v[26:27], s[52:53], v[24:25], v[24:25], v[16:17]
	v_rcp_f64_e32 v[40:41], v[26:27]
	v_div_scale_f64 v[42:43], vcc, v[16:17], v[24:25], v[16:17]
	v_fma_f64 v[44:45], -v[26:27], v[40:41], 1.0
	v_fmac_f64_e32 v[40:41], v[40:41], v[44:45]
	v_fma_f64 v[44:45], -v[26:27], v[40:41], 1.0
	v_fmac_f64_e32 v[40:41], v[40:41], v[44:45]
	v_mul_f64 v[44:45], v[42:43], v[40:41]
	v_fma_f64 v[26:27], -v[26:27], v[44:45], v[42:43]
	v_div_fmas_f64 v[26:27], v[26:27], v[40:41], v[44:45]
	v_div_fixup_f64 v[26:27], v[26:27], v[24:25], v[16:17]
; %bb.17:                               ;   in Loop: Header=BB15_6 Depth=2
	s_or_b64 exec, exec, s[50:51]
	v_pk_mov_b32 v[16:17], v[26:27], v[26:27] op_sel:[0,1]
.LBB15_18:                              ;   in Loop: Header=BB15_6 Depth=2
	s_or_b64 exec, exec, s[48:49]
	v_cmp_class_f64_e64 s[50:51], v[16:17], s72
	s_and_saveexec_b64 s[48:49], s[50:51]
	s_cbranch_execz .LBB15_5
; %bb.19:                               ;   in Loop: Header=BB15_6 Depth=2
	s_mov_b64 s[50:51], 0
                                        ; implicit-def: $vgpr24_vgpr25
	s_and_saveexec_b64 s[52:53], s[10:11]
	s_xor_b64 s[10:11], exec, s[52:53]
	s_cbranch_execnz .LBB15_22
; %bb.20:                               ;   in Loop: Header=BB15_6 Depth=2
	s_andn2_saveexec_b64 s[10:11], s[10:11]
	s_cbranch_execnz .LBB15_35
.LBB15_21:                              ;   in Loop: Header=BB15_6 Depth=2
	s_or_b64 exec, exec, s[10:11]
	s_and_b64 exec, exec, s[50:51]
	s_cbranch_execz .LBB15_5
	s_branch .LBB15_44
.LBB15_22:                              ;   in Loop: Header=BB15_6 Depth=2
	v_cmp_ge_i32_e32 vcc, v2, v18
                                        ; implicit-def: $vgpr24_vgpr25
	s_and_saveexec_b64 s[52:53], vcc
	s_xor_b64 s[52:53], exec, s[52:53]
; %bb.23:                               ;   in Loop: Header=BB15_6 Depth=2
	v_lshlrev_b64 v[18:19], 3, v[18:19]
	v_mov_b32_e32 v12, s27
	v_add_co_u32_e32 v24, vcc, s26, v18
	s_mov_b64 s[50:51], exec
	v_addc_co_u32_e32 v25, vcc, v12, v19, vcc
                                        ; implicit-def: $vgpr22
                                        ; implicit-def: $vgpr28
                                        ; implicit-def: $vgpr20
; %bb.24:                               ;   in Loop: Header=BB15_6 Depth=2
	s_andn2_saveexec_b64 s[52:53], s[52:53]
	s_cbranch_execz .LBB15_34
; %bb.25:                               ;   in Loop: Header=BB15_6 Depth=2
	v_cmp_lt_i32_e32 vcc, v22, v28
	s_mov_b64 s[56:57], s[50:51]
                                        ; implicit-def: $vgpr24_vgpr25
	s_and_saveexec_b64 s[54:55], vcc
	s_cbranch_execz .LBB15_33
; %bb.26:                               ;   in Loop: Header=BB15_6 Depth=2
	s_mov_b64 s[58:59], 0
                                        ; implicit-def: $sgpr56_sgpr57
                                        ; implicit-def: $sgpr62_sgpr63
                                        ; implicit-def: $sgpr60_sgpr61
	s_branch .LBB15_28
.LBB15_27:                              ;   in Loop: Header=BB15_28 Depth=3
	s_or_b64 exec, exec, s[64:65]
	s_and_b64 s[64:65], exec, s[62:63]
	s_or_b64 s[58:59], s[64:65], s[58:59]
	s_andn2_b64 s[56:57], s[56:57], exec
	s_and_b64 s[64:65], s[60:61], exec
	s_or_b64 s[56:57], s[56:57], s[64:65]
	s_andn2_b64 exec, exec, s[58:59]
	s_cbranch_execz .LBB15_30
.LBB15_28:                              ;   Parent Loop BB15_3 Depth=1
                                        ;     Parent Loop BB15_6 Depth=2
                                        ; =>    This Inner Loop Header: Depth=3
	v_add_u32_e32 v18, v20, v22
	v_ashrrev_i32_e32 v19, 31, v18
	v_lshlrev_b64 v[24:25], 2, v[18:19]
	v_mov_b32_e32 v12, s41
	v_add_co_u32_e32 v24, vcc, s40, v24
	v_addc_co_u32_e32 v25, vcc, v12, v25, vcc
	global_load_dword v12, v[24:25], off
	s_or_b64 s[60:61], s[60:61], exec
	s_or_b64 s[62:63], s[62:63], exec
	s_waitcnt vmcnt(0)
	v_subrev_u32_e32 v12, s70, v12
	v_cmp_ne_u32_e32 vcc, v12, v2
	s_and_saveexec_b64 s[64:65], vcc
	s_cbranch_execz .LBB15_27
; %bb.29:                               ;   in Loop: Header=BB15_28 Depth=3
	v_add_u32_e32 v22, 1, v22
	v_cmp_ge_i32_e32 vcc, v22, v28
	s_andn2_b64 s[62:63], s[62:63], exec
	s_and_b64 s[66:67], vcc, exec
	s_andn2_b64 s[60:61], s[60:61], exec
	s_or_b64 s[62:63], s[62:63], s[66:67]
	s_branch .LBB15_27
.LBB15_30:                              ;   in Loop: Header=BB15_6 Depth=2
	s_or_b64 exec, exec, s[58:59]
	s_mov_b64 s[58:59], s[50:51]
                                        ; implicit-def: $vgpr24_vgpr25
	s_and_saveexec_b64 s[60:61], s[56:57]
	s_xor_b64 s[56:57], exec, s[60:61]
; %bb.31:                               ;   in Loop: Header=BB15_6 Depth=2
	v_lshlrev_b64 v[18:19], 3, v[18:19]
	v_mov_b32_e32 v12, s45
	v_add_co_u32_e32 v24, vcc, s44, v18
	v_addc_co_u32_e32 v25, vcc, v12, v19, vcc
	s_or_b64 s[58:59], s[50:51], exec
; %bb.32:                               ;   in Loop: Header=BB15_6 Depth=2
	s_or_b64 exec, exec, s[56:57]
	s_andn2_b64 s[56:57], s[50:51], exec
	s_and_b64 s[58:59], s[58:59], exec
	s_or_b64 s[56:57], s[56:57], s[58:59]
.LBB15_33:                              ;   in Loop: Header=BB15_6 Depth=2
	s_or_b64 exec, exec, s[54:55]
	s_andn2_b64 s[50:51], s[50:51], exec
	s_and_b64 s[54:55], s[56:57], exec
	s_or_b64 s[50:51], s[50:51], s[54:55]
.LBB15_34:                              ;   in Loop: Header=BB15_6 Depth=2
	s_or_b64 exec, exec, s[52:53]
	s_and_b64 s[50:51], s[50:51], exec
                                        ; implicit-def: $vgpr18_vgpr19
	s_andn2_saveexec_b64 s[10:11], s[10:11]
	s_cbranch_execz .LBB15_21
.LBB15_35:                              ;   in Loop: Header=BB15_6 Depth=2
	v_cmp_lt_i32_e32 vcc, v12, v33
	s_mov_b64 s[54:55], s[50:51]
                                        ; implicit-def: $vgpr24_vgpr25
	s_and_saveexec_b64 s[52:53], vcc
	s_cbranch_execz .LBB15_43
; %bb.36:                               ;   in Loop: Header=BB15_6 Depth=2
	s_mov_b64 s[56:57], 0
                                        ; implicit-def: $sgpr54_sgpr55
                                        ; implicit-def: $sgpr60_sgpr61
                                        ; implicit-def: $sgpr58_sgpr59
	s_branch .LBB15_38
.LBB15_37:                              ;   in Loop: Header=BB15_38 Depth=3
	s_or_b64 exec, exec, s[62:63]
	s_and_b64 s[62:63], exec, s[60:61]
	s_or_b64 s[56:57], s[62:63], s[56:57]
	s_andn2_b64 s[54:55], s[54:55], exec
	s_and_b64 s[62:63], s[58:59], exec
	s_or_b64 s[54:55], s[54:55], s[62:63]
	s_andn2_b64 exec, exec, s[56:57]
	s_cbranch_execz .LBB15_40
.LBB15_38:                              ;   Parent Loop BB15_3 Depth=1
                                        ;     Parent Loop BB15_6 Depth=2
                                        ; =>    This Inner Loop Header: Depth=3
	v_add_u32_e32 v20, v0, v12
	v_ashrrev_i32_e32 v21, 31, v20
	v_lshlrev_b64 v[22:23], 2, v[20:21]
	v_mov_b32_e32 v15, s21
	v_add_co_u32_e32 v22, vcc, s20, v22
	v_addc_co_u32_e32 v23, vcc, v15, v23, vcc
	global_load_dword v15, v[22:23], off
	s_or_b64 s[58:59], s[58:59], exec
	s_or_b64 s[60:61], s[60:61], exec
	s_waitcnt vmcnt(0)
	v_subrev_u32_e32 v15, s69, v15
	v_cmp_ne_u32_e32 vcc, v15, v18
	s_and_saveexec_b64 s[62:63], vcc
	s_cbranch_execz .LBB15_37
; %bb.39:                               ;   in Loop: Header=BB15_38 Depth=3
	v_add_u32_e32 v12, 1, v12
	v_cmp_ge_i32_e32 vcc, v12, v33
	s_andn2_b64 s[60:61], s[60:61], exec
	s_and_b64 s[64:65], vcc, exec
	s_andn2_b64 s[58:59], s[58:59], exec
	s_or_b64 s[60:61], s[60:61], s[64:65]
	s_branch .LBB15_37
.LBB15_40:                              ;   in Loop: Header=BB15_6 Depth=2
	s_or_b64 exec, exec, s[56:57]
	s_mov_b64 s[56:57], s[50:51]
                                        ; implicit-def: $vgpr24_vgpr25
	s_and_saveexec_b64 s[58:59], s[54:55]
	s_xor_b64 s[54:55], exec, s[58:59]
; %bb.41:                               ;   in Loop: Header=BB15_6 Depth=2
	v_lshlrev_b64 v[18:19], 3, v[20:21]
	v_mov_b32_e32 v12, s35
	v_add_co_u32_e32 v24, vcc, s34, v18
	v_addc_co_u32_e32 v25, vcc, v12, v19, vcc
	s_or_b64 s[56:57], s[50:51], exec
; %bb.42:                               ;   in Loop: Header=BB15_6 Depth=2
	s_or_b64 exec, exec, s[54:55]
	s_andn2_b64 s[54:55], s[50:51], exec
	s_and_b64 s[56:57], s[56:57], exec
	s_or_b64 s[54:55], s[54:55], s[56:57]
.LBB15_43:                              ;   in Loop: Header=BB15_6 Depth=2
	s_or_b64 exec, exec, s[52:53]
	s_andn2_b64 s[50:51], s[50:51], exec
	s_and_b64 s[52:53], s[54:55], exec
	s_or_b64 s[50:51], s[50:51], s[52:53]
	s_or_b64 exec, exec, s[10:11]
	s_and_b64 exec, exec, s[50:51]
	s_cbranch_execz .LBB15_5
.LBB15_44:                              ;   in Loop: Header=BB15_6 Depth=2
	global_store_dwordx2 v[24:25], v[16:17], off
	s_branch .LBB15_5
.LBB15_45:                              ;   in Loop: Header=BB15_3 Depth=1
	s_or_b64 exec, exec, s[12:13]
	s_and_saveexec_b64 s[46:47], s[4:5]
	s_cbranch_execz .LBB15_88
; %bb.46:                               ;   in Loop: Header=BB15_3 Depth=1
	global_load_dword v12, v[8:9], off offset:2048
	global_load_dword v15, v[10:11], off offset:2048
	s_waitcnt vmcnt(1)
	v_add_u32_e32 v14, v30, v12
	s_waitcnt vmcnt(0)
	v_subrev_u32_e32 v39, s68, v15
	v_cmp_lt_i32_e32 vcc, v14, v39
	s_and_b64 exec, exec, vcc
	s_cbranch_execz .LBB15_88
; %bb.47:                               ;   in Loop: Header=BB15_3 Depth=1
	global_load_dword v12, v[6:7], off offset:2048
	global_load_dword v15, v[4:5], off offset:2048
	v_mov_b32_e32 v22, s21
	v_mov_b32_e32 v23, s23
	s_mov_b64 s[48:49], 0
	s_waitcnt vmcnt(1)
	v_subrev_u32_e32 v16, s69, v12
	v_ashrrev_i32_e32 v17, 31, v16
	v_lshlrev_b64 v[18:19], 2, v[16:17]
	v_lshlrev_b64 v[20:21], 3, v[16:17]
	v_add_co_u32_e32 v17, vcc, s20, v18
	v_addc_co_u32_e32 v41, vcc, v22, v19, vcc
	s_waitcnt vmcnt(0)
	v_sub_u32_e32 v40, v15, v12
	v_add_co_u32_e32 v42, vcc, s22, v20
	v_cmp_lt_i32_e64 s[10:11], 0, v40
	v_addc_co_u32_e32 v43, vcc, v23, v21, vcc
	s_branch .LBB15_49
.LBB15_48:                              ;   in Loop: Header=BB15_49 Depth=2
	s_or_b64 exec, exec, s[50:51]
	v_add_u32_e32 v14, 2, v14
	v_cmp_ge_i32_e32 vcc, v14, v39
	s_or_b64 s[48:49], vcc, s[48:49]
	s_andn2_b64 exec, exec, s[48:49]
	s_cbranch_execz .LBB15_88
.LBB15_49:                              ;   Parent Loop BB15_3 Depth=1
                                        ; =>  This Loop Header: Depth=2
                                        ;       Child Loop BB15_53 Depth 3
                                        ;       Child Loop BB15_71 Depth 3
	;; [unrolled: 1-line block ×3, first 2 shown]
	v_ashrrev_i32_e32 v15, 31, v14
	v_lshlrev_b64 v[18:19], 2, v[14:15]
	v_mov_b32_e32 v12, s29
	v_add_co_u32_e32 v18, vcc, s28, v18
	v_addc_co_u32_e32 v19, vcc, v12, v19, vcc
	global_load_dword v12, v[18:19], off
	v_mov_b32_e32 v23, s37
	v_mov_b32_e32 v24, s39
	s_waitcnt vmcnt(0)
	v_subrev_u32_e32 v20, s68, v12
	v_ashrrev_i32_e32 v21, 31, v20
	v_lshlrev_b64 v[18:19], 2, v[20:21]
	v_add_co_u32_e32 v22, vcc, s36, v18
	v_addc_co_u32_e32 v23, vcc, v23, v19, vcc
	v_add_co_u32_e32 v18, vcc, s38, v18
	v_addc_co_u32_e32 v19, vcc, v24, v19, vcc
	global_load_dword v12, v[22:23], off
	s_nop 0
	global_load_dword v23, v[18:19], off
	v_pk_mov_b32 v[18:19], 0, 0
	v_mov_b32_e32 v24, 0
	s_waitcnt vmcnt(1)
	v_subrev_u32_e32 v22, s70, v12
	s_waitcnt vmcnt(0)
	v_sub_u32_e32 v44, v23, v12
	v_mov_b32_e32 v12, 0
	s_and_saveexec_b64 s[12:13], s[10:11]
	s_cbranch_execz .LBB15_57
; %bb.50:                               ;   in Loop: Header=BB15_49 Depth=2
	v_ashrrev_i32_e32 v23, 31, v22
	v_lshlrev_b64 v[18:19], 2, v[22:23]
	v_mov_b32_e32 v12, s41
	v_add_co_u32_e32 v26, vcc, s40, v18
	v_addc_co_u32_e32 v27, vcc, v12, v19, vcc
	v_lshlrev_b64 v[18:19], 3, v[22:23]
	v_mov_b32_e32 v12, s43
	v_add_co_u32_e32 v23, vcc, s42, v18
	v_addc_co_u32_e32 v28, vcc, v12, v19, vcc
	v_mov_b32_e32 v12, 0
	s_mov_b64 s[50:51], 0
	v_pk_mov_b32 v[18:19], 0, 0
	v_mov_b32_e32 v24, v12
                                        ; implicit-def: $sgpr52_sgpr53
	s_branch .LBB15_53
.LBB15_51:                              ;   in Loop: Header=BB15_53 Depth=3
	s_or_b64 exec, exec, s[56:57]
	v_cmp_le_i32_e32 vcc, v29, v45
	v_addc_co_u32_e32 v12, vcc, 0, v12, vcc
	v_cmp_ge_i32_e32 vcc, v29, v45
	v_addc_co_u32_e32 v24, vcc, 0, v24, vcc
	v_cmp_ge_i32_e32 vcc, v12, v40
	s_andn2_b64 s[52:53], s[52:53], exec
	s_and_b64 s[56:57], vcc, exec
	s_or_b64 s[52:53], s[52:53], s[56:57]
.LBB15_52:                              ;   in Loop: Header=BB15_53 Depth=3
	s_or_b64 exec, exec, s[54:55]
	s_and_b64 s[54:55], exec, s[52:53]
	s_or_b64 s[50:51], s[54:55], s[50:51]
	s_andn2_b64 exec, exec, s[50:51]
	s_cbranch_execz .LBB15_56
.LBB15_53:                              ;   Parent Loop BB15_3 Depth=1
                                        ;     Parent Loop BB15_49 Depth=2
                                        ; =>    This Inner Loop Header: Depth=3
	v_cmp_lt_i32_e32 vcc, v24, v44
	s_or_b64 s[52:53], s[52:53], exec
	s_and_saveexec_b64 s[54:55], vcc
	s_cbranch_execz .LBB15_52
; %bb.54:                               ;   in Loop: Header=BB15_53 Depth=3
	v_lshlrev_b64 v[46:47], 2, v[12:13]
	v_add_co_u32_e32 v46, vcc, v17, v46
	v_addc_co_u32_e32 v47, vcc, v41, v47, vcc
	v_mov_b32_e32 v25, v13
	global_load_dword v29, v[46:47], off
	v_lshlrev_b64 v[46:47], 2, v[24:25]
	v_add_co_u32_e32 v46, vcc, v26, v46
	v_addc_co_u32_e32 v47, vcc, v27, v47, vcc
	global_load_dword v45, v[46:47], off
	s_waitcnt vmcnt(1)
	v_subrev_u32_e32 v29, s69, v29
	s_waitcnt vmcnt(0)
	v_subrev_u32_e32 v45, s70, v45
	v_cmp_eq_u32_e32 vcc, v29, v45
	s_and_saveexec_b64 s[56:57], vcc
	s_cbranch_execz .LBB15_51
; %bb.55:                               ;   in Loop: Header=BB15_53 Depth=3
	v_lshlrev_b64 v[46:47], 3, v[12:13]
	v_add_co_u32_e32 v46, vcc, v42, v46
	v_addc_co_u32_e32 v47, vcc, v43, v47, vcc
	v_lshlrev_b64 v[48:49], 3, v[24:25]
	v_add_co_u32_e32 v48, vcc, v23, v48
	v_addc_co_u32_e32 v49, vcc, v28, v49, vcc
	global_load_dwordx2 v[46:47], v[46:47], off
	s_nop 0
	global_load_dwordx2 v[48:49], v[48:49], off
	s_waitcnt vmcnt(0)
	v_fmac_f64_e32 v[18:19], v[46:47], v[48:49]
	s_branch .LBB15_51
.LBB15_56:                              ;   in Loop: Header=BB15_49 Depth=2
	s_or_b64 exec, exec, s[50:51]
.LBB15_57:                              ;   in Loop: Header=BB15_49 Depth=2
	s_or_b64 exec, exec, s[12:13]
	v_lshlrev_b64 v[26:27], 3, v[14:15]
	v_mov_b32_e32 v15, s31
	v_add_co_u32_e32 v26, vcc, s30, v26
	v_addc_co_u32_e32 v27, vcc, v15, v27, vcc
	global_load_dwordx2 v[26:27], v[26:27], off
	v_cmp_le_i32_e64 s[12:13], v3, v20
	v_cmp_gt_i32_e32 vcc, v3, v20
	s_waitcnt vmcnt(0)
	v_add_f64 v[18:19], v[26:27], -v[18:19]
	s_and_saveexec_b64 s[50:51], vcc
	s_cbranch_execz .LBB15_61
; %bb.58:                               ;   in Loop: Header=BB15_49 Depth=2
	v_lshlrev_b64 v[26:27], 3, v[20:21]
	v_mov_b32_e32 v15, s25
	v_add_co_u32_e32 v26, vcc, s24, v26
	v_addc_co_u32_e32 v27, vcc, v15, v27, vcc
	global_load_dwordx2 v[26:27], v[26:27], off
	v_pk_mov_b32 v[28:29], 0, 0
	s_waitcnt vmcnt(0)
	v_cmp_lg_f64_e32 vcc, 0, v[26:27]
	s_and_saveexec_b64 s[52:53], vcc
; %bb.59:                               ;   in Loop: Header=BB15_49 Depth=2
	v_div_scale_f64 v[28:29], s[54:55], v[26:27], v[26:27], v[18:19]
	v_rcp_f64_e32 v[46:47], v[28:29]
	v_div_scale_f64 v[48:49], vcc, v[18:19], v[26:27], v[18:19]
	v_fma_f64 v[50:51], -v[28:29], v[46:47], 1.0
	v_fmac_f64_e32 v[46:47], v[46:47], v[50:51]
	v_fma_f64 v[50:51], -v[28:29], v[46:47], 1.0
	v_fmac_f64_e32 v[46:47], v[46:47], v[50:51]
	v_mul_f64 v[50:51], v[48:49], v[46:47]
	v_fma_f64 v[28:29], -v[28:29], v[50:51], v[48:49]
	v_div_fmas_f64 v[28:29], v[28:29], v[46:47], v[50:51]
	v_div_fixup_f64 v[28:29], v[28:29], v[26:27], v[18:19]
; %bb.60:                               ;   in Loop: Header=BB15_49 Depth=2
	s_or_b64 exec, exec, s[52:53]
	v_pk_mov_b32 v[18:19], v[28:29], v[28:29] op_sel:[0,1]
.LBB15_61:                              ;   in Loop: Header=BB15_49 Depth=2
	s_or_b64 exec, exec, s[50:51]
	v_cmp_class_f64_e64 s[52:53], v[18:19], s72
	s_and_saveexec_b64 s[50:51], s[52:53]
	s_cbranch_execz .LBB15_48
; %bb.62:                               ;   in Loop: Header=BB15_49 Depth=2
	s_mov_b64 s[52:53], 0
                                        ; implicit-def: $vgpr26_vgpr27
	s_and_saveexec_b64 s[54:55], s[12:13]
	s_xor_b64 s[12:13], exec, s[54:55]
	s_cbranch_execnz .LBB15_65
; %bb.63:                               ;   in Loop: Header=BB15_49 Depth=2
	s_andn2_saveexec_b64 s[12:13], s[12:13]
	s_cbranch_execnz .LBB15_78
.LBB15_64:                              ;   in Loop: Header=BB15_49 Depth=2
	s_or_b64 exec, exec, s[12:13]
	s_and_b64 exec, exec, s[52:53]
	s_cbranch_execz .LBB15_48
	s_branch .LBB15_87
.LBB15_65:                              ;   in Loop: Header=BB15_49 Depth=2
	v_cmp_ge_i32_e32 vcc, v3, v20
                                        ; implicit-def: $vgpr26_vgpr27
	s_and_saveexec_b64 s[54:55], vcc
	s_xor_b64 s[54:55], exec, s[54:55]
; %bb.66:                               ;   in Loop: Header=BB15_49 Depth=2
	v_lshlrev_b64 v[20:21], 3, v[20:21]
	v_mov_b32_e32 v12, s27
	v_add_co_u32_e32 v26, vcc, s26, v20
	s_mov_b64 s[52:53], exec
	v_addc_co_u32_e32 v27, vcc, v12, v21, vcc
                                        ; implicit-def: $vgpr24
                                        ; implicit-def: $vgpr44
                                        ; implicit-def: $vgpr22
; %bb.67:                               ;   in Loop: Header=BB15_49 Depth=2
	s_andn2_saveexec_b64 s[54:55], s[54:55]
	s_cbranch_execz .LBB15_77
; %bb.68:                               ;   in Loop: Header=BB15_49 Depth=2
	v_cmp_lt_i32_e32 vcc, v24, v44
	s_mov_b64 s[58:59], s[52:53]
                                        ; implicit-def: $vgpr26_vgpr27
	s_and_saveexec_b64 s[56:57], vcc
	s_cbranch_execz .LBB15_76
; %bb.69:                               ;   in Loop: Header=BB15_49 Depth=2
	s_mov_b64 s[60:61], 0
                                        ; implicit-def: $sgpr58_sgpr59
                                        ; implicit-def: $sgpr64_sgpr65
                                        ; implicit-def: $sgpr62_sgpr63
	s_branch .LBB15_71
.LBB15_70:                              ;   in Loop: Header=BB15_71 Depth=3
	s_or_b64 exec, exec, s[66:67]
	s_and_b64 s[66:67], exec, s[64:65]
	s_or_b64 s[60:61], s[66:67], s[60:61]
	s_andn2_b64 s[58:59], s[58:59], exec
	s_and_b64 s[66:67], s[62:63], exec
	s_or_b64 s[58:59], s[58:59], s[66:67]
	s_andn2_b64 exec, exec, s[60:61]
	s_cbranch_execz .LBB15_73
.LBB15_71:                              ;   Parent Loop BB15_3 Depth=1
                                        ;     Parent Loop BB15_49 Depth=2
                                        ; =>    This Inner Loop Header: Depth=3
	v_add_u32_e32 v20, v22, v24
	v_ashrrev_i32_e32 v21, 31, v20
	v_lshlrev_b64 v[26:27], 2, v[20:21]
	v_mov_b32_e32 v12, s41
	v_add_co_u32_e32 v26, vcc, s40, v26
	v_addc_co_u32_e32 v27, vcc, v12, v27, vcc
	global_load_dword v12, v[26:27], off
	s_or_b64 s[62:63], s[62:63], exec
	s_or_b64 s[64:65], s[64:65], exec
	s_waitcnt vmcnt(0)
	v_subrev_u32_e32 v12, s70, v12
	v_cmp_ne_u32_e32 vcc, v12, v3
	s_and_saveexec_b64 s[66:67], vcc
	s_cbranch_execz .LBB15_70
; %bb.72:                               ;   in Loop: Header=BB15_71 Depth=3
	v_add_u32_e32 v24, 1, v24
	v_cmp_ge_i32_e32 vcc, v24, v44
	s_andn2_b64 s[64:65], s[64:65], exec
	s_and_b64 s[74:75], vcc, exec
	s_andn2_b64 s[62:63], s[62:63], exec
	s_or_b64 s[64:65], s[64:65], s[74:75]
	s_branch .LBB15_70
.LBB15_73:                              ;   in Loop: Header=BB15_49 Depth=2
	s_or_b64 exec, exec, s[60:61]
	s_mov_b64 s[60:61], s[52:53]
                                        ; implicit-def: $vgpr26_vgpr27
	s_and_saveexec_b64 s[62:63], s[58:59]
	s_xor_b64 s[58:59], exec, s[62:63]
; %bb.74:                               ;   in Loop: Header=BB15_49 Depth=2
	v_lshlrev_b64 v[20:21], 3, v[20:21]
	v_mov_b32_e32 v12, s45
	v_add_co_u32_e32 v26, vcc, s44, v20
	v_addc_co_u32_e32 v27, vcc, v12, v21, vcc
	s_or_b64 s[60:61], s[52:53], exec
; %bb.75:                               ;   in Loop: Header=BB15_49 Depth=2
	s_or_b64 exec, exec, s[58:59]
	s_andn2_b64 s[58:59], s[52:53], exec
	s_and_b64 s[60:61], s[60:61], exec
	s_or_b64 s[58:59], s[58:59], s[60:61]
.LBB15_76:                              ;   in Loop: Header=BB15_49 Depth=2
	s_or_b64 exec, exec, s[56:57]
	s_andn2_b64 s[52:53], s[52:53], exec
	s_and_b64 s[56:57], s[58:59], exec
	s_or_b64 s[52:53], s[52:53], s[56:57]
.LBB15_77:                              ;   in Loop: Header=BB15_49 Depth=2
	s_or_b64 exec, exec, s[54:55]
	s_and_b64 s[52:53], s[52:53], exec
                                        ; implicit-def: $vgpr20_vgpr21
	s_andn2_saveexec_b64 s[12:13], s[12:13]
	s_cbranch_execz .LBB15_64
.LBB15_78:                              ;   in Loop: Header=BB15_49 Depth=2
	v_cmp_lt_i32_e32 vcc, v12, v40
	s_mov_b64 s[56:57], s[52:53]
                                        ; implicit-def: $vgpr26_vgpr27
	s_and_saveexec_b64 s[54:55], vcc
	s_cbranch_execz .LBB15_86
; %bb.79:                               ;   in Loop: Header=BB15_49 Depth=2
	s_mov_b64 s[58:59], 0
                                        ; implicit-def: $sgpr56_sgpr57
                                        ; implicit-def: $sgpr62_sgpr63
                                        ; implicit-def: $sgpr60_sgpr61
	s_branch .LBB15_81
.LBB15_80:                              ;   in Loop: Header=BB15_81 Depth=3
	s_or_b64 exec, exec, s[64:65]
	s_and_b64 s[64:65], exec, s[62:63]
	s_or_b64 s[58:59], s[64:65], s[58:59]
	s_andn2_b64 s[56:57], s[56:57], exec
	s_and_b64 s[64:65], s[60:61], exec
	s_or_b64 s[56:57], s[56:57], s[64:65]
	s_andn2_b64 exec, exec, s[58:59]
	s_cbranch_execz .LBB15_83
.LBB15_81:                              ;   Parent Loop BB15_3 Depth=1
                                        ;     Parent Loop BB15_49 Depth=2
                                        ; =>    This Inner Loop Header: Depth=3
	v_add_u32_e32 v22, v16, v12
	v_ashrrev_i32_e32 v23, 31, v22
	v_lshlrev_b64 v[24:25], 2, v[22:23]
	v_mov_b32_e32 v15, s21
	v_add_co_u32_e32 v24, vcc, s20, v24
	v_addc_co_u32_e32 v25, vcc, v15, v25, vcc
	global_load_dword v15, v[24:25], off
	s_or_b64 s[60:61], s[60:61], exec
	s_or_b64 s[62:63], s[62:63], exec
	s_waitcnt vmcnt(0)
	v_subrev_u32_e32 v15, s69, v15
	v_cmp_ne_u32_e32 vcc, v15, v20
	s_and_saveexec_b64 s[64:65], vcc
	s_cbranch_execz .LBB15_80
; %bb.82:                               ;   in Loop: Header=BB15_81 Depth=3
	v_add_u32_e32 v12, 1, v12
	v_cmp_ge_i32_e32 vcc, v12, v40
	s_andn2_b64 s[62:63], s[62:63], exec
	s_and_b64 s[66:67], vcc, exec
	s_andn2_b64 s[60:61], s[60:61], exec
	s_or_b64 s[62:63], s[62:63], s[66:67]
	s_branch .LBB15_80
.LBB15_83:                              ;   in Loop: Header=BB15_49 Depth=2
	s_or_b64 exec, exec, s[58:59]
	s_mov_b64 s[58:59], s[52:53]
                                        ; implicit-def: $vgpr26_vgpr27
	s_and_saveexec_b64 s[60:61], s[56:57]
	s_xor_b64 s[56:57], exec, s[60:61]
; %bb.84:                               ;   in Loop: Header=BB15_49 Depth=2
	v_lshlrev_b64 v[20:21], 3, v[22:23]
	v_mov_b32_e32 v12, s35
	v_add_co_u32_e32 v26, vcc, s34, v20
	v_addc_co_u32_e32 v27, vcc, v12, v21, vcc
	s_or_b64 s[58:59], s[52:53], exec
; %bb.85:                               ;   in Loop: Header=BB15_49 Depth=2
	s_or_b64 exec, exec, s[56:57]
	s_andn2_b64 s[56:57], s[52:53], exec
	s_and_b64 s[58:59], s[58:59], exec
	s_or_b64 s[56:57], s[56:57], s[58:59]
.LBB15_86:                              ;   in Loop: Header=BB15_49 Depth=2
	s_or_b64 exec, exec, s[54:55]
	s_andn2_b64 s[52:53], s[52:53], exec
	s_and_b64 s[54:55], s[56:57], exec
	s_or_b64 s[52:53], s[52:53], s[54:55]
	s_or_b64 exec, exec, s[12:13]
	s_and_b64 exec, exec, s[52:53]
	s_cbranch_execz .LBB15_48
.LBB15_87:                              ;   in Loop: Header=BB15_49 Depth=2
	global_store_dwordx2 v[26:27], v[18:19], off
	s_branch .LBB15_48
.LBB15_88:                              ;   in Loop: Header=BB15_3 Depth=1
	s_or_b64 exec, exec, s[46:47]
	s_and_saveexec_b64 s[10:11], s[0:1]
	s_cbranch_execz .LBB15_2
; %bb.89:                               ;   in Loop: Header=BB15_3 Depth=1
	s_mov_b64 s[12:13], 0
	v_mov_b32_e32 v14, v2
	s_branch .LBB15_91
.LBB15_90:                              ;   in Loop: Header=BB15_91 Depth=2
	s_or_b64 exec, exec, s[46:47]
	v_add_u32_e32 v14, 0x200, v14
	v_cmp_le_u32_e32 vcc, s71, v14
	s_or_b64 s[12:13], vcc, s[12:13]
	s_andn2_b64 exec, exec, s[12:13]
	s_cbranch_execz .LBB15_2
.LBB15_91:                              ;   Parent Loop BB15_3 Depth=1
                                        ; =>  This Loop Header: Depth=2
                                        ;       Child Loop BB15_94 Depth 3
                                        ;       Child Loop BB15_97 Depth 3
	v_cmp_gt_i32_e32 vcc, s15, v14
	s_and_saveexec_b64 s[46:47], vcc
	s_cbranch_execz .LBB15_90
; %bb.92:                               ;   in Loop: Header=BB15_91 Depth=2
	v_ashrrev_i32_e32 v15, 31, v14
	v_lshlrev_b64 v[16:17], 2, v[14:15]
	v_mov_b32_e32 v12, s17
	v_add_co_u32_e32 v18, vcc, s16, v16
	v_addc_co_u32_e32 v19, vcc, v12, v17, vcc
	global_load_dword v12, v[18:19], off
	v_mov_b32_e32 v19, s19
	v_add_co_u32_e32 v18, vcc, s18, v16
	v_addc_co_u32_e32 v19, vcc, v19, v17, vcc
	global_load_dword v19, v[18:19], off
	s_waitcnt vmcnt(1)
	v_add_u32_e32 v18, v31, v12
	s_waitcnt vmcnt(0)
	v_subrev_u32_e32 v12, s69, v19
	v_cmp_lt_i32_e32 vcc, v18, v12
	s_and_saveexec_b64 s[48:49], vcc
	s_cbranch_execz .LBB15_95
; %bb.93:                               ;   in Loop: Header=BB15_91 Depth=2
	v_ashrrev_i32_e32 v19, 31, v18
	v_lshlrev_b64 v[22:23], 3, v[18:19]
	v_mov_b32_e32 v19, s35
	v_add_co_u32_e32 v20, vcc, s34, v22
	v_addc_co_u32_e32 v21, vcc, v19, v23, vcc
	v_mov_b32_e32 v19, s23
	v_add_co_u32_e32 v22, vcc, s22, v22
	v_addc_co_u32_e32 v23, vcc, v19, v23, vcc
	s_mov_b64 s[50:51], 0
.LBB15_94:                              ;   Parent Loop BB15_3 Depth=1
                                        ;     Parent Loop BB15_91 Depth=2
                                        ; =>    This Inner Loop Header: Depth=3
	global_load_dwordx2 v[24:25], v[20:21], off
	v_add_co_u32_e32 v20, vcc, 16, v20
	v_add_u32_e32 v18, 2, v18
	v_addc_co_u32_e32 v21, vcc, 0, v21, vcc
	v_cmp_ge_i32_e32 vcc, v18, v12
	s_or_b64 s[50:51], vcc, s[50:51]
	s_waitcnt vmcnt(0)
	global_store_dwordx2 v[22:23], v[24:25], off
	v_add_co_u32_e32 v22, vcc, 16, v22
	v_addc_co_u32_e32 v23, vcc, 0, v23, vcc
	s_andn2_b64 exec, exec, s[50:51]
	s_cbranch_execnz .LBB15_94
.LBB15_95:                              ;   in Loop: Header=BB15_91 Depth=2
	s_or_b64 exec, exec, s[48:49]
	v_mov_b32_e32 v12, s37
	v_add_co_u32_e32 v18, vcc, s36, v16
	v_addc_co_u32_e32 v19, vcc, v12, v17, vcc
	global_load_dword v12, v[18:19], off
	v_mov_b32_e32 v18, s39
	v_add_co_u32_e32 v16, vcc, s38, v16
	v_addc_co_u32_e32 v17, vcc, v18, v17, vcc
	global_load_dword v17, v[16:17], off
	s_waitcnt vmcnt(1)
	v_add_u32_e32 v16, v32, v12
	s_waitcnt vmcnt(0)
	v_subrev_u32_e32 v12, s70, v17
	v_cmp_lt_i32_e32 vcc, v16, v12
	s_and_saveexec_b64 s[48:49], vcc
	s_cbranch_execz .LBB15_98
; %bb.96:                               ;   in Loop: Header=BB15_91 Depth=2
	v_ashrrev_i32_e32 v17, 31, v16
	v_lshlrev_b64 v[20:21], 3, v[16:17]
	v_mov_b32_e32 v17, s45
	v_add_co_u32_e32 v18, vcc, s44, v20
	v_addc_co_u32_e32 v19, vcc, v17, v21, vcc
	v_mov_b32_e32 v17, s43
	v_add_co_u32_e32 v20, vcc, s42, v20
	v_addc_co_u32_e32 v21, vcc, v17, v21, vcc
	s_mov_b64 s[50:51], 0
.LBB15_97:                              ;   Parent Loop BB15_3 Depth=1
                                        ;     Parent Loop BB15_91 Depth=2
                                        ; =>    This Inner Loop Header: Depth=3
	global_load_dwordx2 v[22:23], v[18:19], off
	v_add_co_u32_e32 v18, vcc, 16, v18
	v_add_u32_e32 v16, 2, v16
	v_addc_co_u32_e32 v19, vcc, 0, v19, vcc
	v_cmp_ge_i32_e32 vcc, v16, v12
	s_or_b64 s[50:51], vcc, s[50:51]
	s_waitcnt vmcnt(0)
	global_store_dwordx2 v[20:21], v[22:23], off
	v_add_co_u32_e32 v20, vcc, 16, v20
	v_addc_co_u32_e32 v21, vcc, 0, v21, vcc
	s_andn2_b64 exec, exec, s[50:51]
	s_cbranch_execnz .LBB15_97
.LBB15_98:                              ;   in Loop: Header=BB15_91 Depth=2
	s_or_b64 exec, exec, s[48:49]
	s_and_b64 exec, exec, s[2:3]
	s_cbranch_execz .LBB15_90
; %bb.99:                               ;   in Loop: Header=BB15_91 Depth=2
	v_lshlrev_b64 v[16:17], 3, v[14:15]
	v_mov_b32_e32 v12, s27
	v_add_co_u32_e32 v18, vcc, s26, v16
	v_addc_co_u32_e32 v19, vcc, v12, v17, vcc
	global_load_dwordx2 v[18:19], v[18:19], off
	v_mov_b32_e32 v12, s25
	v_add_co_u32_e32 v16, vcc, s24, v16
	v_addc_co_u32_e32 v17, vcc, v12, v17, vcc
	s_waitcnt vmcnt(0)
	global_store_dwordx2 v[16:17], v[18:19], off
	s_branch .LBB15_90
.LBB15_100:
	s_endpgm
	.section	.rodata,"a",@progbits
	.p2align	6, 0x0
	.amdhsa_kernel _ZN9rocsparseL14kernel_freerunILi1024ELi2EdiiEEvT3_S1_T2_PKS2_S4_PKS1_PKT1_21rocsparse_index_base_S4_S4_S6_PS7_SB_SA_S4_S4_S6_SB_SB_SA_SB_SB_
		.amdhsa_group_segment_fixed_size 0
		.amdhsa_private_segment_fixed_size 0
		.amdhsa_kernarg_size 168
		.amdhsa_user_sgpr_count 6
		.amdhsa_user_sgpr_private_segment_buffer 1
		.amdhsa_user_sgpr_dispatch_ptr 0
		.amdhsa_user_sgpr_queue_ptr 0
		.amdhsa_user_sgpr_kernarg_segment_ptr 1
		.amdhsa_user_sgpr_dispatch_id 0
		.amdhsa_user_sgpr_flat_scratch_init 0
		.amdhsa_user_sgpr_kernarg_preload_length 0
		.amdhsa_user_sgpr_kernarg_preload_offset 0
		.amdhsa_user_sgpr_private_segment_size 0
		.amdhsa_uses_dynamic_stack 0
		.amdhsa_system_sgpr_private_segment_wavefront_offset 0
		.amdhsa_system_sgpr_workgroup_id_x 1
		.amdhsa_system_sgpr_workgroup_id_y 0
		.amdhsa_system_sgpr_workgroup_id_z 0
		.amdhsa_system_sgpr_workgroup_info 0
		.amdhsa_system_vgpr_workitem_id 0
		.amdhsa_next_free_vgpr 52
		.amdhsa_next_free_sgpr 76
		.amdhsa_accum_offset 52
		.amdhsa_reserve_vcc 1
		.amdhsa_reserve_flat_scratch 0
		.amdhsa_float_round_mode_32 0
		.amdhsa_float_round_mode_16_64 0
		.amdhsa_float_denorm_mode_32 3
		.amdhsa_float_denorm_mode_16_64 3
		.amdhsa_dx10_clamp 1
		.amdhsa_ieee_mode 1
		.amdhsa_fp16_overflow 0
		.amdhsa_tg_split 0
		.amdhsa_exception_fp_ieee_invalid_op 0
		.amdhsa_exception_fp_denorm_src 0
		.amdhsa_exception_fp_ieee_div_zero 0
		.amdhsa_exception_fp_ieee_overflow 0
		.amdhsa_exception_fp_ieee_underflow 0
		.amdhsa_exception_fp_ieee_inexact 0
		.amdhsa_exception_int_div_zero 0
	.end_amdhsa_kernel
	.section	.text._ZN9rocsparseL14kernel_freerunILi1024ELi2EdiiEEvT3_S1_T2_PKS2_S4_PKS1_PKT1_21rocsparse_index_base_S4_S4_S6_PS7_SB_SA_S4_S4_S6_SB_SB_SA_SB_SB_,"axG",@progbits,_ZN9rocsparseL14kernel_freerunILi1024ELi2EdiiEEvT3_S1_T2_PKS2_S4_PKS1_PKT1_21rocsparse_index_base_S4_S4_S6_PS7_SB_SA_S4_S4_S6_SB_SB_SA_SB_SB_,comdat
.Lfunc_end15:
	.size	_ZN9rocsparseL14kernel_freerunILi1024ELi2EdiiEEvT3_S1_T2_PKS2_S4_PKS1_PKT1_21rocsparse_index_base_S4_S4_S6_PS7_SB_SA_S4_S4_S6_SB_SB_SA_SB_SB_, .Lfunc_end15-_ZN9rocsparseL14kernel_freerunILi1024ELi2EdiiEEvT3_S1_T2_PKS2_S4_PKS1_PKT1_21rocsparse_index_base_S4_S4_S6_PS7_SB_SA_S4_S4_S6_SB_SB_SA_SB_SB_
                                        ; -- End function
	.section	.AMDGPU.csdata,"",@progbits
; Kernel info:
; codeLenInByte = 3508
; NumSgprs: 80
; NumVgprs: 52
; NumAgprs: 0
; TotalNumVgprs: 52
; ScratchSize: 0
; MemoryBound: 1
; FloatMode: 240
; IeeeMode: 1
; LDSByteSize: 0 bytes/workgroup (compile time only)
; SGPRBlocks: 9
; VGPRBlocks: 6
; NumSGPRsForWavesPerEU: 80
; NumVGPRsForWavesPerEU: 52
; AccumOffset: 52
; Occupancy: 8
; WaveLimiterHint : 1
; COMPUTE_PGM_RSRC2:SCRATCH_EN: 0
; COMPUTE_PGM_RSRC2:USER_SGPR: 6
; COMPUTE_PGM_RSRC2:TRAP_HANDLER: 0
; COMPUTE_PGM_RSRC2:TGID_X_EN: 1
; COMPUTE_PGM_RSRC2:TGID_Y_EN: 0
; COMPUTE_PGM_RSRC2:TGID_Z_EN: 0
; COMPUTE_PGM_RSRC2:TIDIG_COMP_CNT: 0
; COMPUTE_PGM_RSRC3_GFX90A:ACCUM_OFFSET: 12
; COMPUTE_PGM_RSRC3_GFX90A:TG_SPLIT: 0
	.section	.text._ZN9rocsparseL14kernel_freerunILi1024ELi4EdiiEEvT3_S1_T2_PKS2_S4_PKS1_PKT1_21rocsparse_index_base_S4_S4_S6_PS7_SB_SA_S4_S4_S6_SB_SB_SA_SB_SB_,"axG",@progbits,_ZN9rocsparseL14kernel_freerunILi1024ELi4EdiiEEvT3_S1_T2_PKS2_S4_PKS1_PKT1_21rocsparse_index_base_S4_S4_S6_PS7_SB_SA_S4_S4_S6_SB_SB_SA_SB_SB_,comdat
	.globl	_ZN9rocsparseL14kernel_freerunILi1024ELi4EdiiEEvT3_S1_T2_PKS2_S4_PKS1_PKT1_21rocsparse_index_base_S4_S4_S6_PS7_SB_SA_S4_S4_S6_SB_SB_SA_SB_SB_ ; -- Begin function _ZN9rocsparseL14kernel_freerunILi1024ELi4EdiiEEvT3_S1_T2_PKS2_S4_PKS1_PKT1_21rocsparse_index_base_S4_S4_S6_PS7_SB_SA_S4_S4_S6_SB_SB_SA_SB_SB_
	.p2align	8
	.type	_ZN9rocsparseL14kernel_freerunILi1024ELi4EdiiEEvT3_S1_T2_PKS2_S4_PKS1_PKT1_21rocsparse_index_base_S4_S4_S6_PS7_SB_SA_S4_S4_S6_SB_SB_SA_SB_SB_,@function
_ZN9rocsparseL14kernel_freerunILi1024ELi4EdiiEEvT3_S1_T2_PKS2_S4_PKS1_PKT1_21rocsparse_index_base_S4_S4_S6_PS7_SB_SA_S4_S4_S6_SB_SB_SA_SB_SB_: ; @_ZN9rocsparseL14kernel_freerunILi1024ELi4EdiiEEvT3_S1_T2_PKS2_S4_PKS1_PKT1_21rocsparse_index_base_S4_S4_S6_PS7_SB_SA_S4_S4_S6_SB_SB_SA_SB_SB_
; %bb.0:
	s_load_dwordx2 s[34:35], s[4:5], 0x0
	v_lshrrev_b32_e32 v1, 2, v0
	s_lshl_b32 s69, s6, 10
	v_or_b32_e32 v20, s69, v1
	s_mov_b32 s33, 0
	s_waitcnt lgkmcnt(0)
	s_cmp_gt_i32 s34, 0
	v_cmp_gt_i32_e32 vcc, s35, v20
	s_cselect_b64 s[0:1], -1, 0
	s_and_b64 s[0:1], vcc, s[0:1]
	s_and_saveexec_b64 s[2:3], s[0:1]
	s_cbranch_execz .LBB16_60
; %bb.1:
	s_load_dwordx4 s[36:39], s[4:5], 0x98
	s_load_dwordx8 s[8:15], s[4:5], 0x68
	s_load_dwordx8 s[16:23], s[4:5], 0x38
	;; [unrolled: 1-line block ×3, first 2 shown]
	s_load_dword s66, s[4:5], 0x30
	s_load_dwordx2 s[40:41], s[4:5], 0x58
	s_load_dword s67, s[4:5], 0x60
	s_load_dwordx2 s[42:43], s[4:5], 0x88
	s_load_dword s68, s[4:5], 0x90
	v_and_b32_e32 v0, 3, v0
	s_addk_i32 s69, 0x400
	s_waitcnt lgkmcnt(0)
	v_subrev_u32_e32 v21, s66, v0
	v_cmp_gt_u32_e64 s[0:1], s69, v20
	v_subrev_u32_e32 v22, s67, v0
	v_subrev_u32_e32 v23, s68, v0
	v_cmp_eq_u32_e64 s[2:3], 0, v0
	s_movk_i32 s70, 0x1f8
	v_mov_b32_e32 v1, 0
	s_branch .LBB16_3
.LBB16_2:                               ;   in Loop: Header=BB16_3 Depth=1
	s_or_b64 exec, exec, s[4:5]
	s_add_i32 s33, s33, 1
	s_cmp_eq_u32 s33, s34
	s_cbranch_scc1 .LBB16_60
.LBB16_3:                               ; =>This Loop Header: Depth=1
                                        ;     Child Loop BB16_5 Depth 2
                                        ;       Child Loop BB16_9 Depth 3
                                        ;         Child Loop BB16_13 Depth 4
                                        ;         Child Loop BB16_31 Depth 4
	;; [unrolled: 1-line block ×3, first 2 shown]
                                        ;     Child Loop BB16_51 Depth 2
                                        ;       Child Loop BB16_54 Depth 3
                                        ;       Child Loop BB16_57 Depth 3
	s_mov_b32 s71, 0
	s_branch .LBB16_5
.LBB16_4:                               ;   in Loop: Header=BB16_5 Depth=2
	s_or_b64 exec, exec, s[44:45]
	s_add_i32 s71, s71, 1
	s_cmp_eq_u32 s71, 4
	s_cbranch_scc1 .LBB16_48
.LBB16_5:                               ;   Parent Loop BB16_3 Depth=1
                                        ; =>  This Loop Header: Depth=2
                                        ;       Child Loop BB16_9 Depth 3
                                        ;         Child Loop BB16_13 Depth 4
                                        ;         Child Loop BB16_31 Depth 4
	;; [unrolled: 1-line block ×3, first 2 shown]
	v_lshl_add_u32 v2, s71, 8, v20
	v_cmp_gt_i32_e32 vcc, s35, v2
	s_and_saveexec_b64 s[44:45], vcc
	s_cbranch_execz .LBB16_4
; %bb.6:                                ;   in Loop: Header=BB16_5 Depth=2
	v_ashrrev_i32_e32 v3, 31, v2
	v_lshlrev_b64 v[6:7], 2, v[2:3]
	v_mov_b32_e32 v0, s25
	v_add_co_u32_e32 v4, vcc, s24, v6
	v_addc_co_u32_e32 v5, vcc, v0, v7, vcc
	global_load_dword v0, v[4:5], off
	v_mov_b32_e32 v3, s27
	v_add_co_u32_e32 v4, vcc, s26, v6
	v_addc_co_u32_e32 v5, vcc, v3, v7, vcc
	global_load_dword v3, v[4:5], off
	s_waitcnt vmcnt(1)
	v_add_u32_e32 v4, v21, v0
	s_waitcnt vmcnt(0)
	v_subrev_u32_e32 v3, s66, v3
	v_cmp_lt_i32_e32 vcc, v4, v3
	s_and_b64 exec, exec, vcc
	s_cbranch_execz .LBB16_4
; %bb.7:                                ;   in Loop: Header=BB16_5 Depth=2
	v_mov_b32_e32 v0, s19
	v_add_co_u32_e32 v8, vcc, s18, v6
	v_addc_co_u32_e32 v9, vcc, v0, v7, vcc
	v_mov_b32_e32 v0, s17
	v_add_co_u32_e32 v6, vcc, s16, v6
	v_addc_co_u32_e32 v7, vcc, v0, v7, vcc
	global_load_dword v0, v[6:7], off
	global_load_dword v5, v[8:9], off
	v_mov_b32_e32 v12, s21
	v_mov_b32_e32 v13, s23
	s_mov_b64 s[46:47], 0
	s_waitcnt vmcnt(1)
	v_subrev_u32_e32 v6, s67, v0
	v_ashrrev_i32_e32 v7, 31, v6
	v_lshlrev_b64 v[8:9], 2, v[6:7]
	v_lshlrev_b64 v[10:11], 3, v[6:7]
	v_add_co_u32_e32 v7, vcc, s20, v8
	v_addc_co_u32_e32 v25, vcc, v12, v9, vcc
	s_waitcnt vmcnt(0)
	v_sub_u32_e32 v24, v5, v0
	v_add_co_u32_e32 v26, vcc, s22, v10
	v_cmp_lt_i32_e64 s[4:5], 0, v24
	v_addc_co_u32_e32 v27, vcc, v13, v11, vcc
	s_branch .LBB16_9
.LBB16_8:                               ;   in Loop: Header=BB16_9 Depth=3
	s_or_b64 exec, exec, s[48:49]
	v_add_u32_e32 v4, 4, v4
	v_cmp_ge_i32_e32 vcc, v4, v3
	s_or_b64 s[46:47], vcc, s[46:47]
	s_andn2_b64 exec, exec, s[46:47]
	s_cbranch_execz .LBB16_4
.LBB16_9:                               ;   Parent Loop BB16_3 Depth=1
                                        ;     Parent Loop BB16_5 Depth=2
                                        ; =>    This Loop Header: Depth=3
                                        ;         Child Loop BB16_13 Depth 4
                                        ;         Child Loop BB16_31 Depth 4
	;; [unrolled: 1-line block ×3, first 2 shown]
	v_ashrrev_i32_e32 v5, 31, v4
	v_lshlrev_b64 v[8:9], 2, v[4:5]
	v_mov_b32_e32 v0, s29
	v_add_co_u32_e32 v8, vcc, s28, v8
	v_addc_co_u32_e32 v9, vcc, v0, v9, vcc
	global_load_dword v0, v[8:9], off
	v_mov_b32_e32 v13, s9
	v_mov_b32_e32 v14, s11
	s_waitcnt vmcnt(0)
	v_subrev_u32_e32 v10, s66, v0
	v_ashrrev_i32_e32 v11, 31, v10
	v_lshlrev_b64 v[8:9], 2, v[10:11]
	v_add_co_u32_e32 v12, vcc, s8, v8
	v_addc_co_u32_e32 v13, vcc, v13, v9, vcc
	v_add_co_u32_e32 v8, vcc, s10, v8
	v_addc_co_u32_e32 v9, vcc, v14, v9, vcc
	global_load_dword v0, v[12:13], off
	s_nop 0
	global_load_dword v13, v[8:9], off
	v_pk_mov_b32 v[8:9], 0, 0
	v_mov_b32_e32 v14, 0
	s_waitcnt vmcnt(1)
	v_subrev_u32_e32 v12, s68, v0
	s_waitcnt vmcnt(0)
	v_sub_u32_e32 v28, v13, v0
	v_mov_b32_e32 v0, 0
	s_and_saveexec_b64 s[6:7], s[4:5]
	s_cbranch_execz .LBB16_17
; %bb.10:                               ;   in Loop: Header=BB16_9 Depth=3
	v_ashrrev_i32_e32 v13, 31, v12
	v_lshlrev_b64 v[8:9], 2, v[12:13]
	v_mov_b32_e32 v0, s13
	v_add_co_u32_e32 v16, vcc, s12, v8
	v_addc_co_u32_e32 v17, vcc, v0, v9, vcc
	v_lshlrev_b64 v[8:9], 3, v[12:13]
	v_mov_b32_e32 v0, s15
	v_add_co_u32_e32 v13, vcc, s14, v8
	v_addc_co_u32_e32 v18, vcc, v0, v9, vcc
	v_mov_b32_e32 v0, 0
	s_mov_b64 s[48:49], 0
	v_pk_mov_b32 v[8:9], 0, 0
	v_mov_b32_e32 v14, v0
                                        ; implicit-def: $sgpr50_sgpr51
	s_branch .LBB16_13
.LBB16_11:                              ;   in Loop: Header=BB16_13 Depth=4
	s_or_b64 exec, exec, s[54:55]
	v_cmp_le_i32_e32 vcc, v19, v29
	v_addc_co_u32_e32 v0, vcc, 0, v0, vcc
	v_cmp_ge_i32_e32 vcc, v19, v29
	v_addc_co_u32_e32 v14, vcc, 0, v14, vcc
	v_cmp_ge_i32_e32 vcc, v0, v24
	s_andn2_b64 s[50:51], s[50:51], exec
	s_and_b64 s[54:55], vcc, exec
	s_or_b64 s[50:51], s[50:51], s[54:55]
.LBB16_12:                              ;   in Loop: Header=BB16_13 Depth=4
	s_or_b64 exec, exec, s[52:53]
	s_and_b64 s[52:53], exec, s[50:51]
	s_or_b64 s[48:49], s[52:53], s[48:49]
	s_andn2_b64 exec, exec, s[48:49]
	s_cbranch_execz .LBB16_16
.LBB16_13:                              ;   Parent Loop BB16_3 Depth=1
                                        ;     Parent Loop BB16_5 Depth=2
                                        ;       Parent Loop BB16_9 Depth=3
                                        ; =>      This Inner Loop Header: Depth=4
	v_cmp_lt_i32_e32 vcc, v14, v28
	s_or_b64 s[50:51], s[50:51], exec
	s_and_saveexec_b64 s[52:53], vcc
	s_cbranch_execz .LBB16_12
; %bb.14:                               ;   in Loop: Header=BB16_13 Depth=4
	v_lshlrev_b64 v[30:31], 2, v[0:1]
	v_add_co_u32_e32 v30, vcc, v7, v30
	v_addc_co_u32_e32 v31, vcc, v25, v31, vcc
	v_mov_b32_e32 v15, v1
	global_load_dword v19, v[30:31], off
	v_lshlrev_b64 v[30:31], 2, v[14:15]
	v_add_co_u32_e32 v30, vcc, v16, v30
	v_addc_co_u32_e32 v31, vcc, v17, v31, vcc
	global_load_dword v29, v[30:31], off
	s_waitcnt vmcnt(1)
	v_subrev_u32_e32 v19, s67, v19
	s_waitcnt vmcnt(0)
	v_subrev_u32_e32 v29, s68, v29
	v_cmp_eq_u32_e32 vcc, v19, v29
	s_and_saveexec_b64 s[54:55], vcc
	s_cbranch_execz .LBB16_11
; %bb.15:                               ;   in Loop: Header=BB16_13 Depth=4
	v_lshlrev_b64 v[30:31], 3, v[0:1]
	v_add_co_u32_e32 v30, vcc, v26, v30
	v_addc_co_u32_e32 v31, vcc, v27, v31, vcc
	v_lshlrev_b64 v[32:33], 3, v[14:15]
	v_add_co_u32_e32 v32, vcc, v13, v32
	v_addc_co_u32_e32 v33, vcc, v18, v33, vcc
	global_load_dwordx2 v[30:31], v[30:31], off
	s_nop 0
	global_load_dwordx2 v[32:33], v[32:33], off
	s_waitcnt vmcnt(0)
	v_fmac_f64_e32 v[8:9], v[30:31], v[32:33]
	s_branch .LBB16_11
.LBB16_16:                              ;   in Loop: Header=BB16_9 Depth=3
	s_or_b64 exec, exec, s[48:49]
.LBB16_17:                              ;   in Loop: Header=BB16_9 Depth=3
	s_or_b64 exec, exec, s[6:7]
	v_lshlrev_b64 v[16:17], 3, v[4:5]
	v_mov_b32_e32 v5, s31
	v_add_co_u32_e32 v16, vcc, s30, v16
	v_addc_co_u32_e32 v17, vcc, v5, v17, vcc
	global_load_dwordx2 v[16:17], v[16:17], off
	v_cmp_le_i32_e64 s[6:7], v2, v10
	v_cmp_gt_i32_e32 vcc, v2, v10
	s_waitcnt vmcnt(0)
	v_add_f64 v[8:9], v[16:17], -v[8:9]
	s_and_saveexec_b64 s[48:49], vcc
	s_cbranch_execz .LBB16_21
; %bb.18:                               ;   in Loop: Header=BB16_9 Depth=3
	v_lshlrev_b64 v[16:17], 3, v[10:11]
	v_mov_b32_e32 v5, s37
	v_add_co_u32_e32 v16, vcc, s36, v16
	v_addc_co_u32_e32 v17, vcc, v5, v17, vcc
	global_load_dwordx2 v[16:17], v[16:17], off
	v_pk_mov_b32 v[18:19], 0, 0
	s_waitcnt vmcnt(0)
	v_cmp_lg_f64_e32 vcc, 0, v[16:17]
	s_and_saveexec_b64 s[50:51], vcc
; %bb.19:                               ;   in Loop: Header=BB16_9 Depth=3
	v_div_scale_f64 v[18:19], s[52:53], v[16:17], v[16:17], v[8:9]
	v_rcp_f64_e32 v[30:31], v[18:19]
	v_div_scale_f64 v[32:33], vcc, v[8:9], v[16:17], v[8:9]
	v_fma_f64 v[34:35], -v[18:19], v[30:31], 1.0
	v_fmac_f64_e32 v[30:31], v[30:31], v[34:35]
	v_fma_f64 v[34:35], -v[18:19], v[30:31], 1.0
	v_fmac_f64_e32 v[30:31], v[30:31], v[34:35]
	v_mul_f64 v[34:35], v[32:33], v[30:31]
	v_fma_f64 v[18:19], -v[18:19], v[34:35], v[32:33]
	v_div_fmas_f64 v[18:19], v[18:19], v[30:31], v[34:35]
	v_div_fixup_f64 v[18:19], v[18:19], v[16:17], v[8:9]
; %bb.20:                               ;   in Loop: Header=BB16_9 Depth=3
	s_or_b64 exec, exec, s[50:51]
	v_pk_mov_b32 v[8:9], v[18:19], v[18:19] op_sel:[0,1]
.LBB16_21:                              ;   in Loop: Header=BB16_9 Depth=3
	s_or_b64 exec, exec, s[48:49]
	v_cmp_class_f64_e64 s[50:51], v[8:9], s70
	s_and_saveexec_b64 s[48:49], s[50:51]
	s_cbranch_execz .LBB16_8
; %bb.22:                               ;   in Loop: Header=BB16_9 Depth=3
	s_mov_b64 s[50:51], 0
                                        ; implicit-def: $vgpr16_vgpr17
	s_and_saveexec_b64 s[52:53], s[6:7]
	s_xor_b64 s[6:7], exec, s[52:53]
	s_cbranch_execnz .LBB16_25
; %bb.23:                               ;   in Loop: Header=BB16_9 Depth=3
	s_andn2_saveexec_b64 s[6:7], s[6:7]
	s_cbranch_execnz .LBB16_38
.LBB16_24:                              ;   in Loop: Header=BB16_9 Depth=3
	s_or_b64 exec, exec, s[6:7]
	s_and_b64 exec, exec, s[50:51]
	s_cbranch_execz .LBB16_8
	s_branch .LBB16_47
.LBB16_25:                              ;   in Loop: Header=BB16_9 Depth=3
	v_cmp_ge_i32_e32 vcc, v2, v10
                                        ; implicit-def: $vgpr16_vgpr17
	s_and_saveexec_b64 s[52:53], vcc
	s_xor_b64 s[52:53], exec, s[52:53]
; %bb.26:                               ;   in Loop: Header=BB16_9 Depth=3
	v_lshlrev_b64 v[10:11], 3, v[10:11]
	v_mov_b32_e32 v0, s39
	v_add_co_u32_e32 v16, vcc, s38, v10
	s_mov_b64 s[50:51], exec
	v_addc_co_u32_e32 v17, vcc, v0, v11, vcc
                                        ; implicit-def: $vgpr14
                                        ; implicit-def: $vgpr28
                                        ; implicit-def: $vgpr12
; %bb.27:                               ;   in Loop: Header=BB16_9 Depth=3
	s_andn2_saveexec_b64 s[52:53], s[52:53]
	s_cbranch_execz .LBB16_37
; %bb.28:                               ;   in Loop: Header=BB16_9 Depth=3
	v_cmp_lt_i32_e32 vcc, v14, v28
	s_mov_b64 s[56:57], s[50:51]
                                        ; implicit-def: $vgpr16_vgpr17
	s_and_saveexec_b64 s[54:55], vcc
	s_cbranch_execz .LBB16_36
; %bb.29:                               ;   in Loop: Header=BB16_9 Depth=3
	s_mov_b64 s[58:59], 0
                                        ; implicit-def: $sgpr56_sgpr57
                                        ; implicit-def: $sgpr62_sgpr63
                                        ; implicit-def: $sgpr60_sgpr61
	s_branch .LBB16_31
.LBB16_30:                              ;   in Loop: Header=BB16_31 Depth=4
	s_or_b64 exec, exec, s[64:65]
	s_and_b64 s[64:65], exec, s[62:63]
	s_or_b64 s[58:59], s[64:65], s[58:59]
	s_andn2_b64 s[56:57], s[56:57], exec
	s_and_b64 s[64:65], s[60:61], exec
	s_or_b64 s[56:57], s[56:57], s[64:65]
	s_andn2_b64 exec, exec, s[58:59]
	s_cbranch_execz .LBB16_33
.LBB16_31:                              ;   Parent Loop BB16_3 Depth=1
                                        ;     Parent Loop BB16_5 Depth=2
                                        ;       Parent Loop BB16_9 Depth=3
                                        ; =>      This Inner Loop Header: Depth=4
	v_add_u32_e32 v10, v12, v14
	v_ashrrev_i32_e32 v11, 31, v10
	v_lshlrev_b64 v[16:17], 2, v[10:11]
	v_mov_b32_e32 v0, s13
	v_add_co_u32_e32 v16, vcc, s12, v16
	v_addc_co_u32_e32 v17, vcc, v0, v17, vcc
	global_load_dword v0, v[16:17], off
	s_or_b64 s[60:61], s[60:61], exec
	s_or_b64 s[62:63], s[62:63], exec
	s_waitcnt vmcnt(0)
	v_subrev_u32_e32 v0, s68, v0
	v_cmp_ne_u32_e32 vcc, v0, v2
	s_and_saveexec_b64 s[64:65], vcc
	s_cbranch_execz .LBB16_30
; %bb.32:                               ;   in Loop: Header=BB16_31 Depth=4
	v_add_u32_e32 v14, 1, v14
	v_cmp_ge_i32_e32 vcc, v14, v28
	s_andn2_b64 s[62:63], s[62:63], exec
	s_and_b64 s[72:73], vcc, exec
	s_andn2_b64 s[60:61], s[60:61], exec
	s_or_b64 s[62:63], s[62:63], s[72:73]
	s_branch .LBB16_30
.LBB16_33:                              ;   in Loop: Header=BB16_9 Depth=3
	s_or_b64 exec, exec, s[58:59]
	s_mov_b64 s[58:59], s[50:51]
                                        ; implicit-def: $vgpr16_vgpr17
	s_and_saveexec_b64 s[60:61], s[56:57]
	s_xor_b64 s[56:57], exec, s[60:61]
; %bb.34:                               ;   in Loop: Header=BB16_9 Depth=3
	v_lshlrev_b64 v[10:11], 3, v[10:11]
	v_mov_b32_e32 v0, s43
	v_add_co_u32_e32 v16, vcc, s42, v10
	v_addc_co_u32_e32 v17, vcc, v0, v11, vcc
	s_or_b64 s[58:59], s[50:51], exec
; %bb.35:                               ;   in Loop: Header=BB16_9 Depth=3
	s_or_b64 exec, exec, s[56:57]
	s_andn2_b64 s[56:57], s[50:51], exec
	s_and_b64 s[58:59], s[58:59], exec
	s_or_b64 s[56:57], s[56:57], s[58:59]
.LBB16_36:                              ;   in Loop: Header=BB16_9 Depth=3
	s_or_b64 exec, exec, s[54:55]
	s_andn2_b64 s[50:51], s[50:51], exec
	s_and_b64 s[54:55], s[56:57], exec
	s_or_b64 s[50:51], s[50:51], s[54:55]
.LBB16_37:                              ;   in Loop: Header=BB16_9 Depth=3
	s_or_b64 exec, exec, s[52:53]
	s_and_b64 s[50:51], s[50:51], exec
                                        ; implicit-def: $vgpr10_vgpr11
	s_andn2_saveexec_b64 s[6:7], s[6:7]
	s_cbranch_execz .LBB16_24
.LBB16_38:                              ;   in Loop: Header=BB16_9 Depth=3
	v_cmp_lt_i32_e32 vcc, v0, v24
	s_mov_b64 s[54:55], s[50:51]
                                        ; implicit-def: $vgpr16_vgpr17
	s_and_saveexec_b64 s[52:53], vcc
	s_cbranch_execz .LBB16_46
; %bb.39:                               ;   in Loop: Header=BB16_9 Depth=3
	s_mov_b64 s[56:57], 0
                                        ; implicit-def: $sgpr54_sgpr55
                                        ; implicit-def: $sgpr60_sgpr61
                                        ; implicit-def: $sgpr58_sgpr59
	s_branch .LBB16_41
.LBB16_40:                              ;   in Loop: Header=BB16_41 Depth=4
	s_or_b64 exec, exec, s[62:63]
	s_and_b64 s[62:63], exec, s[60:61]
	s_or_b64 s[56:57], s[62:63], s[56:57]
	s_andn2_b64 s[54:55], s[54:55], exec
	s_and_b64 s[62:63], s[58:59], exec
	s_or_b64 s[54:55], s[54:55], s[62:63]
	s_andn2_b64 exec, exec, s[56:57]
	s_cbranch_execz .LBB16_43
.LBB16_41:                              ;   Parent Loop BB16_3 Depth=1
                                        ;     Parent Loop BB16_5 Depth=2
                                        ;       Parent Loop BB16_9 Depth=3
                                        ; =>      This Inner Loop Header: Depth=4
	v_add_u32_e32 v12, v6, v0
	v_ashrrev_i32_e32 v13, 31, v12
	v_lshlrev_b64 v[14:15], 2, v[12:13]
	v_mov_b32_e32 v5, s21
	v_add_co_u32_e32 v14, vcc, s20, v14
	v_addc_co_u32_e32 v15, vcc, v5, v15, vcc
	global_load_dword v5, v[14:15], off
	s_or_b64 s[58:59], s[58:59], exec
	s_or_b64 s[60:61], s[60:61], exec
	s_waitcnt vmcnt(0)
	v_subrev_u32_e32 v5, s67, v5
	v_cmp_ne_u32_e32 vcc, v5, v10
	s_and_saveexec_b64 s[62:63], vcc
	s_cbranch_execz .LBB16_40
; %bb.42:                               ;   in Loop: Header=BB16_41 Depth=4
	v_add_u32_e32 v0, 1, v0
	v_cmp_ge_i32_e32 vcc, v0, v24
	s_andn2_b64 s[60:61], s[60:61], exec
	s_and_b64 s[64:65], vcc, exec
	s_andn2_b64 s[58:59], s[58:59], exec
	s_or_b64 s[60:61], s[60:61], s[64:65]
	s_branch .LBB16_40
.LBB16_43:                              ;   in Loop: Header=BB16_9 Depth=3
	s_or_b64 exec, exec, s[56:57]
	s_mov_b64 s[56:57], s[50:51]
                                        ; implicit-def: $vgpr16_vgpr17
	s_and_saveexec_b64 s[58:59], s[54:55]
	s_xor_b64 s[54:55], exec, s[58:59]
; %bb.44:                               ;   in Loop: Header=BB16_9 Depth=3
	v_lshlrev_b64 v[10:11], 3, v[12:13]
	v_mov_b32_e32 v0, s41
	v_add_co_u32_e32 v16, vcc, s40, v10
	v_addc_co_u32_e32 v17, vcc, v0, v11, vcc
	s_or_b64 s[56:57], s[50:51], exec
; %bb.45:                               ;   in Loop: Header=BB16_9 Depth=3
	s_or_b64 exec, exec, s[54:55]
	s_andn2_b64 s[54:55], s[50:51], exec
	s_and_b64 s[56:57], s[56:57], exec
	s_or_b64 s[54:55], s[54:55], s[56:57]
.LBB16_46:                              ;   in Loop: Header=BB16_9 Depth=3
	s_or_b64 exec, exec, s[52:53]
	s_andn2_b64 s[50:51], s[50:51], exec
	s_and_b64 s[52:53], s[54:55], exec
	s_or_b64 s[50:51], s[50:51], s[52:53]
	s_or_b64 exec, exec, s[6:7]
	s_and_b64 exec, exec, s[50:51]
	s_cbranch_execz .LBB16_8
.LBB16_47:                              ;   in Loop: Header=BB16_9 Depth=3
	global_store_dwordx2 v[16:17], v[8:9], off
	s_branch .LBB16_8
.LBB16_48:                              ;   in Loop: Header=BB16_3 Depth=1
	s_and_saveexec_b64 s[4:5], s[0:1]
	s_cbranch_execz .LBB16_2
; %bb.49:                               ;   in Loop: Header=BB16_3 Depth=1
	s_mov_b64 s[6:7], 0
	v_mov_b32_e32 v2, v20
	s_branch .LBB16_51
.LBB16_50:                              ;   in Loop: Header=BB16_51 Depth=2
	s_or_b64 exec, exec, s[44:45]
	v_add_u32_e32 v2, 0x100, v2
	v_cmp_le_u32_e32 vcc, s69, v2
	s_or_b64 s[6:7], vcc, s[6:7]
	s_andn2_b64 exec, exec, s[6:7]
	s_cbranch_execz .LBB16_2
.LBB16_51:                              ;   Parent Loop BB16_3 Depth=1
                                        ; =>  This Loop Header: Depth=2
                                        ;       Child Loop BB16_54 Depth 3
                                        ;       Child Loop BB16_57 Depth 3
	v_cmp_gt_i32_e32 vcc, s35, v2
	s_and_saveexec_b64 s[44:45], vcc
	s_cbranch_execz .LBB16_50
; %bb.52:                               ;   in Loop: Header=BB16_51 Depth=2
	v_ashrrev_i32_e32 v3, 31, v2
	v_lshlrev_b64 v[4:5], 2, v[2:3]
	v_mov_b32_e32 v0, s17
	v_add_co_u32_e32 v6, vcc, s16, v4
	v_addc_co_u32_e32 v7, vcc, v0, v5, vcc
	global_load_dword v0, v[6:7], off
	v_mov_b32_e32 v7, s19
	v_add_co_u32_e32 v6, vcc, s18, v4
	v_addc_co_u32_e32 v7, vcc, v7, v5, vcc
	global_load_dword v7, v[6:7], off
	s_waitcnt vmcnt(1)
	v_add_u32_e32 v6, v22, v0
	s_waitcnt vmcnt(0)
	v_subrev_u32_e32 v0, s67, v7
	v_cmp_lt_i32_e32 vcc, v6, v0
	s_and_saveexec_b64 s[46:47], vcc
	s_cbranch_execz .LBB16_55
; %bb.53:                               ;   in Loop: Header=BB16_51 Depth=2
	v_ashrrev_i32_e32 v7, 31, v6
	v_lshlrev_b64 v[10:11], 3, v[6:7]
	v_mov_b32_e32 v7, s41
	v_add_co_u32_e32 v8, vcc, s40, v10
	v_addc_co_u32_e32 v9, vcc, v7, v11, vcc
	v_mov_b32_e32 v7, s23
	v_add_co_u32_e32 v10, vcc, s22, v10
	v_addc_co_u32_e32 v11, vcc, v7, v11, vcc
	s_mov_b64 s[48:49], 0
.LBB16_54:                              ;   Parent Loop BB16_3 Depth=1
                                        ;     Parent Loop BB16_51 Depth=2
                                        ; =>    This Inner Loop Header: Depth=3
	global_load_dwordx2 v[12:13], v[8:9], off
	v_add_co_u32_e32 v8, vcc, 32, v8
	v_add_u32_e32 v6, 4, v6
	v_addc_co_u32_e32 v9, vcc, 0, v9, vcc
	v_cmp_ge_i32_e32 vcc, v6, v0
	s_or_b64 s[48:49], vcc, s[48:49]
	s_waitcnt vmcnt(0)
	global_store_dwordx2 v[10:11], v[12:13], off
	v_add_co_u32_e32 v10, vcc, 32, v10
	v_addc_co_u32_e32 v11, vcc, 0, v11, vcc
	s_andn2_b64 exec, exec, s[48:49]
	s_cbranch_execnz .LBB16_54
.LBB16_55:                              ;   in Loop: Header=BB16_51 Depth=2
	s_or_b64 exec, exec, s[46:47]
	v_mov_b32_e32 v0, s9
	v_add_co_u32_e32 v6, vcc, s8, v4
	v_addc_co_u32_e32 v7, vcc, v0, v5, vcc
	global_load_dword v0, v[6:7], off
	v_mov_b32_e32 v6, s11
	v_add_co_u32_e32 v4, vcc, s10, v4
	v_addc_co_u32_e32 v5, vcc, v6, v5, vcc
	global_load_dword v5, v[4:5], off
	s_waitcnt vmcnt(1)
	v_add_u32_e32 v4, v23, v0
	s_waitcnt vmcnt(0)
	v_subrev_u32_e32 v0, s68, v5
	v_cmp_lt_i32_e32 vcc, v4, v0
	s_and_saveexec_b64 s[46:47], vcc
	s_cbranch_execz .LBB16_58
; %bb.56:                               ;   in Loop: Header=BB16_51 Depth=2
	v_ashrrev_i32_e32 v5, 31, v4
	v_lshlrev_b64 v[8:9], 3, v[4:5]
	v_mov_b32_e32 v5, s43
	v_add_co_u32_e32 v6, vcc, s42, v8
	v_addc_co_u32_e32 v7, vcc, v5, v9, vcc
	v_mov_b32_e32 v5, s15
	v_add_co_u32_e32 v8, vcc, s14, v8
	v_addc_co_u32_e32 v9, vcc, v5, v9, vcc
	s_mov_b64 s[48:49], 0
.LBB16_57:                              ;   Parent Loop BB16_3 Depth=1
                                        ;     Parent Loop BB16_51 Depth=2
                                        ; =>    This Inner Loop Header: Depth=3
	global_load_dwordx2 v[10:11], v[6:7], off
	v_add_co_u32_e32 v6, vcc, 32, v6
	v_add_u32_e32 v4, 4, v4
	v_addc_co_u32_e32 v7, vcc, 0, v7, vcc
	v_cmp_ge_i32_e32 vcc, v4, v0
	s_or_b64 s[48:49], vcc, s[48:49]
	s_waitcnt vmcnt(0)
	global_store_dwordx2 v[8:9], v[10:11], off
	v_add_co_u32_e32 v8, vcc, 32, v8
	v_addc_co_u32_e32 v9, vcc, 0, v9, vcc
	s_andn2_b64 exec, exec, s[48:49]
	s_cbranch_execnz .LBB16_57
.LBB16_58:                              ;   in Loop: Header=BB16_51 Depth=2
	s_or_b64 exec, exec, s[46:47]
	s_and_b64 exec, exec, s[2:3]
	s_cbranch_execz .LBB16_50
; %bb.59:                               ;   in Loop: Header=BB16_51 Depth=2
	v_lshlrev_b64 v[4:5], 3, v[2:3]
	v_mov_b32_e32 v0, s39
	v_add_co_u32_e32 v6, vcc, s38, v4
	v_addc_co_u32_e32 v7, vcc, v0, v5, vcc
	global_load_dwordx2 v[6:7], v[6:7], off
	v_mov_b32_e32 v0, s37
	v_add_co_u32_e32 v4, vcc, s36, v4
	v_addc_co_u32_e32 v5, vcc, v0, v5, vcc
	s_waitcnt vmcnt(0)
	global_store_dwordx2 v[4:5], v[6:7], off
	s_branch .LBB16_50
.LBB16_60:
	s_endpgm
	.section	.rodata,"a",@progbits
	.p2align	6, 0x0
	.amdhsa_kernel _ZN9rocsparseL14kernel_freerunILi1024ELi4EdiiEEvT3_S1_T2_PKS2_S4_PKS1_PKT1_21rocsparse_index_base_S4_S4_S6_PS7_SB_SA_S4_S4_S6_SB_SB_SA_SB_SB_
		.amdhsa_group_segment_fixed_size 0
		.amdhsa_private_segment_fixed_size 0
		.amdhsa_kernarg_size 168
		.amdhsa_user_sgpr_count 6
		.amdhsa_user_sgpr_private_segment_buffer 1
		.amdhsa_user_sgpr_dispatch_ptr 0
		.amdhsa_user_sgpr_queue_ptr 0
		.amdhsa_user_sgpr_kernarg_segment_ptr 1
		.amdhsa_user_sgpr_dispatch_id 0
		.amdhsa_user_sgpr_flat_scratch_init 0
		.amdhsa_user_sgpr_kernarg_preload_length 0
		.amdhsa_user_sgpr_kernarg_preload_offset 0
		.amdhsa_user_sgpr_private_segment_size 0
		.amdhsa_uses_dynamic_stack 0
		.amdhsa_system_sgpr_private_segment_wavefront_offset 0
		.amdhsa_system_sgpr_workgroup_id_x 1
		.amdhsa_system_sgpr_workgroup_id_y 0
		.amdhsa_system_sgpr_workgroup_id_z 0
		.amdhsa_system_sgpr_workgroup_info 0
		.amdhsa_system_vgpr_workitem_id 0
		.amdhsa_next_free_vgpr 36
		.amdhsa_next_free_sgpr 74
		.amdhsa_accum_offset 36
		.amdhsa_reserve_vcc 1
		.amdhsa_reserve_flat_scratch 0
		.amdhsa_float_round_mode_32 0
		.amdhsa_float_round_mode_16_64 0
		.amdhsa_float_denorm_mode_32 3
		.amdhsa_float_denorm_mode_16_64 3
		.amdhsa_dx10_clamp 1
		.amdhsa_ieee_mode 1
		.amdhsa_fp16_overflow 0
		.amdhsa_tg_split 0
		.amdhsa_exception_fp_ieee_invalid_op 0
		.amdhsa_exception_fp_denorm_src 0
		.amdhsa_exception_fp_ieee_div_zero 0
		.amdhsa_exception_fp_ieee_overflow 0
		.amdhsa_exception_fp_ieee_underflow 0
		.amdhsa_exception_fp_ieee_inexact 0
		.amdhsa_exception_int_div_zero 0
	.end_amdhsa_kernel
	.section	.text._ZN9rocsparseL14kernel_freerunILi1024ELi4EdiiEEvT3_S1_T2_PKS2_S4_PKS1_PKT1_21rocsparse_index_base_S4_S4_S6_PS7_SB_SA_S4_S4_S6_SB_SB_SA_SB_SB_,"axG",@progbits,_ZN9rocsparseL14kernel_freerunILi1024ELi4EdiiEEvT3_S1_T2_PKS2_S4_PKS1_PKT1_21rocsparse_index_base_S4_S4_S6_PS7_SB_SA_S4_S4_S6_SB_SB_SA_SB_SB_,comdat
.Lfunc_end16:
	.size	_ZN9rocsparseL14kernel_freerunILi1024ELi4EdiiEEvT3_S1_T2_PKS2_S4_PKS1_PKT1_21rocsparse_index_base_S4_S4_S6_PS7_SB_SA_S4_S4_S6_SB_SB_SA_SB_SB_, .Lfunc_end16-_ZN9rocsparseL14kernel_freerunILi1024ELi4EdiiEEvT3_S1_T2_PKS2_S4_PKS1_PKT1_21rocsparse_index_base_S4_S4_S6_PS7_SB_SA_S4_S4_S6_SB_SB_SA_SB_SB_
                                        ; -- End function
	.section	.AMDGPU.csdata,"",@progbits
; Kernel info:
; codeLenInByte = 2140
; NumSgprs: 78
; NumVgprs: 36
; NumAgprs: 0
; TotalNumVgprs: 36
; ScratchSize: 0
; MemoryBound: 1
; FloatMode: 240
; IeeeMode: 1
; LDSByteSize: 0 bytes/workgroup (compile time only)
; SGPRBlocks: 9
; VGPRBlocks: 4
; NumSGPRsForWavesPerEU: 78
; NumVGPRsForWavesPerEU: 36
; AccumOffset: 36
; Occupancy: 8
; WaveLimiterHint : 1
; COMPUTE_PGM_RSRC2:SCRATCH_EN: 0
; COMPUTE_PGM_RSRC2:USER_SGPR: 6
; COMPUTE_PGM_RSRC2:TRAP_HANDLER: 0
; COMPUTE_PGM_RSRC2:TGID_X_EN: 1
; COMPUTE_PGM_RSRC2:TGID_Y_EN: 0
; COMPUTE_PGM_RSRC2:TGID_Z_EN: 0
; COMPUTE_PGM_RSRC2:TIDIG_COMP_CNT: 0
; COMPUTE_PGM_RSRC3_GFX90A:ACCUM_OFFSET: 8
; COMPUTE_PGM_RSRC3_GFX90A:TG_SPLIT: 0
	.section	.text._ZN9rocsparseL14kernel_freerunILi1024ELi8EdiiEEvT3_S1_T2_PKS2_S4_PKS1_PKT1_21rocsparse_index_base_S4_S4_S6_PS7_SB_SA_S4_S4_S6_SB_SB_SA_SB_SB_,"axG",@progbits,_ZN9rocsparseL14kernel_freerunILi1024ELi8EdiiEEvT3_S1_T2_PKS2_S4_PKS1_PKT1_21rocsparse_index_base_S4_S4_S6_PS7_SB_SA_S4_S4_S6_SB_SB_SA_SB_SB_,comdat
	.globl	_ZN9rocsparseL14kernel_freerunILi1024ELi8EdiiEEvT3_S1_T2_PKS2_S4_PKS1_PKT1_21rocsparse_index_base_S4_S4_S6_PS7_SB_SA_S4_S4_S6_SB_SB_SA_SB_SB_ ; -- Begin function _ZN9rocsparseL14kernel_freerunILi1024ELi8EdiiEEvT3_S1_T2_PKS2_S4_PKS1_PKT1_21rocsparse_index_base_S4_S4_S6_PS7_SB_SA_S4_S4_S6_SB_SB_SA_SB_SB_
	.p2align	8
	.type	_ZN9rocsparseL14kernel_freerunILi1024ELi8EdiiEEvT3_S1_T2_PKS2_S4_PKS1_PKT1_21rocsparse_index_base_S4_S4_S6_PS7_SB_SA_S4_S4_S6_SB_SB_SA_SB_SB_,@function
_ZN9rocsparseL14kernel_freerunILi1024ELi8EdiiEEvT3_S1_T2_PKS2_S4_PKS1_PKT1_21rocsparse_index_base_S4_S4_S6_PS7_SB_SA_S4_S4_S6_SB_SB_SA_SB_SB_: ; @_ZN9rocsparseL14kernel_freerunILi1024ELi8EdiiEEvT3_S1_T2_PKS2_S4_PKS1_PKT1_21rocsparse_index_base_S4_S4_S6_PS7_SB_SA_S4_S4_S6_SB_SB_SA_SB_SB_
; %bb.0:
	s_load_dwordx2 s[34:35], s[4:5], 0x0
	v_lshrrev_b32_e32 v1, 3, v0
	s_lshl_b32 s69, s6, 10
	v_or_b32_e32 v20, s69, v1
	s_mov_b32 s33, 0
	s_waitcnt lgkmcnt(0)
	s_cmp_gt_i32 s34, 0
	v_cmp_gt_i32_e32 vcc, s35, v20
	s_cselect_b64 s[0:1], -1, 0
	s_and_b64 s[0:1], vcc, s[0:1]
	s_and_saveexec_b64 s[2:3], s[0:1]
	s_cbranch_execz .LBB17_60
; %bb.1:
	s_load_dwordx4 s[36:39], s[4:5], 0x98
	s_load_dwordx8 s[8:15], s[4:5], 0x68
	s_load_dwordx8 s[16:23], s[4:5], 0x38
	s_load_dwordx8 s[24:31], s[4:5], 0x10
	s_load_dword s66, s[4:5], 0x30
	s_load_dwordx2 s[40:41], s[4:5], 0x58
	s_load_dword s67, s[4:5], 0x60
	s_load_dwordx2 s[42:43], s[4:5], 0x88
	s_load_dword s68, s[4:5], 0x90
	v_and_b32_e32 v0, 7, v0
	s_addk_i32 s69, 0x400
	s_waitcnt lgkmcnt(0)
	v_subrev_u32_e32 v21, s66, v0
	v_cmp_gt_u32_e64 s[0:1], s69, v20
	v_subrev_u32_e32 v22, s67, v0
	v_subrev_u32_e32 v23, s68, v0
	v_cmp_eq_u32_e64 s[2:3], 0, v0
	s_movk_i32 s70, 0x1f8
	v_mov_b32_e32 v1, 0
	s_branch .LBB17_3
.LBB17_2:                               ;   in Loop: Header=BB17_3 Depth=1
	s_or_b64 exec, exec, s[4:5]
	s_add_i32 s33, s33, 1
	s_cmp_eq_u32 s33, s34
	s_cbranch_scc1 .LBB17_60
.LBB17_3:                               ; =>This Loop Header: Depth=1
                                        ;     Child Loop BB17_5 Depth 2
                                        ;       Child Loop BB17_9 Depth 3
                                        ;         Child Loop BB17_13 Depth 4
                                        ;         Child Loop BB17_31 Depth 4
                                        ;         Child Loop BB17_41 Depth 4
                                        ;     Child Loop BB17_51 Depth 2
                                        ;       Child Loop BB17_54 Depth 3
                                        ;       Child Loop BB17_57 Depth 3
	s_mov_b32 s71, 0
	s_branch .LBB17_5
.LBB17_4:                               ;   in Loop: Header=BB17_5 Depth=2
	s_or_b64 exec, exec, s[44:45]
	s_add_i32 s71, s71, 1
	s_cmp_eq_u32 s71, 8
	s_cbranch_scc1 .LBB17_48
.LBB17_5:                               ;   Parent Loop BB17_3 Depth=1
                                        ; =>  This Loop Header: Depth=2
                                        ;       Child Loop BB17_9 Depth 3
                                        ;         Child Loop BB17_13 Depth 4
                                        ;         Child Loop BB17_31 Depth 4
                                        ;         Child Loop BB17_41 Depth 4
	v_lshl_add_u32 v2, s71, 7, v20
	v_cmp_gt_i32_e32 vcc, s35, v2
	s_and_saveexec_b64 s[44:45], vcc
	s_cbranch_execz .LBB17_4
; %bb.6:                                ;   in Loop: Header=BB17_5 Depth=2
	v_ashrrev_i32_e32 v3, 31, v2
	v_lshlrev_b64 v[6:7], 2, v[2:3]
	v_mov_b32_e32 v0, s25
	v_add_co_u32_e32 v4, vcc, s24, v6
	v_addc_co_u32_e32 v5, vcc, v0, v7, vcc
	global_load_dword v0, v[4:5], off
	v_mov_b32_e32 v3, s27
	v_add_co_u32_e32 v4, vcc, s26, v6
	v_addc_co_u32_e32 v5, vcc, v3, v7, vcc
	global_load_dword v3, v[4:5], off
	s_waitcnt vmcnt(1)
	v_add_u32_e32 v4, v21, v0
	s_waitcnt vmcnt(0)
	v_subrev_u32_e32 v3, s66, v3
	v_cmp_lt_i32_e32 vcc, v4, v3
	s_and_b64 exec, exec, vcc
	s_cbranch_execz .LBB17_4
; %bb.7:                                ;   in Loop: Header=BB17_5 Depth=2
	v_mov_b32_e32 v0, s19
	v_add_co_u32_e32 v8, vcc, s18, v6
	v_addc_co_u32_e32 v9, vcc, v0, v7, vcc
	v_mov_b32_e32 v0, s17
	v_add_co_u32_e32 v6, vcc, s16, v6
	v_addc_co_u32_e32 v7, vcc, v0, v7, vcc
	global_load_dword v0, v[6:7], off
	global_load_dword v5, v[8:9], off
	v_mov_b32_e32 v12, s21
	v_mov_b32_e32 v13, s23
	s_mov_b64 s[46:47], 0
	s_waitcnt vmcnt(1)
	v_subrev_u32_e32 v6, s67, v0
	v_ashrrev_i32_e32 v7, 31, v6
	v_lshlrev_b64 v[8:9], 2, v[6:7]
	v_lshlrev_b64 v[10:11], 3, v[6:7]
	v_add_co_u32_e32 v7, vcc, s20, v8
	v_addc_co_u32_e32 v25, vcc, v12, v9, vcc
	s_waitcnt vmcnt(0)
	v_sub_u32_e32 v24, v5, v0
	v_add_co_u32_e32 v26, vcc, s22, v10
	v_cmp_lt_i32_e64 s[4:5], 0, v24
	v_addc_co_u32_e32 v27, vcc, v13, v11, vcc
	s_branch .LBB17_9
.LBB17_8:                               ;   in Loop: Header=BB17_9 Depth=3
	s_or_b64 exec, exec, s[48:49]
	v_add_u32_e32 v4, 8, v4
	v_cmp_ge_i32_e32 vcc, v4, v3
	s_or_b64 s[46:47], vcc, s[46:47]
	s_andn2_b64 exec, exec, s[46:47]
	s_cbranch_execz .LBB17_4
.LBB17_9:                               ;   Parent Loop BB17_3 Depth=1
                                        ;     Parent Loop BB17_5 Depth=2
                                        ; =>    This Loop Header: Depth=3
                                        ;         Child Loop BB17_13 Depth 4
                                        ;         Child Loop BB17_31 Depth 4
	;; [unrolled: 1-line block ×3, first 2 shown]
	v_ashrrev_i32_e32 v5, 31, v4
	v_lshlrev_b64 v[8:9], 2, v[4:5]
	v_mov_b32_e32 v0, s29
	v_add_co_u32_e32 v8, vcc, s28, v8
	v_addc_co_u32_e32 v9, vcc, v0, v9, vcc
	global_load_dword v0, v[8:9], off
	v_mov_b32_e32 v13, s9
	v_mov_b32_e32 v14, s11
	s_waitcnt vmcnt(0)
	v_subrev_u32_e32 v10, s66, v0
	v_ashrrev_i32_e32 v11, 31, v10
	v_lshlrev_b64 v[8:9], 2, v[10:11]
	v_add_co_u32_e32 v12, vcc, s8, v8
	v_addc_co_u32_e32 v13, vcc, v13, v9, vcc
	v_add_co_u32_e32 v8, vcc, s10, v8
	v_addc_co_u32_e32 v9, vcc, v14, v9, vcc
	global_load_dword v0, v[12:13], off
	s_nop 0
	global_load_dword v13, v[8:9], off
	v_pk_mov_b32 v[8:9], 0, 0
	v_mov_b32_e32 v14, 0
	s_waitcnt vmcnt(1)
	v_subrev_u32_e32 v12, s68, v0
	s_waitcnt vmcnt(0)
	v_sub_u32_e32 v28, v13, v0
	v_mov_b32_e32 v0, 0
	s_and_saveexec_b64 s[6:7], s[4:5]
	s_cbranch_execz .LBB17_17
; %bb.10:                               ;   in Loop: Header=BB17_9 Depth=3
	v_ashrrev_i32_e32 v13, 31, v12
	v_lshlrev_b64 v[8:9], 2, v[12:13]
	v_mov_b32_e32 v0, s13
	v_add_co_u32_e32 v16, vcc, s12, v8
	v_addc_co_u32_e32 v17, vcc, v0, v9, vcc
	v_lshlrev_b64 v[8:9], 3, v[12:13]
	v_mov_b32_e32 v0, s15
	v_add_co_u32_e32 v13, vcc, s14, v8
	v_addc_co_u32_e32 v18, vcc, v0, v9, vcc
	v_mov_b32_e32 v0, 0
	s_mov_b64 s[48:49], 0
	v_pk_mov_b32 v[8:9], 0, 0
	v_mov_b32_e32 v14, v0
                                        ; implicit-def: $sgpr50_sgpr51
	s_branch .LBB17_13
.LBB17_11:                              ;   in Loop: Header=BB17_13 Depth=4
	s_or_b64 exec, exec, s[54:55]
	v_cmp_le_i32_e32 vcc, v19, v29
	v_addc_co_u32_e32 v0, vcc, 0, v0, vcc
	v_cmp_ge_i32_e32 vcc, v19, v29
	v_addc_co_u32_e32 v14, vcc, 0, v14, vcc
	v_cmp_ge_i32_e32 vcc, v0, v24
	s_andn2_b64 s[50:51], s[50:51], exec
	s_and_b64 s[54:55], vcc, exec
	s_or_b64 s[50:51], s[50:51], s[54:55]
.LBB17_12:                              ;   in Loop: Header=BB17_13 Depth=4
	s_or_b64 exec, exec, s[52:53]
	s_and_b64 s[52:53], exec, s[50:51]
	s_or_b64 s[48:49], s[52:53], s[48:49]
	s_andn2_b64 exec, exec, s[48:49]
	s_cbranch_execz .LBB17_16
.LBB17_13:                              ;   Parent Loop BB17_3 Depth=1
                                        ;     Parent Loop BB17_5 Depth=2
                                        ;       Parent Loop BB17_9 Depth=3
                                        ; =>      This Inner Loop Header: Depth=4
	v_cmp_lt_i32_e32 vcc, v14, v28
	s_or_b64 s[50:51], s[50:51], exec
	s_and_saveexec_b64 s[52:53], vcc
	s_cbranch_execz .LBB17_12
; %bb.14:                               ;   in Loop: Header=BB17_13 Depth=4
	v_lshlrev_b64 v[30:31], 2, v[0:1]
	v_add_co_u32_e32 v30, vcc, v7, v30
	v_addc_co_u32_e32 v31, vcc, v25, v31, vcc
	v_mov_b32_e32 v15, v1
	global_load_dword v19, v[30:31], off
	v_lshlrev_b64 v[30:31], 2, v[14:15]
	v_add_co_u32_e32 v30, vcc, v16, v30
	v_addc_co_u32_e32 v31, vcc, v17, v31, vcc
	global_load_dword v29, v[30:31], off
	s_waitcnt vmcnt(1)
	v_subrev_u32_e32 v19, s67, v19
	s_waitcnt vmcnt(0)
	v_subrev_u32_e32 v29, s68, v29
	v_cmp_eq_u32_e32 vcc, v19, v29
	s_and_saveexec_b64 s[54:55], vcc
	s_cbranch_execz .LBB17_11
; %bb.15:                               ;   in Loop: Header=BB17_13 Depth=4
	v_lshlrev_b64 v[30:31], 3, v[0:1]
	v_add_co_u32_e32 v30, vcc, v26, v30
	v_addc_co_u32_e32 v31, vcc, v27, v31, vcc
	v_lshlrev_b64 v[32:33], 3, v[14:15]
	v_add_co_u32_e32 v32, vcc, v13, v32
	v_addc_co_u32_e32 v33, vcc, v18, v33, vcc
	global_load_dwordx2 v[30:31], v[30:31], off
	s_nop 0
	global_load_dwordx2 v[32:33], v[32:33], off
	s_waitcnt vmcnt(0)
	v_fmac_f64_e32 v[8:9], v[30:31], v[32:33]
	s_branch .LBB17_11
.LBB17_16:                              ;   in Loop: Header=BB17_9 Depth=3
	s_or_b64 exec, exec, s[48:49]
.LBB17_17:                              ;   in Loop: Header=BB17_9 Depth=3
	s_or_b64 exec, exec, s[6:7]
	v_lshlrev_b64 v[16:17], 3, v[4:5]
	v_mov_b32_e32 v5, s31
	v_add_co_u32_e32 v16, vcc, s30, v16
	v_addc_co_u32_e32 v17, vcc, v5, v17, vcc
	global_load_dwordx2 v[16:17], v[16:17], off
	v_cmp_le_i32_e64 s[6:7], v2, v10
	v_cmp_gt_i32_e32 vcc, v2, v10
	s_waitcnt vmcnt(0)
	v_add_f64 v[8:9], v[16:17], -v[8:9]
	s_and_saveexec_b64 s[48:49], vcc
	s_cbranch_execz .LBB17_21
; %bb.18:                               ;   in Loop: Header=BB17_9 Depth=3
	v_lshlrev_b64 v[16:17], 3, v[10:11]
	v_mov_b32_e32 v5, s37
	v_add_co_u32_e32 v16, vcc, s36, v16
	v_addc_co_u32_e32 v17, vcc, v5, v17, vcc
	global_load_dwordx2 v[16:17], v[16:17], off
	v_pk_mov_b32 v[18:19], 0, 0
	s_waitcnt vmcnt(0)
	v_cmp_lg_f64_e32 vcc, 0, v[16:17]
	s_and_saveexec_b64 s[50:51], vcc
; %bb.19:                               ;   in Loop: Header=BB17_9 Depth=3
	v_div_scale_f64 v[18:19], s[52:53], v[16:17], v[16:17], v[8:9]
	v_rcp_f64_e32 v[30:31], v[18:19]
	v_div_scale_f64 v[32:33], vcc, v[8:9], v[16:17], v[8:9]
	v_fma_f64 v[34:35], -v[18:19], v[30:31], 1.0
	v_fmac_f64_e32 v[30:31], v[30:31], v[34:35]
	v_fma_f64 v[34:35], -v[18:19], v[30:31], 1.0
	v_fmac_f64_e32 v[30:31], v[30:31], v[34:35]
	v_mul_f64 v[34:35], v[32:33], v[30:31]
	v_fma_f64 v[18:19], -v[18:19], v[34:35], v[32:33]
	v_div_fmas_f64 v[18:19], v[18:19], v[30:31], v[34:35]
	v_div_fixup_f64 v[18:19], v[18:19], v[16:17], v[8:9]
; %bb.20:                               ;   in Loop: Header=BB17_9 Depth=3
	s_or_b64 exec, exec, s[50:51]
	v_pk_mov_b32 v[8:9], v[18:19], v[18:19] op_sel:[0,1]
.LBB17_21:                              ;   in Loop: Header=BB17_9 Depth=3
	s_or_b64 exec, exec, s[48:49]
	v_cmp_class_f64_e64 s[50:51], v[8:9], s70
	s_and_saveexec_b64 s[48:49], s[50:51]
	s_cbranch_execz .LBB17_8
; %bb.22:                               ;   in Loop: Header=BB17_9 Depth=3
	s_mov_b64 s[50:51], 0
                                        ; implicit-def: $vgpr16_vgpr17
	s_and_saveexec_b64 s[52:53], s[6:7]
	s_xor_b64 s[6:7], exec, s[52:53]
	s_cbranch_execnz .LBB17_25
; %bb.23:                               ;   in Loop: Header=BB17_9 Depth=3
	s_andn2_saveexec_b64 s[6:7], s[6:7]
	s_cbranch_execnz .LBB17_38
.LBB17_24:                              ;   in Loop: Header=BB17_9 Depth=3
	s_or_b64 exec, exec, s[6:7]
	s_and_b64 exec, exec, s[50:51]
	s_cbranch_execz .LBB17_8
	s_branch .LBB17_47
.LBB17_25:                              ;   in Loop: Header=BB17_9 Depth=3
	v_cmp_ge_i32_e32 vcc, v2, v10
                                        ; implicit-def: $vgpr16_vgpr17
	s_and_saveexec_b64 s[52:53], vcc
	s_xor_b64 s[52:53], exec, s[52:53]
; %bb.26:                               ;   in Loop: Header=BB17_9 Depth=3
	v_lshlrev_b64 v[10:11], 3, v[10:11]
	v_mov_b32_e32 v0, s39
	v_add_co_u32_e32 v16, vcc, s38, v10
	s_mov_b64 s[50:51], exec
	v_addc_co_u32_e32 v17, vcc, v0, v11, vcc
                                        ; implicit-def: $vgpr14
                                        ; implicit-def: $vgpr28
                                        ; implicit-def: $vgpr12
; %bb.27:                               ;   in Loop: Header=BB17_9 Depth=3
	s_andn2_saveexec_b64 s[52:53], s[52:53]
	s_cbranch_execz .LBB17_37
; %bb.28:                               ;   in Loop: Header=BB17_9 Depth=3
	v_cmp_lt_i32_e32 vcc, v14, v28
	s_mov_b64 s[56:57], s[50:51]
                                        ; implicit-def: $vgpr16_vgpr17
	s_and_saveexec_b64 s[54:55], vcc
	s_cbranch_execz .LBB17_36
; %bb.29:                               ;   in Loop: Header=BB17_9 Depth=3
	s_mov_b64 s[58:59], 0
                                        ; implicit-def: $sgpr56_sgpr57
                                        ; implicit-def: $sgpr62_sgpr63
                                        ; implicit-def: $sgpr60_sgpr61
	s_branch .LBB17_31
.LBB17_30:                              ;   in Loop: Header=BB17_31 Depth=4
	s_or_b64 exec, exec, s[64:65]
	s_and_b64 s[64:65], exec, s[62:63]
	s_or_b64 s[58:59], s[64:65], s[58:59]
	s_andn2_b64 s[56:57], s[56:57], exec
	s_and_b64 s[64:65], s[60:61], exec
	s_or_b64 s[56:57], s[56:57], s[64:65]
	s_andn2_b64 exec, exec, s[58:59]
	s_cbranch_execz .LBB17_33
.LBB17_31:                              ;   Parent Loop BB17_3 Depth=1
                                        ;     Parent Loop BB17_5 Depth=2
                                        ;       Parent Loop BB17_9 Depth=3
                                        ; =>      This Inner Loop Header: Depth=4
	v_add_u32_e32 v10, v12, v14
	v_ashrrev_i32_e32 v11, 31, v10
	v_lshlrev_b64 v[16:17], 2, v[10:11]
	v_mov_b32_e32 v0, s13
	v_add_co_u32_e32 v16, vcc, s12, v16
	v_addc_co_u32_e32 v17, vcc, v0, v17, vcc
	global_load_dword v0, v[16:17], off
	s_or_b64 s[60:61], s[60:61], exec
	s_or_b64 s[62:63], s[62:63], exec
	s_waitcnt vmcnt(0)
	v_subrev_u32_e32 v0, s68, v0
	v_cmp_ne_u32_e32 vcc, v0, v2
	s_and_saveexec_b64 s[64:65], vcc
	s_cbranch_execz .LBB17_30
; %bb.32:                               ;   in Loop: Header=BB17_31 Depth=4
	v_add_u32_e32 v14, 1, v14
	v_cmp_ge_i32_e32 vcc, v14, v28
	s_andn2_b64 s[62:63], s[62:63], exec
	s_and_b64 s[72:73], vcc, exec
	s_andn2_b64 s[60:61], s[60:61], exec
	s_or_b64 s[62:63], s[62:63], s[72:73]
	s_branch .LBB17_30
.LBB17_33:                              ;   in Loop: Header=BB17_9 Depth=3
	s_or_b64 exec, exec, s[58:59]
	s_mov_b64 s[58:59], s[50:51]
                                        ; implicit-def: $vgpr16_vgpr17
	s_and_saveexec_b64 s[60:61], s[56:57]
	s_xor_b64 s[56:57], exec, s[60:61]
; %bb.34:                               ;   in Loop: Header=BB17_9 Depth=3
	v_lshlrev_b64 v[10:11], 3, v[10:11]
	v_mov_b32_e32 v0, s43
	v_add_co_u32_e32 v16, vcc, s42, v10
	v_addc_co_u32_e32 v17, vcc, v0, v11, vcc
	s_or_b64 s[58:59], s[50:51], exec
; %bb.35:                               ;   in Loop: Header=BB17_9 Depth=3
	s_or_b64 exec, exec, s[56:57]
	s_andn2_b64 s[56:57], s[50:51], exec
	s_and_b64 s[58:59], s[58:59], exec
	s_or_b64 s[56:57], s[56:57], s[58:59]
.LBB17_36:                              ;   in Loop: Header=BB17_9 Depth=3
	s_or_b64 exec, exec, s[54:55]
	s_andn2_b64 s[50:51], s[50:51], exec
	s_and_b64 s[54:55], s[56:57], exec
	s_or_b64 s[50:51], s[50:51], s[54:55]
.LBB17_37:                              ;   in Loop: Header=BB17_9 Depth=3
	s_or_b64 exec, exec, s[52:53]
	s_and_b64 s[50:51], s[50:51], exec
                                        ; implicit-def: $vgpr10_vgpr11
	s_andn2_saveexec_b64 s[6:7], s[6:7]
	s_cbranch_execz .LBB17_24
.LBB17_38:                              ;   in Loop: Header=BB17_9 Depth=3
	v_cmp_lt_i32_e32 vcc, v0, v24
	s_mov_b64 s[54:55], s[50:51]
                                        ; implicit-def: $vgpr16_vgpr17
	s_and_saveexec_b64 s[52:53], vcc
	s_cbranch_execz .LBB17_46
; %bb.39:                               ;   in Loop: Header=BB17_9 Depth=3
	s_mov_b64 s[56:57], 0
                                        ; implicit-def: $sgpr54_sgpr55
                                        ; implicit-def: $sgpr60_sgpr61
                                        ; implicit-def: $sgpr58_sgpr59
	s_branch .LBB17_41
.LBB17_40:                              ;   in Loop: Header=BB17_41 Depth=4
	s_or_b64 exec, exec, s[62:63]
	s_and_b64 s[62:63], exec, s[60:61]
	s_or_b64 s[56:57], s[62:63], s[56:57]
	s_andn2_b64 s[54:55], s[54:55], exec
	s_and_b64 s[62:63], s[58:59], exec
	s_or_b64 s[54:55], s[54:55], s[62:63]
	s_andn2_b64 exec, exec, s[56:57]
	s_cbranch_execz .LBB17_43
.LBB17_41:                              ;   Parent Loop BB17_3 Depth=1
                                        ;     Parent Loop BB17_5 Depth=2
                                        ;       Parent Loop BB17_9 Depth=3
                                        ; =>      This Inner Loop Header: Depth=4
	v_add_u32_e32 v12, v6, v0
	v_ashrrev_i32_e32 v13, 31, v12
	v_lshlrev_b64 v[14:15], 2, v[12:13]
	v_mov_b32_e32 v5, s21
	v_add_co_u32_e32 v14, vcc, s20, v14
	v_addc_co_u32_e32 v15, vcc, v5, v15, vcc
	global_load_dword v5, v[14:15], off
	s_or_b64 s[58:59], s[58:59], exec
	s_or_b64 s[60:61], s[60:61], exec
	s_waitcnt vmcnt(0)
	v_subrev_u32_e32 v5, s67, v5
	v_cmp_ne_u32_e32 vcc, v5, v10
	s_and_saveexec_b64 s[62:63], vcc
	s_cbranch_execz .LBB17_40
; %bb.42:                               ;   in Loop: Header=BB17_41 Depth=4
	v_add_u32_e32 v0, 1, v0
	v_cmp_ge_i32_e32 vcc, v0, v24
	s_andn2_b64 s[60:61], s[60:61], exec
	s_and_b64 s[64:65], vcc, exec
	s_andn2_b64 s[58:59], s[58:59], exec
	s_or_b64 s[60:61], s[60:61], s[64:65]
	s_branch .LBB17_40
.LBB17_43:                              ;   in Loop: Header=BB17_9 Depth=3
	s_or_b64 exec, exec, s[56:57]
	s_mov_b64 s[56:57], s[50:51]
                                        ; implicit-def: $vgpr16_vgpr17
	s_and_saveexec_b64 s[58:59], s[54:55]
	s_xor_b64 s[54:55], exec, s[58:59]
; %bb.44:                               ;   in Loop: Header=BB17_9 Depth=3
	v_lshlrev_b64 v[10:11], 3, v[12:13]
	v_mov_b32_e32 v0, s41
	v_add_co_u32_e32 v16, vcc, s40, v10
	v_addc_co_u32_e32 v17, vcc, v0, v11, vcc
	s_or_b64 s[56:57], s[50:51], exec
; %bb.45:                               ;   in Loop: Header=BB17_9 Depth=3
	s_or_b64 exec, exec, s[54:55]
	s_andn2_b64 s[54:55], s[50:51], exec
	s_and_b64 s[56:57], s[56:57], exec
	s_or_b64 s[54:55], s[54:55], s[56:57]
.LBB17_46:                              ;   in Loop: Header=BB17_9 Depth=3
	s_or_b64 exec, exec, s[52:53]
	s_andn2_b64 s[50:51], s[50:51], exec
	s_and_b64 s[52:53], s[54:55], exec
	s_or_b64 s[50:51], s[50:51], s[52:53]
	s_or_b64 exec, exec, s[6:7]
	s_and_b64 exec, exec, s[50:51]
	s_cbranch_execz .LBB17_8
.LBB17_47:                              ;   in Loop: Header=BB17_9 Depth=3
	global_store_dwordx2 v[16:17], v[8:9], off
	s_branch .LBB17_8
.LBB17_48:                              ;   in Loop: Header=BB17_3 Depth=1
	s_and_saveexec_b64 s[4:5], s[0:1]
	s_cbranch_execz .LBB17_2
; %bb.49:                               ;   in Loop: Header=BB17_3 Depth=1
	s_mov_b64 s[6:7], 0
	v_mov_b32_e32 v2, v20
	s_branch .LBB17_51
.LBB17_50:                              ;   in Loop: Header=BB17_51 Depth=2
	s_or_b64 exec, exec, s[44:45]
	v_add_u32_e32 v2, 0x80, v2
	v_cmp_le_u32_e32 vcc, s69, v2
	s_or_b64 s[6:7], vcc, s[6:7]
	s_andn2_b64 exec, exec, s[6:7]
	s_cbranch_execz .LBB17_2
.LBB17_51:                              ;   Parent Loop BB17_3 Depth=1
                                        ; =>  This Loop Header: Depth=2
                                        ;       Child Loop BB17_54 Depth 3
                                        ;       Child Loop BB17_57 Depth 3
	v_cmp_gt_i32_e32 vcc, s35, v2
	s_and_saveexec_b64 s[44:45], vcc
	s_cbranch_execz .LBB17_50
; %bb.52:                               ;   in Loop: Header=BB17_51 Depth=2
	v_ashrrev_i32_e32 v3, 31, v2
	v_lshlrev_b64 v[4:5], 2, v[2:3]
	v_mov_b32_e32 v0, s17
	v_add_co_u32_e32 v6, vcc, s16, v4
	v_addc_co_u32_e32 v7, vcc, v0, v5, vcc
	global_load_dword v0, v[6:7], off
	v_mov_b32_e32 v7, s19
	v_add_co_u32_e32 v6, vcc, s18, v4
	v_addc_co_u32_e32 v7, vcc, v7, v5, vcc
	global_load_dword v7, v[6:7], off
	s_waitcnt vmcnt(1)
	v_add_u32_e32 v6, v22, v0
	s_waitcnt vmcnt(0)
	v_subrev_u32_e32 v0, s67, v7
	v_cmp_lt_i32_e32 vcc, v6, v0
	s_and_saveexec_b64 s[46:47], vcc
	s_cbranch_execz .LBB17_55
; %bb.53:                               ;   in Loop: Header=BB17_51 Depth=2
	v_ashrrev_i32_e32 v7, 31, v6
	v_lshlrev_b64 v[10:11], 3, v[6:7]
	v_mov_b32_e32 v7, s41
	v_add_co_u32_e32 v8, vcc, s40, v10
	v_addc_co_u32_e32 v9, vcc, v7, v11, vcc
	v_mov_b32_e32 v7, s23
	v_add_co_u32_e32 v10, vcc, s22, v10
	v_addc_co_u32_e32 v11, vcc, v7, v11, vcc
	s_mov_b64 s[48:49], 0
.LBB17_54:                              ;   Parent Loop BB17_3 Depth=1
                                        ;     Parent Loop BB17_51 Depth=2
                                        ; =>    This Inner Loop Header: Depth=3
	global_load_dwordx2 v[12:13], v[8:9], off
	v_add_co_u32_e32 v8, vcc, 64, v8
	v_add_u32_e32 v6, 8, v6
	v_addc_co_u32_e32 v9, vcc, 0, v9, vcc
	v_cmp_ge_i32_e32 vcc, v6, v0
	s_or_b64 s[48:49], vcc, s[48:49]
	s_waitcnt vmcnt(0)
	global_store_dwordx2 v[10:11], v[12:13], off
	v_add_co_u32_e32 v10, vcc, 64, v10
	v_addc_co_u32_e32 v11, vcc, 0, v11, vcc
	s_andn2_b64 exec, exec, s[48:49]
	s_cbranch_execnz .LBB17_54
.LBB17_55:                              ;   in Loop: Header=BB17_51 Depth=2
	s_or_b64 exec, exec, s[46:47]
	v_mov_b32_e32 v0, s9
	v_add_co_u32_e32 v6, vcc, s8, v4
	v_addc_co_u32_e32 v7, vcc, v0, v5, vcc
	global_load_dword v0, v[6:7], off
	v_mov_b32_e32 v6, s11
	v_add_co_u32_e32 v4, vcc, s10, v4
	v_addc_co_u32_e32 v5, vcc, v6, v5, vcc
	global_load_dword v5, v[4:5], off
	s_waitcnt vmcnt(1)
	v_add_u32_e32 v4, v23, v0
	s_waitcnt vmcnt(0)
	v_subrev_u32_e32 v0, s68, v5
	v_cmp_lt_i32_e32 vcc, v4, v0
	s_and_saveexec_b64 s[46:47], vcc
	s_cbranch_execz .LBB17_58
; %bb.56:                               ;   in Loop: Header=BB17_51 Depth=2
	v_ashrrev_i32_e32 v5, 31, v4
	v_lshlrev_b64 v[8:9], 3, v[4:5]
	v_mov_b32_e32 v5, s43
	v_add_co_u32_e32 v6, vcc, s42, v8
	v_addc_co_u32_e32 v7, vcc, v5, v9, vcc
	v_mov_b32_e32 v5, s15
	v_add_co_u32_e32 v8, vcc, s14, v8
	v_addc_co_u32_e32 v9, vcc, v5, v9, vcc
	s_mov_b64 s[48:49], 0
.LBB17_57:                              ;   Parent Loop BB17_3 Depth=1
                                        ;     Parent Loop BB17_51 Depth=2
                                        ; =>    This Inner Loop Header: Depth=3
	global_load_dwordx2 v[10:11], v[6:7], off
	v_add_co_u32_e32 v6, vcc, 64, v6
	v_add_u32_e32 v4, 8, v4
	v_addc_co_u32_e32 v7, vcc, 0, v7, vcc
	v_cmp_ge_i32_e32 vcc, v4, v0
	s_or_b64 s[48:49], vcc, s[48:49]
	s_waitcnt vmcnt(0)
	global_store_dwordx2 v[8:9], v[10:11], off
	v_add_co_u32_e32 v8, vcc, 64, v8
	v_addc_co_u32_e32 v9, vcc, 0, v9, vcc
	s_andn2_b64 exec, exec, s[48:49]
	s_cbranch_execnz .LBB17_57
.LBB17_58:                              ;   in Loop: Header=BB17_51 Depth=2
	s_or_b64 exec, exec, s[46:47]
	s_and_b64 exec, exec, s[2:3]
	s_cbranch_execz .LBB17_50
; %bb.59:                               ;   in Loop: Header=BB17_51 Depth=2
	v_lshlrev_b64 v[4:5], 3, v[2:3]
	v_mov_b32_e32 v0, s39
	v_add_co_u32_e32 v6, vcc, s38, v4
	v_addc_co_u32_e32 v7, vcc, v0, v5, vcc
	global_load_dwordx2 v[6:7], v[6:7], off
	v_mov_b32_e32 v0, s37
	v_add_co_u32_e32 v4, vcc, s36, v4
	v_addc_co_u32_e32 v5, vcc, v0, v5, vcc
	s_waitcnt vmcnt(0)
	global_store_dwordx2 v[4:5], v[6:7], off
	s_branch .LBB17_50
.LBB17_60:
	s_endpgm
	.section	.rodata,"a",@progbits
	.p2align	6, 0x0
	.amdhsa_kernel _ZN9rocsparseL14kernel_freerunILi1024ELi8EdiiEEvT3_S1_T2_PKS2_S4_PKS1_PKT1_21rocsparse_index_base_S4_S4_S6_PS7_SB_SA_S4_S4_S6_SB_SB_SA_SB_SB_
		.amdhsa_group_segment_fixed_size 0
		.amdhsa_private_segment_fixed_size 0
		.amdhsa_kernarg_size 168
		.amdhsa_user_sgpr_count 6
		.amdhsa_user_sgpr_private_segment_buffer 1
		.amdhsa_user_sgpr_dispatch_ptr 0
		.amdhsa_user_sgpr_queue_ptr 0
		.amdhsa_user_sgpr_kernarg_segment_ptr 1
		.amdhsa_user_sgpr_dispatch_id 0
		.amdhsa_user_sgpr_flat_scratch_init 0
		.amdhsa_user_sgpr_kernarg_preload_length 0
		.amdhsa_user_sgpr_kernarg_preload_offset 0
		.amdhsa_user_sgpr_private_segment_size 0
		.amdhsa_uses_dynamic_stack 0
		.amdhsa_system_sgpr_private_segment_wavefront_offset 0
		.amdhsa_system_sgpr_workgroup_id_x 1
		.amdhsa_system_sgpr_workgroup_id_y 0
		.amdhsa_system_sgpr_workgroup_id_z 0
		.amdhsa_system_sgpr_workgroup_info 0
		.amdhsa_system_vgpr_workitem_id 0
		.amdhsa_next_free_vgpr 36
		.amdhsa_next_free_sgpr 74
		.amdhsa_accum_offset 36
		.amdhsa_reserve_vcc 1
		.amdhsa_reserve_flat_scratch 0
		.amdhsa_float_round_mode_32 0
		.amdhsa_float_round_mode_16_64 0
		.amdhsa_float_denorm_mode_32 3
		.amdhsa_float_denorm_mode_16_64 3
		.amdhsa_dx10_clamp 1
		.amdhsa_ieee_mode 1
		.amdhsa_fp16_overflow 0
		.amdhsa_tg_split 0
		.amdhsa_exception_fp_ieee_invalid_op 0
		.amdhsa_exception_fp_denorm_src 0
		.amdhsa_exception_fp_ieee_div_zero 0
		.amdhsa_exception_fp_ieee_overflow 0
		.amdhsa_exception_fp_ieee_underflow 0
		.amdhsa_exception_fp_ieee_inexact 0
		.amdhsa_exception_int_div_zero 0
	.end_amdhsa_kernel
	.section	.text._ZN9rocsparseL14kernel_freerunILi1024ELi8EdiiEEvT3_S1_T2_PKS2_S4_PKS1_PKT1_21rocsparse_index_base_S4_S4_S6_PS7_SB_SA_S4_S4_S6_SB_SB_SA_SB_SB_,"axG",@progbits,_ZN9rocsparseL14kernel_freerunILi1024ELi8EdiiEEvT3_S1_T2_PKS2_S4_PKS1_PKT1_21rocsparse_index_base_S4_S4_S6_PS7_SB_SA_S4_S4_S6_SB_SB_SA_SB_SB_,comdat
.Lfunc_end17:
	.size	_ZN9rocsparseL14kernel_freerunILi1024ELi8EdiiEEvT3_S1_T2_PKS2_S4_PKS1_PKT1_21rocsparse_index_base_S4_S4_S6_PS7_SB_SA_S4_S4_S6_SB_SB_SA_SB_SB_, .Lfunc_end17-_ZN9rocsparseL14kernel_freerunILi1024ELi8EdiiEEvT3_S1_T2_PKS2_S4_PKS1_PKT1_21rocsparse_index_base_S4_S4_S6_PS7_SB_SA_S4_S4_S6_SB_SB_SA_SB_SB_
                                        ; -- End function
	.section	.AMDGPU.csdata,"",@progbits
; Kernel info:
; codeLenInByte = 2140
; NumSgprs: 78
; NumVgprs: 36
; NumAgprs: 0
; TotalNumVgprs: 36
; ScratchSize: 0
; MemoryBound: 1
; FloatMode: 240
; IeeeMode: 1
; LDSByteSize: 0 bytes/workgroup (compile time only)
; SGPRBlocks: 9
; VGPRBlocks: 4
; NumSGPRsForWavesPerEU: 78
; NumVGPRsForWavesPerEU: 36
; AccumOffset: 36
; Occupancy: 8
; WaveLimiterHint : 1
; COMPUTE_PGM_RSRC2:SCRATCH_EN: 0
; COMPUTE_PGM_RSRC2:USER_SGPR: 6
; COMPUTE_PGM_RSRC2:TRAP_HANDLER: 0
; COMPUTE_PGM_RSRC2:TGID_X_EN: 1
; COMPUTE_PGM_RSRC2:TGID_Y_EN: 0
; COMPUTE_PGM_RSRC2:TGID_Z_EN: 0
; COMPUTE_PGM_RSRC2:TIDIG_COMP_CNT: 0
; COMPUTE_PGM_RSRC3_GFX90A:ACCUM_OFFSET: 8
; COMPUTE_PGM_RSRC3_GFX90A:TG_SPLIT: 0
	.section	.text._ZN9rocsparseL14kernel_freerunILi1024ELi16EdiiEEvT3_S1_T2_PKS2_S4_PKS1_PKT1_21rocsparse_index_base_S4_S4_S6_PS7_SB_SA_S4_S4_S6_SB_SB_SA_SB_SB_,"axG",@progbits,_ZN9rocsparseL14kernel_freerunILi1024ELi16EdiiEEvT3_S1_T2_PKS2_S4_PKS1_PKT1_21rocsparse_index_base_S4_S4_S6_PS7_SB_SA_S4_S4_S6_SB_SB_SA_SB_SB_,comdat
	.globl	_ZN9rocsparseL14kernel_freerunILi1024ELi16EdiiEEvT3_S1_T2_PKS2_S4_PKS1_PKT1_21rocsparse_index_base_S4_S4_S6_PS7_SB_SA_S4_S4_S6_SB_SB_SA_SB_SB_ ; -- Begin function _ZN9rocsparseL14kernel_freerunILi1024ELi16EdiiEEvT3_S1_T2_PKS2_S4_PKS1_PKT1_21rocsparse_index_base_S4_S4_S6_PS7_SB_SA_S4_S4_S6_SB_SB_SA_SB_SB_
	.p2align	8
	.type	_ZN9rocsparseL14kernel_freerunILi1024ELi16EdiiEEvT3_S1_T2_PKS2_S4_PKS1_PKT1_21rocsparse_index_base_S4_S4_S6_PS7_SB_SA_S4_S4_S6_SB_SB_SA_SB_SB_,@function
_ZN9rocsparseL14kernel_freerunILi1024ELi16EdiiEEvT3_S1_T2_PKS2_S4_PKS1_PKT1_21rocsparse_index_base_S4_S4_S6_PS7_SB_SA_S4_S4_S6_SB_SB_SA_SB_SB_: ; @_ZN9rocsparseL14kernel_freerunILi1024ELi16EdiiEEvT3_S1_T2_PKS2_S4_PKS1_PKT1_21rocsparse_index_base_S4_S4_S6_PS7_SB_SA_S4_S4_S6_SB_SB_SA_SB_SB_
; %bb.0:
	s_load_dwordx2 s[34:35], s[4:5], 0x0
	v_lshrrev_b32_e32 v1, 4, v0
	s_lshl_b32 s69, s6, 10
	v_or_b32_e32 v20, s69, v1
	s_mov_b32 s33, 0
	s_waitcnt lgkmcnt(0)
	s_cmp_gt_i32 s34, 0
	v_cmp_gt_i32_e32 vcc, s35, v20
	s_cselect_b64 s[0:1], -1, 0
	s_and_b64 s[0:1], vcc, s[0:1]
	s_and_saveexec_b64 s[2:3], s[0:1]
	s_cbranch_execz .LBB18_60
; %bb.1:
	s_load_dwordx4 s[36:39], s[4:5], 0x98
	s_load_dwordx8 s[8:15], s[4:5], 0x68
	s_load_dwordx8 s[16:23], s[4:5], 0x38
	s_load_dwordx8 s[24:31], s[4:5], 0x10
	s_load_dword s66, s[4:5], 0x30
	s_load_dwordx2 s[40:41], s[4:5], 0x58
	s_load_dword s67, s[4:5], 0x60
	s_load_dwordx2 s[42:43], s[4:5], 0x88
	s_load_dword s68, s[4:5], 0x90
	v_and_b32_e32 v0, 15, v0
	s_addk_i32 s69, 0x400
	s_waitcnt lgkmcnt(0)
	v_subrev_u32_e32 v21, s66, v0
	v_cmp_gt_u32_e64 s[0:1], s69, v20
	v_subrev_u32_e32 v22, s67, v0
	v_subrev_u32_e32 v23, s68, v0
	v_cmp_eq_u32_e64 s[2:3], 0, v0
	s_movk_i32 s70, 0x1f8
	v_mov_b32_e32 v1, 0
	s_branch .LBB18_3
.LBB18_2:                               ;   in Loop: Header=BB18_3 Depth=1
	s_or_b64 exec, exec, s[4:5]
	s_add_i32 s33, s33, 1
	s_cmp_eq_u32 s33, s34
	s_cbranch_scc1 .LBB18_60
.LBB18_3:                               ; =>This Loop Header: Depth=1
                                        ;     Child Loop BB18_5 Depth 2
                                        ;       Child Loop BB18_9 Depth 3
                                        ;         Child Loop BB18_13 Depth 4
                                        ;         Child Loop BB18_31 Depth 4
	;; [unrolled: 1-line block ×3, first 2 shown]
                                        ;     Child Loop BB18_51 Depth 2
                                        ;       Child Loop BB18_54 Depth 3
                                        ;       Child Loop BB18_57 Depth 3
	s_mov_b32 s71, 0
	s_branch .LBB18_5
.LBB18_4:                               ;   in Loop: Header=BB18_5 Depth=2
	s_or_b64 exec, exec, s[44:45]
	s_add_i32 s71, s71, 1
	s_cmp_eq_u32 s71, 16
	s_cbranch_scc1 .LBB18_48
.LBB18_5:                               ;   Parent Loop BB18_3 Depth=1
                                        ; =>  This Loop Header: Depth=2
                                        ;       Child Loop BB18_9 Depth 3
                                        ;         Child Loop BB18_13 Depth 4
                                        ;         Child Loop BB18_31 Depth 4
                                        ;         Child Loop BB18_41 Depth 4
	v_lshl_add_u32 v2, s71, 6, v20
	v_cmp_gt_i32_e32 vcc, s35, v2
	s_and_saveexec_b64 s[44:45], vcc
	s_cbranch_execz .LBB18_4
; %bb.6:                                ;   in Loop: Header=BB18_5 Depth=2
	v_ashrrev_i32_e32 v3, 31, v2
	v_lshlrev_b64 v[6:7], 2, v[2:3]
	v_mov_b32_e32 v0, s25
	v_add_co_u32_e32 v4, vcc, s24, v6
	v_addc_co_u32_e32 v5, vcc, v0, v7, vcc
	global_load_dword v0, v[4:5], off
	v_mov_b32_e32 v3, s27
	v_add_co_u32_e32 v4, vcc, s26, v6
	v_addc_co_u32_e32 v5, vcc, v3, v7, vcc
	global_load_dword v3, v[4:5], off
	s_waitcnt vmcnt(1)
	v_add_u32_e32 v4, v21, v0
	s_waitcnt vmcnt(0)
	v_subrev_u32_e32 v3, s66, v3
	v_cmp_lt_i32_e32 vcc, v4, v3
	s_and_b64 exec, exec, vcc
	s_cbranch_execz .LBB18_4
; %bb.7:                                ;   in Loop: Header=BB18_5 Depth=2
	v_mov_b32_e32 v0, s19
	v_add_co_u32_e32 v8, vcc, s18, v6
	v_addc_co_u32_e32 v9, vcc, v0, v7, vcc
	v_mov_b32_e32 v0, s17
	v_add_co_u32_e32 v6, vcc, s16, v6
	v_addc_co_u32_e32 v7, vcc, v0, v7, vcc
	global_load_dword v0, v[6:7], off
	global_load_dword v5, v[8:9], off
	v_mov_b32_e32 v12, s21
	v_mov_b32_e32 v13, s23
	s_mov_b64 s[46:47], 0
	s_waitcnt vmcnt(1)
	v_subrev_u32_e32 v6, s67, v0
	v_ashrrev_i32_e32 v7, 31, v6
	v_lshlrev_b64 v[8:9], 2, v[6:7]
	v_lshlrev_b64 v[10:11], 3, v[6:7]
	v_add_co_u32_e32 v7, vcc, s20, v8
	v_addc_co_u32_e32 v25, vcc, v12, v9, vcc
	s_waitcnt vmcnt(0)
	v_sub_u32_e32 v24, v5, v0
	v_add_co_u32_e32 v26, vcc, s22, v10
	v_cmp_lt_i32_e64 s[4:5], 0, v24
	v_addc_co_u32_e32 v27, vcc, v13, v11, vcc
	s_branch .LBB18_9
.LBB18_8:                               ;   in Loop: Header=BB18_9 Depth=3
	s_or_b64 exec, exec, s[48:49]
	v_add_u32_e32 v4, 16, v4
	v_cmp_ge_i32_e32 vcc, v4, v3
	s_or_b64 s[46:47], vcc, s[46:47]
	s_andn2_b64 exec, exec, s[46:47]
	s_cbranch_execz .LBB18_4
.LBB18_9:                               ;   Parent Loop BB18_3 Depth=1
                                        ;     Parent Loop BB18_5 Depth=2
                                        ; =>    This Loop Header: Depth=3
                                        ;         Child Loop BB18_13 Depth 4
                                        ;         Child Loop BB18_31 Depth 4
	;; [unrolled: 1-line block ×3, first 2 shown]
	v_ashrrev_i32_e32 v5, 31, v4
	v_lshlrev_b64 v[8:9], 2, v[4:5]
	v_mov_b32_e32 v0, s29
	v_add_co_u32_e32 v8, vcc, s28, v8
	v_addc_co_u32_e32 v9, vcc, v0, v9, vcc
	global_load_dword v0, v[8:9], off
	v_mov_b32_e32 v13, s9
	v_mov_b32_e32 v14, s11
	s_waitcnt vmcnt(0)
	v_subrev_u32_e32 v10, s66, v0
	v_ashrrev_i32_e32 v11, 31, v10
	v_lshlrev_b64 v[8:9], 2, v[10:11]
	v_add_co_u32_e32 v12, vcc, s8, v8
	v_addc_co_u32_e32 v13, vcc, v13, v9, vcc
	v_add_co_u32_e32 v8, vcc, s10, v8
	v_addc_co_u32_e32 v9, vcc, v14, v9, vcc
	global_load_dword v0, v[12:13], off
	s_nop 0
	global_load_dword v13, v[8:9], off
	v_pk_mov_b32 v[8:9], 0, 0
	v_mov_b32_e32 v14, 0
	s_waitcnt vmcnt(1)
	v_subrev_u32_e32 v12, s68, v0
	s_waitcnt vmcnt(0)
	v_sub_u32_e32 v28, v13, v0
	v_mov_b32_e32 v0, 0
	s_and_saveexec_b64 s[6:7], s[4:5]
	s_cbranch_execz .LBB18_17
; %bb.10:                               ;   in Loop: Header=BB18_9 Depth=3
	v_ashrrev_i32_e32 v13, 31, v12
	v_lshlrev_b64 v[8:9], 2, v[12:13]
	v_mov_b32_e32 v0, s13
	v_add_co_u32_e32 v16, vcc, s12, v8
	v_addc_co_u32_e32 v17, vcc, v0, v9, vcc
	v_lshlrev_b64 v[8:9], 3, v[12:13]
	v_mov_b32_e32 v0, s15
	v_add_co_u32_e32 v13, vcc, s14, v8
	v_addc_co_u32_e32 v18, vcc, v0, v9, vcc
	v_mov_b32_e32 v0, 0
	s_mov_b64 s[48:49], 0
	v_pk_mov_b32 v[8:9], 0, 0
	v_mov_b32_e32 v14, v0
                                        ; implicit-def: $sgpr50_sgpr51
	s_branch .LBB18_13
.LBB18_11:                              ;   in Loop: Header=BB18_13 Depth=4
	s_or_b64 exec, exec, s[54:55]
	v_cmp_le_i32_e32 vcc, v19, v29
	v_addc_co_u32_e32 v0, vcc, 0, v0, vcc
	v_cmp_ge_i32_e32 vcc, v19, v29
	v_addc_co_u32_e32 v14, vcc, 0, v14, vcc
	v_cmp_ge_i32_e32 vcc, v0, v24
	s_andn2_b64 s[50:51], s[50:51], exec
	s_and_b64 s[54:55], vcc, exec
	s_or_b64 s[50:51], s[50:51], s[54:55]
.LBB18_12:                              ;   in Loop: Header=BB18_13 Depth=4
	s_or_b64 exec, exec, s[52:53]
	s_and_b64 s[52:53], exec, s[50:51]
	s_or_b64 s[48:49], s[52:53], s[48:49]
	s_andn2_b64 exec, exec, s[48:49]
	s_cbranch_execz .LBB18_16
.LBB18_13:                              ;   Parent Loop BB18_3 Depth=1
                                        ;     Parent Loop BB18_5 Depth=2
                                        ;       Parent Loop BB18_9 Depth=3
                                        ; =>      This Inner Loop Header: Depth=4
	v_cmp_lt_i32_e32 vcc, v14, v28
	s_or_b64 s[50:51], s[50:51], exec
	s_and_saveexec_b64 s[52:53], vcc
	s_cbranch_execz .LBB18_12
; %bb.14:                               ;   in Loop: Header=BB18_13 Depth=4
	v_lshlrev_b64 v[30:31], 2, v[0:1]
	v_add_co_u32_e32 v30, vcc, v7, v30
	v_addc_co_u32_e32 v31, vcc, v25, v31, vcc
	v_mov_b32_e32 v15, v1
	global_load_dword v19, v[30:31], off
	v_lshlrev_b64 v[30:31], 2, v[14:15]
	v_add_co_u32_e32 v30, vcc, v16, v30
	v_addc_co_u32_e32 v31, vcc, v17, v31, vcc
	global_load_dword v29, v[30:31], off
	s_waitcnt vmcnt(1)
	v_subrev_u32_e32 v19, s67, v19
	s_waitcnt vmcnt(0)
	v_subrev_u32_e32 v29, s68, v29
	v_cmp_eq_u32_e32 vcc, v19, v29
	s_and_saveexec_b64 s[54:55], vcc
	s_cbranch_execz .LBB18_11
; %bb.15:                               ;   in Loop: Header=BB18_13 Depth=4
	v_lshlrev_b64 v[30:31], 3, v[0:1]
	v_add_co_u32_e32 v30, vcc, v26, v30
	v_addc_co_u32_e32 v31, vcc, v27, v31, vcc
	v_lshlrev_b64 v[32:33], 3, v[14:15]
	v_add_co_u32_e32 v32, vcc, v13, v32
	v_addc_co_u32_e32 v33, vcc, v18, v33, vcc
	global_load_dwordx2 v[30:31], v[30:31], off
	s_nop 0
	global_load_dwordx2 v[32:33], v[32:33], off
	s_waitcnt vmcnt(0)
	v_fmac_f64_e32 v[8:9], v[30:31], v[32:33]
	s_branch .LBB18_11
.LBB18_16:                              ;   in Loop: Header=BB18_9 Depth=3
	s_or_b64 exec, exec, s[48:49]
.LBB18_17:                              ;   in Loop: Header=BB18_9 Depth=3
	s_or_b64 exec, exec, s[6:7]
	v_lshlrev_b64 v[16:17], 3, v[4:5]
	v_mov_b32_e32 v5, s31
	v_add_co_u32_e32 v16, vcc, s30, v16
	v_addc_co_u32_e32 v17, vcc, v5, v17, vcc
	global_load_dwordx2 v[16:17], v[16:17], off
	v_cmp_le_i32_e64 s[6:7], v2, v10
	v_cmp_gt_i32_e32 vcc, v2, v10
	s_waitcnt vmcnt(0)
	v_add_f64 v[8:9], v[16:17], -v[8:9]
	s_and_saveexec_b64 s[48:49], vcc
	s_cbranch_execz .LBB18_21
; %bb.18:                               ;   in Loop: Header=BB18_9 Depth=3
	v_lshlrev_b64 v[16:17], 3, v[10:11]
	v_mov_b32_e32 v5, s37
	v_add_co_u32_e32 v16, vcc, s36, v16
	v_addc_co_u32_e32 v17, vcc, v5, v17, vcc
	global_load_dwordx2 v[16:17], v[16:17], off
	v_pk_mov_b32 v[18:19], 0, 0
	s_waitcnt vmcnt(0)
	v_cmp_lg_f64_e32 vcc, 0, v[16:17]
	s_and_saveexec_b64 s[50:51], vcc
; %bb.19:                               ;   in Loop: Header=BB18_9 Depth=3
	v_div_scale_f64 v[18:19], s[52:53], v[16:17], v[16:17], v[8:9]
	v_rcp_f64_e32 v[30:31], v[18:19]
	v_div_scale_f64 v[32:33], vcc, v[8:9], v[16:17], v[8:9]
	v_fma_f64 v[34:35], -v[18:19], v[30:31], 1.0
	v_fmac_f64_e32 v[30:31], v[30:31], v[34:35]
	v_fma_f64 v[34:35], -v[18:19], v[30:31], 1.0
	v_fmac_f64_e32 v[30:31], v[30:31], v[34:35]
	v_mul_f64 v[34:35], v[32:33], v[30:31]
	v_fma_f64 v[18:19], -v[18:19], v[34:35], v[32:33]
	v_div_fmas_f64 v[18:19], v[18:19], v[30:31], v[34:35]
	v_div_fixup_f64 v[18:19], v[18:19], v[16:17], v[8:9]
; %bb.20:                               ;   in Loop: Header=BB18_9 Depth=3
	s_or_b64 exec, exec, s[50:51]
	v_pk_mov_b32 v[8:9], v[18:19], v[18:19] op_sel:[0,1]
.LBB18_21:                              ;   in Loop: Header=BB18_9 Depth=3
	s_or_b64 exec, exec, s[48:49]
	v_cmp_class_f64_e64 s[50:51], v[8:9], s70
	s_and_saveexec_b64 s[48:49], s[50:51]
	s_cbranch_execz .LBB18_8
; %bb.22:                               ;   in Loop: Header=BB18_9 Depth=3
	s_mov_b64 s[50:51], 0
                                        ; implicit-def: $vgpr16_vgpr17
	s_and_saveexec_b64 s[52:53], s[6:7]
	s_xor_b64 s[6:7], exec, s[52:53]
	s_cbranch_execnz .LBB18_25
; %bb.23:                               ;   in Loop: Header=BB18_9 Depth=3
	s_andn2_saveexec_b64 s[6:7], s[6:7]
	s_cbranch_execnz .LBB18_38
.LBB18_24:                              ;   in Loop: Header=BB18_9 Depth=3
	s_or_b64 exec, exec, s[6:7]
	s_and_b64 exec, exec, s[50:51]
	s_cbranch_execz .LBB18_8
	s_branch .LBB18_47
.LBB18_25:                              ;   in Loop: Header=BB18_9 Depth=3
	v_cmp_ge_i32_e32 vcc, v2, v10
                                        ; implicit-def: $vgpr16_vgpr17
	s_and_saveexec_b64 s[52:53], vcc
	s_xor_b64 s[52:53], exec, s[52:53]
; %bb.26:                               ;   in Loop: Header=BB18_9 Depth=3
	v_lshlrev_b64 v[10:11], 3, v[10:11]
	v_mov_b32_e32 v0, s39
	v_add_co_u32_e32 v16, vcc, s38, v10
	s_mov_b64 s[50:51], exec
	v_addc_co_u32_e32 v17, vcc, v0, v11, vcc
                                        ; implicit-def: $vgpr14
                                        ; implicit-def: $vgpr28
                                        ; implicit-def: $vgpr12
; %bb.27:                               ;   in Loop: Header=BB18_9 Depth=3
	s_andn2_saveexec_b64 s[52:53], s[52:53]
	s_cbranch_execz .LBB18_37
; %bb.28:                               ;   in Loop: Header=BB18_9 Depth=3
	v_cmp_lt_i32_e32 vcc, v14, v28
	s_mov_b64 s[56:57], s[50:51]
                                        ; implicit-def: $vgpr16_vgpr17
	s_and_saveexec_b64 s[54:55], vcc
	s_cbranch_execz .LBB18_36
; %bb.29:                               ;   in Loop: Header=BB18_9 Depth=3
	s_mov_b64 s[58:59], 0
                                        ; implicit-def: $sgpr56_sgpr57
                                        ; implicit-def: $sgpr62_sgpr63
                                        ; implicit-def: $sgpr60_sgpr61
	s_branch .LBB18_31
.LBB18_30:                              ;   in Loop: Header=BB18_31 Depth=4
	s_or_b64 exec, exec, s[64:65]
	s_and_b64 s[64:65], exec, s[62:63]
	s_or_b64 s[58:59], s[64:65], s[58:59]
	s_andn2_b64 s[56:57], s[56:57], exec
	s_and_b64 s[64:65], s[60:61], exec
	s_or_b64 s[56:57], s[56:57], s[64:65]
	s_andn2_b64 exec, exec, s[58:59]
	s_cbranch_execz .LBB18_33
.LBB18_31:                              ;   Parent Loop BB18_3 Depth=1
                                        ;     Parent Loop BB18_5 Depth=2
                                        ;       Parent Loop BB18_9 Depth=3
                                        ; =>      This Inner Loop Header: Depth=4
	v_add_u32_e32 v10, v12, v14
	v_ashrrev_i32_e32 v11, 31, v10
	v_lshlrev_b64 v[16:17], 2, v[10:11]
	v_mov_b32_e32 v0, s13
	v_add_co_u32_e32 v16, vcc, s12, v16
	v_addc_co_u32_e32 v17, vcc, v0, v17, vcc
	global_load_dword v0, v[16:17], off
	s_or_b64 s[60:61], s[60:61], exec
	s_or_b64 s[62:63], s[62:63], exec
	s_waitcnt vmcnt(0)
	v_subrev_u32_e32 v0, s68, v0
	v_cmp_ne_u32_e32 vcc, v0, v2
	s_and_saveexec_b64 s[64:65], vcc
	s_cbranch_execz .LBB18_30
; %bb.32:                               ;   in Loop: Header=BB18_31 Depth=4
	v_add_u32_e32 v14, 1, v14
	v_cmp_ge_i32_e32 vcc, v14, v28
	s_andn2_b64 s[62:63], s[62:63], exec
	s_and_b64 s[72:73], vcc, exec
	s_andn2_b64 s[60:61], s[60:61], exec
	s_or_b64 s[62:63], s[62:63], s[72:73]
	s_branch .LBB18_30
.LBB18_33:                              ;   in Loop: Header=BB18_9 Depth=3
	s_or_b64 exec, exec, s[58:59]
	s_mov_b64 s[58:59], s[50:51]
                                        ; implicit-def: $vgpr16_vgpr17
	s_and_saveexec_b64 s[60:61], s[56:57]
	s_xor_b64 s[56:57], exec, s[60:61]
; %bb.34:                               ;   in Loop: Header=BB18_9 Depth=3
	v_lshlrev_b64 v[10:11], 3, v[10:11]
	v_mov_b32_e32 v0, s43
	v_add_co_u32_e32 v16, vcc, s42, v10
	v_addc_co_u32_e32 v17, vcc, v0, v11, vcc
	s_or_b64 s[58:59], s[50:51], exec
; %bb.35:                               ;   in Loop: Header=BB18_9 Depth=3
	s_or_b64 exec, exec, s[56:57]
	s_andn2_b64 s[56:57], s[50:51], exec
	s_and_b64 s[58:59], s[58:59], exec
	s_or_b64 s[56:57], s[56:57], s[58:59]
.LBB18_36:                              ;   in Loop: Header=BB18_9 Depth=3
	s_or_b64 exec, exec, s[54:55]
	s_andn2_b64 s[50:51], s[50:51], exec
	s_and_b64 s[54:55], s[56:57], exec
	s_or_b64 s[50:51], s[50:51], s[54:55]
.LBB18_37:                              ;   in Loop: Header=BB18_9 Depth=3
	s_or_b64 exec, exec, s[52:53]
	s_and_b64 s[50:51], s[50:51], exec
                                        ; implicit-def: $vgpr10_vgpr11
	s_andn2_saveexec_b64 s[6:7], s[6:7]
	s_cbranch_execz .LBB18_24
.LBB18_38:                              ;   in Loop: Header=BB18_9 Depth=3
	v_cmp_lt_i32_e32 vcc, v0, v24
	s_mov_b64 s[54:55], s[50:51]
                                        ; implicit-def: $vgpr16_vgpr17
	s_and_saveexec_b64 s[52:53], vcc
	s_cbranch_execz .LBB18_46
; %bb.39:                               ;   in Loop: Header=BB18_9 Depth=3
	s_mov_b64 s[56:57], 0
                                        ; implicit-def: $sgpr54_sgpr55
                                        ; implicit-def: $sgpr60_sgpr61
                                        ; implicit-def: $sgpr58_sgpr59
	s_branch .LBB18_41
.LBB18_40:                              ;   in Loop: Header=BB18_41 Depth=4
	s_or_b64 exec, exec, s[62:63]
	s_and_b64 s[62:63], exec, s[60:61]
	s_or_b64 s[56:57], s[62:63], s[56:57]
	s_andn2_b64 s[54:55], s[54:55], exec
	s_and_b64 s[62:63], s[58:59], exec
	s_or_b64 s[54:55], s[54:55], s[62:63]
	s_andn2_b64 exec, exec, s[56:57]
	s_cbranch_execz .LBB18_43
.LBB18_41:                              ;   Parent Loop BB18_3 Depth=1
                                        ;     Parent Loop BB18_5 Depth=2
                                        ;       Parent Loop BB18_9 Depth=3
                                        ; =>      This Inner Loop Header: Depth=4
	v_add_u32_e32 v12, v6, v0
	v_ashrrev_i32_e32 v13, 31, v12
	v_lshlrev_b64 v[14:15], 2, v[12:13]
	v_mov_b32_e32 v5, s21
	v_add_co_u32_e32 v14, vcc, s20, v14
	v_addc_co_u32_e32 v15, vcc, v5, v15, vcc
	global_load_dword v5, v[14:15], off
	s_or_b64 s[58:59], s[58:59], exec
	s_or_b64 s[60:61], s[60:61], exec
	s_waitcnt vmcnt(0)
	v_subrev_u32_e32 v5, s67, v5
	v_cmp_ne_u32_e32 vcc, v5, v10
	s_and_saveexec_b64 s[62:63], vcc
	s_cbranch_execz .LBB18_40
; %bb.42:                               ;   in Loop: Header=BB18_41 Depth=4
	v_add_u32_e32 v0, 1, v0
	v_cmp_ge_i32_e32 vcc, v0, v24
	s_andn2_b64 s[60:61], s[60:61], exec
	s_and_b64 s[64:65], vcc, exec
	s_andn2_b64 s[58:59], s[58:59], exec
	s_or_b64 s[60:61], s[60:61], s[64:65]
	s_branch .LBB18_40
.LBB18_43:                              ;   in Loop: Header=BB18_9 Depth=3
	s_or_b64 exec, exec, s[56:57]
	s_mov_b64 s[56:57], s[50:51]
                                        ; implicit-def: $vgpr16_vgpr17
	s_and_saveexec_b64 s[58:59], s[54:55]
	s_xor_b64 s[54:55], exec, s[58:59]
; %bb.44:                               ;   in Loop: Header=BB18_9 Depth=3
	v_lshlrev_b64 v[10:11], 3, v[12:13]
	v_mov_b32_e32 v0, s41
	v_add_co_u32_e32 v16, vcc, s40, v10
	v_addc_co_u32_e32 v17, vcc, v0, v11, vcc
	s_or_b64 s[56:57], s[50:51], exec
; %bb.45:                               ;   in Loop: Header=BB18_9 Depth=3
	s_or_b64 exec, exec, s[54:55]
	s_andn2_b64 s[54:55], s[50:51], exec
	s_and_b64 s[56:57], s[56:57], exec
	s_or_b64 s[54:55], s[54:55], s[56:57]
.LBB18_46:                              ;   in Loop: Header=BB18_9 Depth=3
	s_or_b64 exec, exec, s[52:53]
	s_andn2_b64 s[50:51], s[50:51], exec
	s_and_b64 s[52:53], s[54:55], exec
	s_or_b64 s[50:51], s[50:51], s[52:53]
	s_or_b64 exec, exec, s[6:7]
	s_and_b64 exec, exec, s[50:51]
	s_cbranch_execz .LBB18_8
.LBB18_47:                              ;   in Loop: Header=BB18_9 Depth=3
	global_store_dwordx2 v[16:17], v[8:9], off
	s_branch .LBB18_8
.LBB18_48:                              ;   in Loop: Header=BB18_3 Depth=1
	s_and_saveexec_b64 s[4:5], s[0:1]
	s_cbranch_execz .LBB18_2
; %bb.49:                               ;   in Loop: Header=BB18_3 Depth=1
	s_mov_b64 s[6:7], 0
	v_mov_b32_e32 v2, v20
	s_branch .LBB18_51
.LBB18_50:                              ;   in Loop: Header=BB18_51 Depth=2
	s_or_b64 exec, exec, s[44:45]
	v_add_u32_e32 v2, 64, v2
	v_cmp_le_u32_e32 vcc, s69, v2
	s_or_b64 s[6:7], vcc, s[6:7]
	s_andn2_b64 exec, exec, s[6:7]
	s_cbranch_execz .LBB18_2
.LBB18_51:                              ;   Parent Loop BB18_3 Depth=1
                                        ; =>  This Loop Header: Depth=2
                                        ;       Child Loop BB18_54 Depth 3
                                        ;       Child Loop BB18_57 Depth 3
	v_cmp_gt_i32_e32 vcc, s35, v2
	s_and_saveexec_b64 s[44:45], vcc
	s_cbranch_execz .LBB18_50
; %bb.52:                               ;   in Loop: Header=BB18_51 Depth=2
	v_ashrrev_i32_e32 v3, 31, v2
	v_lshlrev_b64 v[4:5], 2, v[2:3]
	v_mov_b32_e32 v0, s17
	v_add_co_u32_e32 v6, vcc, s16, v4
	v_addc_co_u32_e32 v7, vcc, v0, v5, vcc
	global_load_dword v0, v[6:7], off
	v_mov_b32_e32 v7, s19
	v_add_co_u32_e32 v6, vcc, s18, v4
	v_addc_co_u32_e32 v7, vcc, v7, v5, vcc
	global_load_dword v7, v[6:7], off
	s_waitcnt vmcnt(1)
	v_add_u32_e32 v6, v22, v0
	s_waitcnt vmcnt(0)
	v_subrev_u32_e32 v0, s67, v7
	v_cmp_lt_i32_e32 vcc, v6, v0
	s_and_saveexec_b64 s[46:47], vcc
	s_cbranch_execz .LBB18_55
; %bb.53:                               ;   in Loop: Header=BB18_51 Depth=2
	v_ashrrev_i32_e32 v7, 31, v6
	v_lshlrev_b64 v[10:11], 3, v[6:7]
	v_mov_b32_e32 v7, s41
	v_add_co_u32_e32 v8, vcc, s40, v10
	v_addc_co_u32_e32 v9, vcc, v7, v11, vcc
	v_mov_b32_e32 v7, s23
	v_add_co_u32_e32 v10, vcc, s22, v10
	v_addc_co_u32_e32 v11, vcc, v7, v11, vcc
	s_mov_b64 s[48:49], 0
.LBB18_54:                              ;   Parent Loop BB18_3 Depth=1
                                        ;     Parent Loop BB18_51 Depth=2
                                        ; =>    This Inner Loop Header: Depth=3
	global_load_dwordx2 v[12:13], v[8:9], off
	v_add_co_u32_e32 v8, vcc, 0x80, v8
	v_add_u32_e32 v6, 16, v6
	v_addc_co_u32_e32 v9, vcc, 0, v9, vcc
	v_cmp_ge_i32_e32 vcc, v6, v0
	s_or_b64 s[48:49], vcc, s[48:49]
	s_waitcnt vmcnt(0)
	global_store_dwordx2 v[10:11], v[12:13], off
	v_add_co_u32_e32 v10, vcc, 0x80, v10
	v_addc_co_u32_e32 v11, vcc, 0, v11, vcc
	s_andn2_b64 exec, exec, s[48:49]
	s_cbranch_execnz .LBB18_54
.LBB18_55:                              ;   in Loop: Header=BB18_51 Depth=2
	s_or_b64 exec, exec, s[46:47]
	v_mov_b32_e32 v0, s9
	v_add_co_u32_e32 v6, vcc, s8, v4
	v_addc_co_u32_e32 v7, vcc, v0, v5, vcc
	global_load_dword v0, v[6:7], off
	v_mov_b32_e32 v6, s11
	v_add_co_u32_e32 v4, vcc, s10, v4
	v_addc_co_u32_e32 v5, vcc, v6, v5, vcc
	global_load_dword v5, v[4:5], off
	s_waitcnt vmcnt(1)
	v_add_u32_e32 v4, v23, v0
	s_waitcnt vmcnt(0)
	v_subrev_u32_e32 v0, s68, v5
	v_cmp_lt_i32_e32 vcc, v4, v0
	s_and_saveexec_b64 s[46:47], vcc
	s_cbranch_execz .LBB18_58
; %bb.56:                               ;   in Loop: Header=BB18_51 Depth=2
	v_ashrrev_i32_e32 v5, 31, v4
	v_lshlrev_b64 v[8:9], 3, v[4:5]
	v_mov_b32_e32 v5, s43
	v_add_co_u32_e32 v6, vcc, s42, v8
	v_addc_co_u32_e32 v7, vcc, v5, v9, vcc
	v_mov_b32_e32 v5, s15
	v_add_co_u32_e32 v8, vcc, s14, v8
	v_addc_co_u32_e32 v9, vcc, v5, v9, vcc
	s_mov_b64 s[48:49], 0
.LBB18_57:                              ;   Parent Loop BB18_3 Depth=1
                                        ;     Parent Loop BB18_51 Depth=2
                                        ; =>    This Inner Loop Header: Depth=3
	global_load_dwordx2 v[10:11], v[6:7], off
	v_add_co_u32_e32 v6, vcc, 0x80, v6
	v_add_u32_e32 v4, 16, v4
	v_addc_co_u32_e32 v7, vcc, 0, v7, vcc
	v_cmp_ge_i32_e32 vcc, v4, v0
	s_or_b64 s[48:49], vcc, s[48:49]
	s_waitcnt vmcnt(0)
	global_store_dwordx2 v[8:9], v[10:11], off
	v_add_co_u32_e32 v8, vcc, 0x80, v8
	v_addc_co_u32_e32 v9, vcc, 0, v9, vcc
	s_andn2_b64 exec, exec, s[48:49]
	s_cbranch_execnz .LBB18_57
.LBB18_58:                              ;   in Loop: Header=BB18_51 Depth=2
	s_or_b64 exec, exec, s[46:47]
	s_and_b64 exec, exec, s[2:3]
	s_cbranch_execz .LBB18_50
; %bb.59:                               ;   in Loop: Header=BB18_51 Depth=2
	v_lshlrev_b64 v[4:5], 3, v[2:3]
	v_mov_b32_e32 v0, s39
	v_add_co_u32_e32 v6, vcc, s38, v4
	v_addc_co_u32_e32 v7, vcc, v0, v5, vcc
	global_load_dwordx2 v[6:7], v[6:7], off
	v_mov_b32_e32 v0, s37
	v_add_co_u32_e32 v4, vcc, s36, v4
	v_addc_co_u32_e32 v5, vcc, v0, v5, vcc
	s_waitcnt vmcnt(0)
	global_store_dwordx2 v[4:5], v[6:7], off
	s_branch .LBB18_50
.LBB18_60:
	s_endpgm
	.section	.rodata,"a",@progbits
	.p2align	6, 0x0
	.amdhsa_kernel _ZN9rocsparseL14kernel_freerunILi1024ELi16EdiiEEvT3_S1_T2_PKS2_S4_PKS1_PKT1_21rocsparse_index_base_S4_S4_S6_PS7_SB_SA_S4_S4_S6_SB_SB_SA_SB_SB_
		.amdhsa_group_segment_fixed_size 0
		.amdhsa_private_segment_fixed_size 0
		.amdhsa_kernarg_size 168
		.amdhsa_user_sgpr_count 6
		.amdhsa_user_sgpr_private_segment_buffer 1
		.amdhsa_user_sgpr_dispatch_ptr 0
		.amdhsa_user_sgpr_queue_ptr 0
		.amdhsa_user_sgpr_kernarg_segment_ptr 1
		.amdhsa_user_sgpr_dispatch_id 0
		.amdhsa_user_sgpr_flat_scratch_init 0
		.amdhsa_user_sgpr_kernarg_preload_length 0
		.amdhsa_user_sgpr_kernarg_preload_offset 0
		.amdhsa_user_sgpr_private_segment_size 0
		.amdhsa_uses_dynamic_stack 0
		.amdhsa_system_sgpr_private_segment_wavefront_offset 0
		.amdhsa_system_sgpr_workgroup_id_x 1
		.amdhsa_system_sgpr_workgroup_id_y 0
		.amdhsa_system_sgpr_workgroup_id_z 0
		.amdhsa_system_sgpr_workgroup_info 0
		.amdhsa_system_vgpr_workitem_id 0
		.amdhsa_next_free_vgpr 36
		.amdhsa_next_free_sgpr 74
		.amdhsa_accum_offset 36
		.amdhsa_reserve_vcc 1
		.amdhsa_reserve_flat_scratch 0
		.amdhsa_float_round_mode_32 0
		.amdhsa_float_round_mode_16_64 0
		.amdhsa_float_denorm_mode_32 3
		.amdhsa_float_denorm_mode_16_64 3
		.amdhsa_dx10_clamp 1
		.amdhsa_ieee_mode 1
		.amdhsa_fp16_overflow 0
		.amdhsa_tg_split 0
		.amdhsa_exception_fp_ieee_invalid_op 0
		.amdhsa_exception_fp_denorm_src 0
		.amdhsa_exception_fp_ieee_div_zero 0
		.amdhsa_exception_fp_ieee_overflow 0
		.amdhsa_exception_fp_ieee_underflow 0
		.amdhsa_exception_fp_ieee_inexact 0
		.amdhsa_exception_int_div_zero 0
	.end_amdhsa_kernel
	.section	.text._ZN9rocsparseL14kernel_freerunILi1024ELi16EdiiEEvT3_S1_T2_PKS2_S4_PKS1_PKT1_21rocsparse_index_base_S4_S4_S6_PS7_SB_SA_S4_S4_S6_SB_SB_SA_SB_SB_,"axG",@progbits,_ZN9rocsparseL14kernel_freerunILi1024ELi16EdiiEEvT3_S1_T2_PKS2_S4_PKS1_PKT1_21rocsparse_index_base_S4_S4_S6_PS7_SB_SA_S4_S4_S6_SB_SB_SA_SB_SB_,comdat
.Lfunc_end18:
	.size	_ZN9rocsparseL14kernel_freerunILi1024ELi16EdiiEEvT3_S1_T2_PKS2_S4_PKS1_PKT1_21rocsparse_index_base_S4_S4_S6_PS7_SB_SA_S4_S4_S6_SB_SB_SA_SB_SB_, .Lfunc_end18-_ZN9rocsparseL14kernel_freerunILi1024ELi16EdiiEEvT3_S1_T2_PKS2_S4_PKS1_PKT1_21rocsparse_index_base_S4_S4_S6_PS7_SB_SA_S4_S4_S6_SB_SB_SA_SB_SB_
                                        ; -- End function
	.section	.AMDGPU.csdata,"",@progbits
; Kernel info:
; codeLenInByte = 2152
; NumSgprs: 78
; NumVgprs: 36
; NumAgprs: 0
; TotalNumVgprs: 36
; ScratchSize: 0
; MemoryBound: 1
; FloatMode: 240
; IeeeMode: 1
; LDSByteSize: 0 bytes/workgroup (compile time only)
; SGPRBlocks: 9
; VGPRBlocks: 4
; NumSGPRsForWavesPerEU: 78
; NumVGPRsForWavesPerEU: 36
; AccumOffset: 36
; Occupancy: 8
; WaveLimiterHint : 1
; COMPUTE_PGM_RSRC2:SCRATCH_EN: 0
; COMPUTE_PGM_RSRC2:USER_SGPR: 6
; COMPUTE_PGM_RSRC2:TRAP_HANDLER: 0
; COMPUTE_PGM_RSRC2:TGID_X_EN: 1
; COMPUTE_PGM_RSRC2:TGID_Y_EN: 0
; COMPUTE_PGM_RSRC2:TGID_Z_EN: 0
; COMPUTE_PGM_RSRC2:TIDIG_COMP_CNT: 0
; COMPUTE_PGM_RSRC3_GFX90A:ACCUM_OFFSET: 8
; COMPUTE_PGM_RSRC3_GFX90A:TG_SPLIT: 0
	.section	.text._ZN9rocsparseL14kernel_freerunILi1024ELi32EdiiEEvT3_S1_T2_PKS2_S4_PKS1_PKT1_21rocsparse_index_base_S4_S4_S6_PS7_SB_SA_S4_S4_S6_SB_SB_SA_SB_SB_,"axG",@progbits,_ZN9rocsparseL14kernel_freerunILi1024ELi32EdiiEEvT3_S1_T2_PKS2_S4_PKS1_PKT1_21rocsparse_index_base_S4_S4_S6_PS7_SB_SA_S4_S4_S6_SB_SB_SA_SB_SB_,comdat
	.globl	_ZN9rocsparseL14kernel_freerunILi1024ELi32EdiiEEvT3_S1_T2_PKS2_S4_PKS1_PKT1_21rocsparse_index_base_S4_S4_S6_PS7_SB_SA_S4_S4_S6_SB_SB_SA_SB_SB_ ; -- Begin function _ZN9rocsparseL14kernel_freerunILi1024ELi32EdiiEEvT3_S1_T2_PKS2_S4_PKS1_PKT1_21rocsparse_index_base_S4_S4_S6_PS7_SB_SA_S4_S4_S6_SB_SB_SA_SB_SB_
	.p2align	8
	.type	_ZN9rocsparseL14kernel_freerunILi1024ELi32EdiiEEvT3_S1_T2_PKS2_S4_PKS1_PKT1_21rocsparse_index_base_S4_S4_S6_PS7_SB_SA_S4_S4_S6_SB_SB_SA_SB_SB_,@function
_ZN9rocsparseL14kernel_freerunILi1024ELi32EdiiEEvT3_S1_T2_PKS2_S4_PKS1_PKT1_21rocsparse_index_base_S4_S4_S6_PS7_SB_SA_S4_S4_S6_SB_SB_SA_SB_SB_: ; @_ZN9rocsparseL14kernel_freerunILi1024ELi32EdiiEEvT3_S1_T2_PKS2_S4_PKS1_PKT1_21rocsparse_index_base_S4_S4_S6_PS7_SB_SA_S4_S4_S6_SB_SB_SA_SB_SB_
; %bb.0:
	s_load_dwordx2 s[34:35], s[4:5], 0x0
	v_lshrrev_b32_e32 v1, 5, v0
	s_lshl_b32 s69, s6, 10
	v_or_b32_e32 v20, s69, v1
	s_mov_b32 s33, 0
	s_waitcnt lgkmcnt(0)
	s_cmp_gt_i32 s34, 0
	v_cmp_gt_i32_e32 vcc, s35, v20
	s_cselect_b64 s[0:1], -1, 0
	s_and_b64 s[0:1], vcc, s[0:1]
	s_and_saveexec_b64 s[2:3], s[0:1]
	s_cbranch_execz .LBB19_60
; %bb.1:
	s_load_dwordx4 s[36:39], s[4:5], 0x98
	s_load_dwordx8 s[8:15], s[4:5], 0x68
	s_load_dwordx8 s[16:23], s[4:5], 0x38
	;; [unrolled: 1-line block ×3, first 2 shown]
	s_load_dword s66, s[4:5], 0x30
	s_load_dwordx2 s[40:41], s[4:5], 0x58
	s_load_dword s67, s[4:5], 0x60
	s_load_dwordx2 s[42:43], s[4:5], 0x88
	s_load_dword s68, s[4:5], 0x90
	v_and_b32_e32 v0, 31, v0
	s_addk_i32 s69, 0x400
	s_waitcnt lgkmcnt(0)
	v_subrev_u32_e32 v21, s66, v0
	v_cmp_gt_u32_e64 s[0:1], s69, v20
	v_subrev_u32_e32 v22, s67, v0
	v_subrev_u32_e32 v23, s68, v0
	v_cmp_eq_u32_e64 s[2:3], 0, v0
	s_movk_i32 s70, 0x1f8
	v_mov_b32_e32 v1, 0
	s_branch .LBB19_3
.LBB19_2:                               ;   in Loop: Header=BB19_3 Depth=1
	s_or_b64 exec, exec, s[4:5]
	s_add_i32 s33, s33, 1
	s_cmp_eq_u32 s33, s34
	s_cbranch_scc1 .LBB19_60
.LBB19_3:                               ; =>This Loop Header: Depth=1
                                        ;     Child Loop BB19_5 Depth 2
                                        ;       Child Loop BB19_9 Depth 3
                                        ;         Child Loop BB19_13 Depth 4
                                        ;         Child Loop BB19_31 Depth 4
	;; [unrolled: 1-line block ×3, first 2 shown]
                                        ;     Child Loop BB19_51 Depth 2
                                        ;       Child Loop BB19_54 Depth 3
                                        ;       Child Loop BB19_57 Depth 3
	s_mov_b32 s71, 0
	s_branch .LBB19_5
.LBB19_4:                               ;   in Loop: Header=BB19_5 Depth=2
	s_or_b64 exec, exec, s[44:45]
	s_add_i32 s71, s71, 1
	s_cmp_eq_u32 s71, 32
	s_cbranch_scc1 .LBB19_48
.LBB19_5:                               ;   Parent Loop BB19_3 Depth=1
                                        ; =>  This Loop Header: Depth=2
                                        ;       Child Loop BB19_9 Depth 3
                                        ;         Child Loop BB19_13 Depth 4
                                        ;         Child Loop BB19_31 Depth 4
	;; [unrolled: 1-line block ×3, first 2 shown]
	v_lshl_add_u32 v2, s71, 5, v20
	v_cmp_gt_i32_e32 vcc, s35, v2
	s_and_saveexec_b64 s[44:45], vcc
	s_cbranch_execz .LBB19_4
; %bb.6:                                ;   in Loop: Header=BB19_5 Depth=2
	v_ashrrev_i32_e32 v3, 31, v2
	v_lshlrev_b64 v[6:7], 2, v[2:3]
	v_mov_b32_e32 v0, s25
	v_add_co_u32_e32 v4, vcc, s24, v6
	v_addc_co_u32_e32 v5, vcc, v0, v7, vcc
	global_load_dword v0, v[4:5], off
	v_mov_b32_e32 v3, s27
	v_add_co_u32_e32 v4, vcc, s26, v6
	v_addc_co_u32_e32 v5, vcc, v3, v7, vcc
	global_load_dword v3, v[4:5], off
	s_waitcnt vmcnt(1)
	v_add_u32_e32 v4, v21, v0
	s_waitcnt vmcnt(0)
	v_subrev_u32_e32 v3, s66, v3
	v_cmp_lt_i32_e32 vcc, v4, v3
	s_and_b64 exec, exec, vcc
	s_cbranch_execz .LBB19_4
; %bb.7:                                ;   in Loop: Header=BB19_5 Depth=2
	v_mov_b32_e32 v0, s19
	v_add_co_u32_e32 v8, vcc, s18, v6
	v_addc_co_u32_e32 v9, vcc, v0, v7, vcc
	v_mov_b32_e32 v0, s17
	v_add_co_u32_e32 v6, vcc, s16, v6
	v_addc_co_u32_e32 v7, vcc, v0, v7, vcc
	global_load_dword v0, v[6:7], off
	global_load_dword v5, v[8:9], off
	v_mov_b32_e32 v12, s21
	v_mov_b32_e32 v13, s23
	s_mov_b64 s[46:47], 0
	s_waitcnt vmcnt(1)
	v_subrev_u32_e32 v6, s67, v0
	v_ashrrev_i32_e32 v7, 31, v6
	v_lshlrev_b64 v[8:9], 2, v[6:7]
	v_lshlrev_b64 v[10:11], 3, v[6:7]
	v_add_co_u32_e32 v7, vcc, s20, v8
	v_addc_co_u32_e32 v25, vcc, v12, v9, vcc
	s_waitcnt vmcnt(0)
	v_sub_u32_e32 v24, v5, v0
	v_add_co_u32_e32 v26, vcc, s22, v10
	v_cmp_lt_i32_e64 s[4:5], 0, v24
	v_addc_co_u32_e32 v27, vcc, v13, v11, vcc
	s_branch .LBB19_9
.LBB19_8:                               ;   in Loop: Header=BB19_9 Depth=3
	s_or_b64 exec, exec, s[48:49]
	v_add_u32_e32 v4, 32, v4
	v_cmp_ge_i32_e32 vcc, v4, v3
	s_or_b64 s[46:47], vcc, s[46:47]
	s_andn2_b64 exec, exec, s[46:47]
	s_cbranch_execz .LBB19_4
.LBB19_9:                               ;   Parent Loop BB19_3 Depth=1
                                        ;     Parent Loop BB19_5 Depth=2
                                        ; =>    This Loop Header: Depth=3
                                        ;         Child Loop BB19_13 Depth 4
                                        ;         Child Loop BB19_31 Depth 4
	;; [unrolled: 1-line block ×3, first 2 shown]
	v_ashrrev_i32_e32 v5, 31, v4
	v_lshlrev_b64 v[8:9], 2, v[4:5]
	v_mov_b32_e32 v0, s29
	v_add_co_u32_e32 v8, vcc, s28, v8
	v_addc_co_u32_e32 v9, vcc, v0, v9, vcc
	global_load_dword v0, v[8:9], off
	v_mov_b32_e32 v13, s9
	v_mov_b32_e32 v14, s11
	s_waitcnt vmcnt(0)
	v_subrev_u32_e32 v10, s66, v0
	v_ashrrev_i32_e32 v11, 31, v10
	v_lshlrev_b64 v[8:9], 2, v[10:11]
	v_add_co_u32_e32 v12, vcc, s8, v8
	v_addc_co_u32_e32 v13, vcc, v13, v9, vcc
	v_add_co_u32_e32 v8, vcc, s10, v8
	v_addc_co_u32_e32 v9, vcc, v14, v9, vcc
	global_load_dword v0, v[12:13], off
	s_nop 0
	global_load_dword v13, v[8:9], off
	v_pk_mov_b32 v[8:9], 0, 0
	v_mov_b32_e32 v14, 0
	s_waitcnt vmcnt(1)
	v_subrev_u32_e32 v12, s68, v0
	s_waitcnt vmcnt(0)
	v_sub_u32_e32 v28, v13, v0
	v_mov_b32_e32 v0, 0
	s_and_saveexec_b64 s[6:7], s[4:5]
	s_cbranch_execz .LBB19_17
; %bb.10:                               ;   in Loop: Header=BB19_9 Depth=3
	v_ashrrev_i32_e32 v13, 31, v12
	v_lshlrev_b64 v[8:9], 2, v[12:13]
	v_mov_b32_e32 v0, s13
	v_add_co_u32_e32 v16, vcc, s12, v8
	v_addc_co_u32_e32 v17, vcc, v0, v9, vcc
	v_lshlrev_b64 v[8:9], 3, v[12:13]
	v_mov_b32_e32 v0, s15
	v_add_co_u32_e32 v13, vcc, s14, v8
	v_addc_co_u32_e32 v18, vcc, v0, v9, vcc
	v_mov_b32_e32 v0, 0
	s_mov_b64 s[48:49], 0
	v_pk_mov_b32 v[8:9], 0, 0
	v_mov_b32_e32 v14, v0
                                        ; implicit-def: $sgpr50_sgpr51
	s_branch .LBB19_13
.LBB19_11:                              ;   in Loop: Header=BB19_13 Depth=4
	s_or_b64 exec, exec, s[54:55]
	v_cmp_le_i32_e32 vcc, v19, v29
	v_addc_co_u32_e32 v0, vcc, 0, v0, vcc
	v_cmp_ge_i32_e32 vcc, v19, v29
	v_addc_co_u32_e32 v14, vcc, 0, v14, vcc
	v_cmp_ge_i32_e32 vcc, v0, v24
	s_andn2_b64 s[50:51], s[50:51], exec
	s_and_b64 s[54:55], vcc, exec
	s_or_b64 s[50:51], s[50:51], s[54:55]
.LBB19_12:                              ;   in Loop: Header=BB19_13 Depth=4
	s_or_b64 exec, exec, s[52:53]
	s_and_b64 s[52:53], exec, s[50:51]
	s_or_b64 s[48:49], s[52:53], s[48:49]
	s_andn2_b64 exec, exec, s[48:49]
	s_cbranch_execz .LBB19_16
.LBB19_13:                              ;   Parent Loop BB19_3 Depth=1
                                        ;     Parent Loop BB19_5 Depth=2
                                        ;       Parent Loop BB19_9 Depth=3
                                        ; =>      This Inner Loop Header: Depth=4
	v_cmp_lt_i32_e32 vcc, v14, v28
	s_or_b64 s[50:51], s[50:51], exec
	s_and_saveexec_b64 s[52:53], vcc
	s_cbranch_execz .LBB19_12
; %bb.14:                               ;   in Loop: Header=BB19_13 Depth=4
	v_lshlrev_b64 v[30:31], 2, v[0:1]
	v_add_co_u32_e32 v30, vcc, v7, v30
	v_addc_co_u32_e32 v31, vcc, v25, v31, vcc
	v_mov_b32_e32 v15, v1
	global_load_dword v19, v[30:31], off
	v_lshlrev_b64 v[30:31], 2, v[14:15]
	v_add_co_u32_e32 v30, vcc, v16, v30
	v_addc_co_u32_e32 v31, vcc, v17, v31, vcc
	global_load_dword v29, v[30:31], off
	s_waitcnt vmcnt(1)
	v_subrev_u32_e32 v19, s67, v19
	s_waitcnt vmcnt(0)
	v_subrev_u32_e32 v29, s68, v29
	v_cmp_eq_u32_e32 vcc, v19, v29
	s_and_saveexec_b64 s[54:55], vcc
	s_cbranch_execz .LBB19_11
; %bb.15:                               ;   in Loop: Header=BB19_13 Depth=4
	v_lshlrev_b64 v[30:31], 3, v[0:1]
	v_add_co_u32_e32 v30, vcc, v26, v30
	v_addc_co_u32_e32 v31, vcc, v27, v31, vcc
	v_lshlrev_b64 v[32:33], 3, v[14:15]
	v_add_co_u32_e32 v32, vcc, v13, v32
	v_addc_co_u32_e32 v33, vcc, v18, v33, vcc
	global_load_dwordx2 v[30:31], v[30:31], off
	s_nop 0
	global_load_dwordx2 v[32:33], v[32:33], off
	s_waitcnt vmcnt(0)
	v_fmac_f64_e32 v[8:9], v[30:31], v[32:33]
	s_branch .LBB19_11
.LBB19_16:                              ;   in Loop: Header=BB19_9 Depth=3
	s_or_b64 exec, exec, s[48:49]
.LBB19_17:                              ;   in Loop: Header=BB19_9 Depth=3
	s_or_b64 exec, exec, s[6:7]
	v_lshlrev_b64 v[16:17], 3, v[4:5]
	v_mov_b32_e32 v5, s31
	v_add_co_u32_e32 v16, vcc, s30, v16
	v_addc_co_u32_e32 v17, vcc, v5, v17, vcc
	global_load_dwordx2 v[16:17], v[16:17], off
	v_cmp_le_i32_e64 s[6:7], v2, v10
	v_cmp_gt_i32_e32 vcc, v2, v10
	s_waitcnt vmcnt(0)
	v_add_f64 v[8:9], v[16:17], -v[8:9]
	s_and_saveexec_b64 s[48:49], vcc
	s_cbranch_execz .LBB19_21
; %bb.18:                               ;   in Loop: Header=BB19_9 Depth=3
	v_lshlrev_b64 v[16:17], 3, v[10:11]
	v_mov_b32_e32 v5, s37
	v_add_co_u32_e32 v16, vcc, s36, v16
	v_addc_co_u32_e32 v17, vcc, v5, v17, vcc
	global_load_dwordx2 v[16:17], v[16:17], off
	v_pk_mov_b32 v[18:19], 0, 0
	s_waitcnt vmcnt(0)
	v_cmp_lg_f64_e32 vcc, 0, v[16:17]
	s_and_saveexec_b64 s[50:51], vcc
; %bb.19:                               ;   in Loop: Header=BB19_9 Depth=3
	v_div_scale_f64 v[18:19], s[52:53], v[16:17], v[16:17], v[8:9]
	v_rcp_f64_e32 v[30:31], v[18:19]
	v_div_scale_f64 v[32:33], vcc, v[8:9], v[16:17], v[8:9]
	v_fma_f64 v[34:35], -v[18:19], v[30:31], 1.0
	v_fmac_f64_e32 v[30:31], v[30:31], v[34:35]
	v_fma_f64 v[34:35], -v[18:19], v[30:31], 1.0
	v_fmac_f64_e32 v[30:31], v[30:31], v[34:35]
	v_mul_f64 v[34:35], v[32:33], v[30:31]
	v_fma_f64 v[18:19], -v[18:19], v[34:35], v[32:33]
	v_div_fmas_f64 v[18:19], v[18:19], v[30:31], v[34:35]
	v_div_fixup_f64 v[18:19], v[18:19], v[16:17], v[8:9]
; %bb.20:                               ;   in Loop: Header=BB19_9 Depth=3
	s_or_b64 exec, exec, s[50:51]
	v_pk_mov_b32 v[8:9], v[18:19], v[18:19] op_sel:[0,1]
.LBB19_21:                              ;   in Loop: Header=BB19_9 Depth=3
	s_or_b64 exec, exec, s[48:49]
	v_cmp_class_f64_e64 s[50:51], v[8:9], s70
	s_and_saveexec_b64 s[48:49], s[50:51]
	s_cbranch_execz .LBB19_8
; %bb.22:                               ;   in Loop: Header=BB19_9 Depth=3
	s_mov_b64 s[50:51], 0
                                        ; implicit-def: $vgpr16_vgpr17
	s_and_saveexec_b64 s[52:53], s[6:7]
	s_xor_b64 s[6:7], exec, s[52:53]
	s_cbranch_execnz .LBB19_25
; %bb.23:                               ;   in Loop: Header=BB19_9 Depth=3
	s_andn2_saveexec_b64 s[6:7], s[6:7]
	s_cbranch_execnz .LBB19_38
.LBB19_24:                              ;   in Loop: Header=BB19_9 Depth=3
	s_or_b64 exec, exec, s[6:7]
	s_and_b64 exec, exec, s[50:51]
	s_cbranch_execz .LBB19_8
	s_branch .LBB19_47
.LBB19_25:                              ;   in Loop: Header=BB19_9 Depth=3
	v_cmp_ge_i32_e32 vcc, v2, v10
                                        ; implicit-def: $vgpr16_vgpr17
	s_and_saveexec_b64 s[52:53], vcc
	s_xor_b64 s[52:53], exec, s[52:53]
; %bb.26:                               ;   in Loop: Header=BB19_9 Depth=3
	v_lshlrev_b64 v[10:11], 3, v[10:11]
	v_mov_b32_e32 v0, s39
	v_add_co_u32_e32 v16, vcc, s38, v10
	s_mov_b64 s[50:51], exec
	v_addc_co_u32_e32 v17, vcc, v0, v11, vcc
                                        ; implicit-def: $vgpr14
                                        ; implicit-def: $vgpr28
                                        ; implicit-def: $vgpr12
; %bb.27:                               ;   in Loop: Header=BB19_9 Depth=3
	s_andn2_saveexec_b64 s[52:53], s[52:53]
	s_cbranch_execz .LBB19_37
; %bb.28:                               ;   in Loop: Header=BB19_9 Depth=3
	v_cmp_lt_i32_e32 vcc, v14, v28
	s_mov_b64 s[56:57], s[50:51]
                                        ; implicit-def: $vgpr16_vgpr17
	s_and_saveexec_b64 s[54:55], vcc
	s_cbranch_execz .LBB19_36
; %bb.29:                               ;   in Loop: Header=BB19_9 Depth=3
	s_mov_b64 s[58:59], 0
                                        ; implicit-def: $sgpr56_sgpr57
                                        ; implicit-def: $sgpr62_sgpr63
                                        ; implicit-def: $sgpr60_sgpr61
	s_branch .LBB19_31
.LBB19_30:                              ;   in Loop: Header=BB19_31 Depth=4
	s_or_b64 exec, exec, s[64:65]
	s_and_b64 s[64:65], exec, s[62:63]
	s_or_b64 s[58:59], s[64:65], s[58:59]
	s_andn2_b64 s[56:57], s[56:57], exec
	s_and_b64 s[64:65], s[60:61], exec
	s_or_b64 s[56:57], s[56:57], s[64:65]
	s_andn2_b64 exec, exec, s[58:59]
	s_cbranch_execz .LBB19_33
.LBB19_31:                              ;   Parent Loop BB19_3 Depth=1
                                        ;     Parent Loop BB19_5 Depth=2
                                        ;       Parent Loop BB19_9 Depth=3
                                        ; =>      This Inner Loop Header: Depth=4
	v_add_u32_e32 v10, v12, v14
	v_ashrrev_i32_e32 v11, 31, v10
	v_lshlrev_b64 v[16:17], 2, v[10:11]
	v_mov_b32_e32 v0, s13
	v_add_co_u32_e32 v16, vcc, s12, v16
	v_addc_co_u32_e32 v17, vcc, v0, v17, vcc
	global_load_dword v0, v[16:17], off
	s_or_b64 s[60:61], s[60:61], exec
	s_or_b64 s[62:63], s[62:63], exec
	s_waitcnt vmcnt(0)
	v_subrev_u32_e32 v0, s68, v0
	v_cmp_ne_u32_e32 vcc, v0, v2
	s_and_saveexec_b64 s[64:65], vcc
	s_cbranch_execz .LBB19_30
; %bb.32:                               ;   in Loop: Header=BB19_31 Depth=4
	v_add_u32_e32 v14, 1, v14
	v_cmp_ge_i32_e32 vcc, v14, v28
	s_andn2_b64 s[62:63], s[62:63], exec
	s_and_b64 s[72:73], vcc, exec
	s_andn2_b64 s[60:61], s[60:61], exec
	s_or_b64 s[62:63], s[62:63], s[72:73]
	s_branch .LBB19_30
.LBB19_33:                              ;   in Loop: Header=BB19_9 Depth=3
	s_or_b64 exec, exec, s[58:59]
	s_mov_b64 s[58:59], s[50:51]
                                        ; implicit-def: $vgpr16_vgpr17
	s_and_saveexec_b64 s[60:61], s[56:57]
	s_xor_b64 s[56:57], exec, s[60:61]
; %bb.34:                               ;   in Loop: Header=BB19_9 Depth=3
	v_lshlrev_b64 v[10:11], 3, v[10:11]
	v_mov_b32_e32 v0, s43
	v_add_co_u32_e32 v16, vcc, s42, v10
	v_addc_co_u32_e32 v17, vcc, v0, v11, vcc
	s_or_b64 s[58:59], s[50:51], exec
; %bb.35:                               ;   in Loop: Header=BB19_9 Depth=3
	s_or_b64 exec, exec, s[56:57]
	s_andn2_b64 s[56:57], s[50:51], exec
	s_and_b64 s[58:59], s[58:59], exec
	s_or_b64 s[56:57], s[56:57], s[58:59]
.LBB19_36:                              ;   in Loop: Header=BB19_9 Depth=3
	s_or_b64 exec, exec, s[54:55]
	s_andn2_b64 s[50:51], s[50:51], exec
	s_and_b64 s[54:55], s[56:57], exec
	s_or_b64 s[50:51], s[50:51], s[54:55]
.LBB19_37:                              ;   in Loop: Header=BB19_9 Depth=3
	s_or_b64 exec, exec, s[52:53]
	s_and_b64 s[50:51], s[50:51], exec
                                        ; implicit-def: $vgpr10_vgpr11
	s_andn2_saveexec_b64 s[6:7], s[6:7]
	s_cbranch_execz .LBB19_24
.LBB19_38:                              ;   in Loop: Header=BB19_9 Depth=3
	v_cmp_lt_i32_e32 vcc, v0, v24
	s_mov_b64 s[54:55], s[50:51]
                                        ; implicit-def: $vgpr16_vgpr17
	s_and_saveexec_b64 s[52:53], vcc
	s_cbranch_execz .LBB19_46
; %bb.39:                               ;   in Loop: Header=BB19_9 Depth=3
	s_mov_b64 s[56:57], 0
                                        ; implicit-def: $sgpr54_sgpr55
                                        ; implicit-def: $sgpr60_sgpr61
                                        ; implicit-def: $sgpr58_sgpr59
	s_branch .LBB19_41
.LBB19_40:                              ;   in Loop: Header=BB19_41 Depth=4
	s_or_b64 exec, exec, s[62:63]
	s_and_b64 s[62:63], exec, s[60:61]
	s_or_b64 s[56:57], s[62:63], s[56:57]
	s_andn2_b64 s[54:55], s[54:55], exec
	s_and_b64 s[62:63], s[58:59], exec
	s_or_b64 s[54:55], s[54:55], s[62:63]
	s_andn2_b64 exec, exec, s[56:57]
	s_cbranch_execz .LBB19_43
.LBB19_41:                              ;   Parent Loop BB19_3 Depth=1
                                        ;     Parent Loop BB19_5 Depth=2
                                        ;       Parent Loop BB19_9 Depth=3
                                        ; =>      This Inner Loop Header: Depth=4
	v_add_u32_e32 v12, v6, v0
	v_ashrrev_i32_e32 v13, 31, v12
	v_lshlrev_b64 v[14:15], 2, v[12:13]
	v_mov_b32_e32 v5, s21
	v_add_co_u32_e32 v14, vcc, s20, v14
	v_addc_co_u32_e32 v15, vcc, v5, v15, vcc
	global_load_dword v5, v[14:15], off
	s_or_b64 s[58:59], s[58:59], exec
	s_or_b64 s[60:61], s[60:61], exec
	s_waitcnt vmcnt(0)
	v_subrev_u32_e32 v5, s67, v5
	v_cmp_ne_u32_e32 vcc, v5, v10
	s_and_saveexec_b64 s[62:63], vcc
	s_cbranch_execz .LBB19_40
; %bb.42:                               ;   in Loop: Header=BB19_41 Depth=4
	v_add_u32_e32 v0, 1, v0
	v_cmp_ge_i32_e32 vcc, v0, v24
	s_andn2_b64 s[60:61], s[60:61], exec
	s_and_b64 s[64:65], vcc, exec
	s_andn2_b64 s[58:59], s[58:59], exec
	s_or_b64 s[60:61], s[60:61], s[64:65]
	s_branch .LBB19_40
.LBB19_43:                              ;   in Loop: Header=BB19_9 Depth=3
	s_or_b64 exec, exec, s[56:57]
	s_mov_b64 s[56:57], s[50:51]
                                        ; implicit-def: $vgpr16_vgpr17
	s_and_saveexec_b64 s[58:59], s[54:55]
	s_xor_b64 s[54:55], exec, s[58:59]
; %bb.44:                               ;   in Loop: Header=BB19_9 Depth=3
	v_lshlrev_b64 v[10:11], 3, v[12:13]
	v_mov_b32_e32 v0, s41
	v_add_co_u32_e32 v16, vcc, s40, v10
	v_addc_co_u32_e32 v17, vcc, v0, v11, vcc
	s_or_b64 s[56:57], s[50:51], exec
; %bb.45:                               ;   in Loop: Header=BB19_9 Depth=3
	s_or_b64 exec, exec, s[54:55]
	s_andn2_b64 s[54:55], s[50:51], exec
	s_and_b64 s[56:57], s[56:57], exec
	s_or_b64 s[54:55], s[54:55], s[56:57]
.LBB19_46:                              ;   in Loop: Header=BB19_9 Depth=3
	s_or_b64 exec, exec, s[52:53]
	s_andn2_b64 s[50:51], s[50:51], exec
	s_and_b64 s[52:53], s[54:55], exec
	s_or_b64 s[50:51], s[50:51], s[52:53]
	s_or_b64 exec, exec, s[6:7]
	s_and_b64 exec, exec, s[50:51]
	s_cbranch_execz .LBB19_8
.LBB19_47:                              ;   in Loop: Header=BB19_9 Depth=3
	global_store_dwordx2 v[16:17], v[8:9], off
	s_branch .LBB19_8
.LBB19_48:                              ;   in Loop: Header=BB19_3 Depth=1
	s_and_saveexec_b64 s[4:5], s[0:1]
	s_cbranch_execz .LBB19_2
; %bb.49:                               ;   in Loop: Header=BB19_3 Depth=1
	s_mov_b64 s[6:7], 0
	v_mov_b32_e32 v2, v20
	s_branch .LBB19_51
.LBB19_50:                              ;   in Loop: Header=BB19_51 Depth=2
	s_or_b64 exec, exec, s[44:45]
	v_add_u32_e32 v2, 32, v2
	v_cmp_le_u32_e32 vcc, s69, v2
	s_or_b64 s[6:7], vcc, s[6:7]
	s_andn2_b64 exec, exec, s[6:7]
	s_cbranch_execz .LBB19_2
.LBB19_51:                              ;   Parent Loop BB19_3 Depth=1
                                        ; =>  This Loop Header: Depth=2
                                        ;       Child Loop BB19_54 Depth 3
                                        ;       Child Loop BB19_57 Depth 3
	v_cmp_gt_i32_e32 vcc, s35, v2
	s_and_saveexec_b64 s[44:45], vcc
	s_cbranch_execz .LBB19_50
; %bb.52:                               ;   in Loop: Header=BB19_51 Depth=2
	v_ashrrev_i32_e32 v3, 31, v2
	v_lshlrev_b64 v[4:5], 2, v[2:3]
	v_mov_b32_e32 v0, s17
	v_add_co_u32_e32 v6, vcc, s16, v4
	v_addc_co_u32_e32 v7, vcc, v0, v5, vcc
	global_load_dword v0, v[6:7], off
	v_mov_b32_e32 v7, s19
	v_add_co_u32_e32 v6, vcc, s18, v4
	v_addc_co_u32_e32 v7, vcc, v7, v5, vcc
	global_load_dword v7, v[6:7], off
	s_waitcnt vmcnt(1)
	v_add_u32_e32 v6, v22, v0
	s_waitcnt vmcnt(0)
	v_subrev_u32_e32 v0, s67, v7
	v_cmp_lt_i32_e32 vcc, v6, v0
	s_and_saveexec_b64 s[46:47], vcc
	s_cbranch_execz .LBB19_55
; %bb.53:                               ;   in Loop: Header=BB19_51 Depth=2
	v_ashrrev_i32_e32 v7, 31, v6
	v_lshlrev_b64 v[10:11], 3, v[6:7]
	v_mov_b32_e32 v7, s41
	v_add_co_u32_e32 v8, vcc, s40, v10
	v_addc_co_u32_e32 v9, vcc, v7, v11, vcc
	v_mov_b32_e32 v7, s23
	v_add_co_u32_e32 v10, vcc, s22, v10
	v_addc_co_u32_e32 v11, vcc, v7, v11, vcc
	s_mov_b64 s[48:49], 0
.LBB19_54:                              ;   Parent Loop BB19_3 Depth=1
                                        ;     Parent Loop BB19_51 Depth=2
                                        ; =>    This Inner Loop Header: Depth=3
	global_load_dwordx2 v[12:13], v[8:9], off
	v_add_co_u32_e32 v8, vcc, 0x100, v8
	v_add_u32_e32 v6, 32, v6
	v_addc_co_u32_e32 v9, vcc, 0, v9, vcc
	v_cmp_ge_i32_e32 vcc, v6, v0
	s_or_b64 s[48:49], vcc, s[48:49]
	s_waitcnt vmcnt(0)
	global_store_dwordx2 v[10:11], v[12:13], off
	v_add_co_u32_e32 v10, vcc, 0x100, v10
	v_addc_co_u32_e32 v11, vcc, 0, v11, vcc
	s_andn2_b64 exec, exec, s[48:49]
	s_cbranch_execnz .LBB19_54
.LBB19_55:                              ;   in Loop: Header=BB19_51 Depth=2
	s_or_b64 exec, exec, s[46:47]
	v_mov_b32_e32 v0, s9
	v_add_co_u32_e32 v6, vcc, s8, v4
	v_addc_co_u32_e32 v7, vcc, v0, v5, vcc
	global_load_dword v0, v[6:7], off
	v_mov_b32_e32 v6, s11
	v_add_co_u32_e32 v4, vcc, s10, v4
	v_addc_co_u32_e32 v5, vcc, v6, v5, vcc
	global_load_dword v5, v[4:5], off
	s_waitcnt vmcnt(1)
	v_add_u32_e32 v4, v23, v0
	s_waitcnt vmcnt(0)
	v_subrev_u32_e32 v0, s68, v5
	v_cmp_lt_i32_e32 vcc, v4, v0
	s_and_saveexec_b64 s[46:47], vcc
	s_cbranch_execz .LBB19_58
; %bb.56:                               ;   in Loop: Header=BB19_51 Depth=2
	v_ashrrev_i32_e32 v5, 31, v4
	v_lshlrev_b64 v[8:9], 3, v[4:5]
	v_mov_b32_e32 v5, s43
	v_add_co_u32_e32 v6, vcc, s42, v8
	v_addc_co_u32_e32 v7, vcc, v5, v9, vcc
	v_mov_b32_e32 v5, s15
	v_add_co_u32_e32 v8, vcc, s14, v8
	v_addc_co_u32_e32 v9, vcc, v5, v9, vcc
	s_mov_b64 s[48:49], 0
.LBB19_57:                              ;   Parent Loop BB19_3 Depth=1
                                        ;     Parent Loop BB19_51 Depth=2
                                        ; =>    This Inner Loop Header: Depth=3
	global_load_dwordx2 v[10:11], v[6:7], off
	v_add_co_u32_e32 v6, vcc, 0x100, v6
	v_add_u32_e32 v4, 32, v4
	v_addc_co_u32_e32 v7, vcc, 0, v7, vcc
	v_cmp_ge_i32_e32 vcc, v4, v0
	s_or_b64 s[48:49], vcc, s[48:49]
	s_waitcnt vmcnt(0)
	global_store_dwordx2 v[8:9], v[10:11], off
	v_add_co_u32_e32 v8, vcc, 0x100, v8
	v_addc_co_u32_e32 v9, vcc, 0, v9, vcc
	s_andn2_b64 exec, exec, s[48:49]
	s_cbranch_execnz .LBB19_57
.LBB19_58:                              ;   in Loop: Header=BB19_51 Depth=2
	s_or_b64 exec, exec, s[46:47]
	s_and_b64 exec, exec, s[2:3]
	s_cbranch_execz .LBB19_50
; %bb.59:                               ;   in Loop: Header=BB19_51 Depth=2
	v_lshlrev_b64 v[4:5], 3, v[2:3]
	v_mov_b32_e32 v0, s39
	v_add_co_u32_e32 v6, vcc, s38, v4
	v_addc_co_u32_e32 v7, vcc, v0, v5, vcc
	global_load_dwordx2 v[6:7], v[6:7], off
	v_mov_b32_e32 v0, s37
	v_add_co_u32_e32 v4, vcc, s36, v4
	v_addc_co_u32_e32 v5, vcc, v0, v5, vcc
	s_waitcnt vmcnt(0)
	global_store_dwordx2 v[4:5], v[6:7], off
	s_branch .LBB19_50
.LBB19_60:
	s_endpgm
	.section	.rodata,"a",@progbits
	.p2align	6, 0x0
	.amdhsa_kernel _ZN9rocsparseL14kernel_freerunILi1024ELi32EdiiEEvT3_S1_T2_PKS2_S4_PKS1_PKT1_21rocsparse_index_base_S4_S4_S6_PS7_SB_SA_S4_S4_S6_SB_SB_SA_SB_SB_
		.amdhsa_group_segment_fixed_size 0
		.amdhsa_private_segment_fixed_size 0
		.amdhsa_kernarg_size 168
		.amdhsa_user_sgpr_count 6
		.amdhsa_user_sgpr_private_segment_buffer 1
		.amdhsa_user_sgpr_dispatch_ptr 0
		.amdhsa_user_sgpr_queue_ptr 0
		.amdhsa_user_sgpr_kernarg_segment_ptr 1
		.amdhsa_user_sgpr_dispatch_id 0
		.amdhsa_user_sgpr_flat_scratch_init 0
		.amdhsa_user_sgpr_kernarg_preload_length 0
		.amdhsa_user_sgpr_kernarg_preload_offset 0
		.amdhsa_user_sgpr_private_segment_size 0
		.amdhsa_uses_dynamic_stack 0
		.amdhsa_system_sgpr_private_segment_wavefront_offset 0
		.amdhsa_system_sgpr_workgroup_id_x 1
		.amdhsa_system_sgpr_workgroup_id_y 0
		.amdhsa_system_sgpr_workgroup_id_z 0
		.amdhsa_system_sgpr_workgroup_info 0
		.amdhsa_system_vgpr_workitem_id 0
		.amdhsa_next_free_vgpr 36
		.amdhsa_next_free_sgpr 74
		.amdhsa_accum_offset 36
		.amdhsa_reserve_vcc 1
		.amdhsa_reserve_flat_scratch 0
		.amdhsa_float_round_mode_32 0
		.amdhsa_float_round_mode_16_64 0
		.amdhsa_float_denorm_mode_32 3
		.amdhsa_float_denorm_mode_16_64 3
		.amdhsa_dx10_clamp 1
		.amdhsa_ieee_mode 1
		.amdhsa_fp16_overflow 0
		.amdhsa_tg_split 0
		.amdhsa_exception_fp_ieee_invalid_op 0
		.amdhsa_exception_fp_denorm_src 0
		.amdhsa_exception_fp_ieee_div_zero 0
		.amdhsa_exception_fp_ieee_overflow 0
		.amdhsa_exception_fp_ieee_underflow 0
		.amdhsa_exception_fp_ieee_inexact 0
		.amdhsa_exception_int_div_zero 0
	.end_amdhsa_kernel
	.section	.text._ZN9rocsparseL14kernel_freerunILi1024ELi32EdiiEEvT3_S1_T2_PKS2_S4_PKS1_PKT1_21rocsparse_index_base_S4_S4_S6_PS7_SB_SA_S4_S4_S6_SB_SB_SA_SB_SB_,"axG",@progbits,_ZN9rocsparseL14kernel_freerunILi1024ELi32EdiiEEvT3_S1_T2_PKS2_S4_PKS1_PKT1_21rocsparse_index_base_S4_S4_S6_PS7_SB_SA_S4_S4_S6_SB_SB_SA_SB_SB_,comdat
.Lfunc_end19:
	.size	_ZN9rocsparseL14kernel_freerunILi1024ELi32EdiiEEvT3_S1_T2_PKS2_S4_PKS1_PKT1_21rocsparse_index_base_S4_S4_S6_PS7_SB_SA_S4_S4_S6_SB_SB_SA_SB_SB_, .Lfunc_end19-_ZN9rocsparseL14kernel_freerunILi1024ELi32EdiiEEvT3_S1_T2_PKS2_S4_PKS1_PKT1_21rocsparse_index_base_S4_S4_S6_PS7_SB_SA_S4_S4_S6_SB_SB_SA_SB_SB_
                                        ; -- End function
	.section	.AMDGPU.csdata,"",@progbits
; Kernel info:
; codeLenInByte = 2152
; NumSgprs: 78
; NumVgprs: 36
; NumAgprs: 0
; TotalNumVgprs: 36
; ScratchSize: 0
; MemoryBound: 1
; FloatMode: 240
; IeeeMode: 1
; LDSByteSize: 0 bytes/workgroup (compile time only)
; SGPRBlocks: 9
; VGPRBlocks: 4
; NumSGPRsForWavesPerEU: 78
; NumVGPRsForWavesPerEU: 36
; AccumOffset: 36
; Occupancy: 8
; WaveLimiterHint : 1
; COMPUTE_PGM_RSRC2:SCRATCH_EN: 0
; COMPUTE_PGM_RSRC2:USER_SGPR: 6
; COMPUTE_PGM_RSRC2:TRAP_HANDLER: 0
; COMPUTE_PGM_RSRC2:TGID_X_EN: 1
; COMPUTE_PGM_RSRC2:TGID_Y_EN: 0
; COMPUTE_PGM_RSRC2:TGID_Z_EN: 0
; COMPUTE_PGM_RSRC2:TIDIG_COMP_CNT: 0
; COMPUTE_PGM_RSRC3_GFX90A:ACCUM_OFFSET: 8
; COMPUTE_PGM_RSRC3_GFX90A:TG_SPLIT: 0
	.section	.text._ZN9rocsparseL14kernel_freerunILi1024ELi64EdiiEEvT3_S1_T2_PKS2_S4_PKS1_PKT1_21rocsparse_index_base_S4_S4_S6_PS7_SB_SA_S4_S4_S6_SB_SB_SA_SB_SB_,"axG",@progbits,_ZN9rocsparseL14kernel_freerunILi1024ELi64EdiiEEvT3_S1_T2_PKS2_S4_PKS1_PKT1_21rocsparse_index_base_S4_S4_S6_PS7_SB_SA_S4_S4_S6_SB_SB_SA_SB_SB_,comdat
	.globl	_ZN9rocsparseL14kernel_freerunILi1024ELi64EdiiEEvT3_S1_T2_PKS2_S4_PKS1_PKT1_21rocsparse_index_base_S4_S4_S6_PS7_SB_SA_S4_S4_S6_SB_SB_SA_SB_SB_ ; -- Begin function _ZN9rocsparseL14kernel_freerunILi1024ELi64EdiiEEvT3_S1_T2_PKS2_S4_PKS1_PKT1_21rocsparse_index_base_S4_S4_S6_PS7_SB_SA_S4_S4_S6_SB_SB_SA_SB_SB_
	.p2align	8
	.type	_ZN9rocsparseL14kernel_freerunILi1024ELi64EdiiEEvT3_S1_T2_PKS2_S4_PKS1_PKT1_21rocsparse_index_base_S4_S4_S6_PS7_SB_SA_S4_S4_S6_SB_SB_SA_SB_SB_,@function
_ZN9rocsparseL14kernel_freerunILi1024ELi64EdiiEEvT3_S1_T2_PKS2_S4_PKS1_PKT1_21rocsparse_index_base_S4_S4_S6_PS7_SB_SA_S4_S4_S6_SB_SB_SA_SB_SB_: ; @_ZN9rocsparseL14kernel_freerunILi1024ELi64EdiiEEvT3_S1_T2_PKS2_S4_PKS1_PKT1_21rocsparse_index_base_S4_S4_S6_PS7_SB_SA_S4_S4_S6_SB_SB_SA_SB_SB_
; %bb.0:
	s_load_dwordx2 s[34:35], s[4:5], 0x0
	v_lshrrev_b32_e32 v1, 6, v0
	s_lshl_b32 s69, s6, 10
	v_or_b32_e32 v20, s69, v1
	s_mov_b32 s33, 0
	s_waitcnt lgkmcnt(0)
	s_cmp_gt_i32 s34, 0
	v_cmp_gt_i32_e32 vcc, s35, v20
	s_cselect_b64 s[0:1], -1, 0
	s_and_b64 s[0:1], vcc, s[0:1]
	s_and_saveexec_b64 s[2:3], s[0:1]
	s_cbranch_execz .LBB20_60
; %bb.1:
	s_load_dwordx4 s[36:39], s[4:5], 0x98
	s_load_dwordx8 s[8:15], s[4:5], 0x68
	s_load_dwordx8 s[16:23], s[4:5], 0x38
	;; [unrolled: 1-line block ×3, first 2 shown]
	s_load_dword s66, s[4:5], 0x30
	s_load_dwordx2 s[40:41], s[4:5], 0x58
	s_load_dword s67, s[4:5], 0x60
	s_load_dwordx2 s[42:43], s[4:5], 0x88
	s_load_dword s68, s[4:5], 0x90
	v_and_b32_e32 v0, 63, v0
	s_addk_i32 s69, 0x400
	s_waitcnt lgkmcnt(0)
	v_subrev_u32_e32 v21, s66, v0
	v_cmp_gt_u32_e64 s[0:1], s69, v20
	v_subrev_u32_e32 v22, s67, v0
	v_subrev_u32_e32 v23, s68, v0
	v_cmp_eq_u32_e64 s[2:3], 0, v0
	s_movk_i32 s70, 0x1f8
	v_mov_b32_e32 v1, 0
	s_branch .LBB20_3
.LBB20_2:                               ;   in Loop: Header=BB20_3 Depth=1
	s_or_b64 exec, exec, s[4:5]
	s_add_i32 s33, s33, 1
	s_cmp_eq_u32 s33, s34
	s_cbranch_scc1 .LBB20_60
.LBB20_3:                               ; =>This Loop Header: Depth=1
                                        ;     Child Loop BB20_5 Depth 2
                                        ;       Child Loop BB20_9 Depth 3
                                        ;         Child Loop BB20_13 Depth 4
                                        ;         Child Loop BB20_31 Depth 4
	;; [unrolled: 1-line block ×3, first 2 shown]
                                        ;     Child Loop BB20_51 Depth 2
                                        ;       Child Loop BB20_54 Depth 3
                                        ;       Child Loop BB20_57 Depth 3
	s_mov_b32 s71, 0
	s_branch .LBB20_5
.LBB20_4:                               ;   in Loop: Header=BB20_5 Depth=2
	s_or_b64 exec, exec, s[44:45]
	s_add_i32 s71, s71, 1
	s_cmp_eq_u32 s71, 64
	s_cbranch_scc1 .LBB20_48
.LBB20_5:                               ;   Parent Loop BB20_3 Depth=1
                                        ; =>  This Loop Header: Depth=2
                                        ;       Child Loop BB20_9 Depth 3
                                        ;         Child Loop BB20_13 Depth 4
                                        ;         Child Loop BB20_31 Depth 4
	;; [unrolled: 1-line block ×3, first 2 shown]
	v_lshl_add_u32 v2, s71, 4, v20
	v_cmp_gt_i32_e32 vcc, s35, v2
	s_and_saveexec_b64 s[44:45], vcc
	s_cbranch_execz .LBB20_4
; %bb.6:                                ;   in Loop: Header=BB20_5 Depth=2
	v_ashrrev_i32_e32 v3, 31, v2
	v_lshlrev_b64 v[6:7], 2, v[2:3]
	v_mov_b32_e32 v0, s25
	v_add_co_u32_e32 v4, vcc, s24, v6
	v_addc_co_u32_e32 v5, vcc, v0, v7, vcc
	global_load_dword v0, v[4:5], off
	v_mov_b32_e32 v3, s27
	v_add_co_u32_e32 v4, vcc, s26, v6
	v_addc_co_u32_e32 v5, vcc, v3, v7, vcc
	global_load_dword v3, v[4:5], off
	s_waitcnt vmcnt(1)
	v_add_u32_e32 v4, v21, v0
	s_waitcnt vmcnt(0)
	v_subrev_u32_e32 v3, s66, v3
	v_cmp_lt_i32_e32 vcc, v4, v3
	s_and_b64 exec, exec, vcc
	s_cbranch_execz .LBB20_4
; %bb.7:                                ;   in Loop: Header=BB20_5 Depth=2
	v_mov_b32_e32 v0, s19
	v_add_co_u32_e32 v8, vcc, s18, v6
	v_addc_co_u32_e32 v9, vcc, v0, v7, vcc
	v_mov_b32_e32 v0, s17
	v_add_co_u32_e32 v6, vcc, s16, v6
	v_addc_co_u32_e32 v7, vcc, v0, v7, vcc
	global_load_dword v0, v[6:7], off
	global_load_dword v5, v[8:9], off
	v_mov_b32_e32 v12, s21
	v_mov_b32_e32 v13, s23
	s_mov_b64 s[46:47], 0
	s_waitcnt vmcnt(1)
	v_subrev_u32_e32 v6, s67, v0
	v_ashrrev_i32_e32 v7, 31, v6
	v_lshlrev_b64 v[8:9], 2, v[6:7]
	v_lshlrev_b64 v[10:11], 3, v[6:7]
	v_add_co_u32_e32 v7, vcc, s20, v8
	v_addc_co_u32_e32 v25, vcc, v12, v9, vcc
	s_waitcnt vmcnt(0)
	v_sub_u32_e32 v24, v5, v0
	v_add_co_u32_e32 v26, vcc, s22, v10
	v_cmp_lt_i32_e64 s[4:5], 0, v24
	v_addc_co_u32_e32 v27, vcc, v13, v11, vcc
	s_branch .LBB20_9
.LBB20_8:                               ;   in Loop: Header=BB20_9 Depth=3
	s_or_b64 exec, exec, s[48:49]
	v_add_u32_e32 v4, 64, v4
	v_cmp_ge_i32_e32 vcc, v4, v3
	s_or_b64 s[46:47], vcc, s[46:47]
	s_andn2_b64 exec, exec, s[46:47]
	s_cbranch_execz .LBB20_4
.LBB20_9:                               ;   Parent Loop BB20_3 Depth=1
                                        ;     Parent Loop BB20_5 Depth=2
                                        ; =>    This Loop Header: Depth=3
                                        ;         Child Loop BB20_13 Depth 4
                                        ;         Child Loop BB20_31 Depth 4
	;; [unrolled: 1-line block ×3, first 2 shown]
	v_ashrrev_i32_e32 v5, 31, v4
	v_lshlrev_b64 v[8:9], 2, v[4:5]
	v_mov_b32_e32 v0, s29
	v_add_co_u32_e32 v8, vcc, s28, v8
	v_addc_co_u32_e32 v9, vcc, v0, v9, vcc
	global_load_dword v0, v[8:9], off
	v_mov_b32_e32 v13, s9
	v_mov_b32_e32 v14, s11
	s_waitcnt vmcnt(0)
	v_subrev_u32_e32 v10, s66, v0
	v_ashrrev_i32_e32 v11, 31, v10
	v_lshlrev_b64 v[8:9], 2, v[10:11]
	v_add_co_u32_e32 v12, vcc, s8, v8
	v_addc_co_u32_e32 v13, vcc, v13, v9, vcc
	v_add_co_u32_e32 v8, vcc, s10, v8
	v_addc_co_u32_e32 v9, vcc, v14, v9, vcc
	global_load_dword v0, v[12:13], off
	s_nop 0
	global_load_dword v13, v[8:9], off
	v_pk_mov_b32 v[8:9], 0, 0
	v_mov_b32_e32 v14, 0
	s_waitcnt vmcnt(1)
	v_subrev_u32_e32 v12, s68, v0
	s_waitcnt vmcnt(0)
	v_sub_u32_e32 v28, v13, v0
	v_mov_b32_e32 v0, 0
	s_and_saveexec_b64 s[6:7], s[4:5]
	s_cbranch_execz .LBB20_17
; %bb.10:                               ;   in Loop: Header=BB20_9 Depth=3
	v_ashrrev_i32_e32 v13, 31, v12
	v_lshlrev_b64 v[8:9], 2, v[12:13]
	v_mov_b32_e32 v0, s13
	v_add_co_u32_e32 v16, vcc, s12, v8
	v_addc_co_u32_e32 v17, vcc, v0, v9, vcc
	v_lshlrev_b64 v[8:9], 3, v[12:13]
	v_mov_b32_e32 v0, s15
	v_add_co_u32_e32 v13, vcc, s14, v8
	v_addc_co_u32_e32 v18, vcc, v0, v9, vcc
	v_mov_b32_e32 v0, 0
	s_mov_b64 s[48:49], 0
	v_pk_mov_b32 v[8:9], 0, 0
	v_mov_b32_e32 v14, v0
                                        ; implicit-def: $sgpr50_sgpr51
	s_branch .LBB20_13
.LBB20_11:                              ;   in Loop: Header=BB20_13 Depth=4
	s_or_b64 exec, exec, s[54:55]
	v_cmp_le_i32_e32 vcc, v19, v29
	v_addc_co_u32_e32 v0, vcc, 0, v0, vcc
	v_cmp_ge_i32_e32 vcc, v19, v29
	v_addc_co_u32_e32 v14, vcc, 0, v14, vcc
	v_cmp_ge_i32_e32 vcc, v0, v24
	s_andn2_b64 s[50:51], s[50:51], exec
	s_and_b64 s[54:55], vcc, exec
	s_or_b64 s[50:51], s[50:51], s[54:55]
.LBB20_12:                              ;   in Loop: Header=BB20_13 Depth=4
	s_or_b64 exec, exec, s[52:53]
	s_and_b64 s[52:53], exec, s[50:51]
	s_or_b64 s[48:49], s[52:53], s[48:49]
	s_andn2_b64 exec, exec, s[48:49]
	s_cbranch_execz .LBB20_16
.LBB20_13:                              ;   Parent Loop BB20_3 Depth=1
                                        ;     Parent Loop BB20_5 Depth=2
                                        ;       Parent Loop BB20_9 Depth=3
                                        ; =>      This Inner Loop Header: Depth=4
	v_cmp_lt_i32_e32 vcc, v14, v28
	s_or_b64 s[50:51], s[50:51], exec
	s_and_saveexec_b64 s[52:53], vcc
	s_cbranch_execz .LBB20_12
; %bb.14:                               ;   in Loop: Header=BB20_13 Depth=4
	v_lshlrev_b64 v[30:31], 2, v[0:1]
	v_add_co_u32_e32 v30, vcc, v7, v30
	v_addc_co_u32_e32 v31, vcc, v25, v31, vcc
	v_mov_b32_e32 v15, v1
	global_load_dword v19, v[30:31], off
	v_lshlrev_b64 v[30:31], 2, v[14:15]
	v_add_co_u32_e32 v30, vcc, v16, v30
	v_addc_co_u32_e32 v31, vcc, v17, v31, vcc
	global_load_dword v29, v[30:31], off
	s_waitcnt vmcnt(1)
	v_subrev_u32_e32 v19, s67, v19
	s_waitcnt vmcnt(0)
	v_subrev_u32_e32 v29, s68, v29
	v_cmp_eq_u32_e32 vcc, v19, v29
	s_and_saveexec_b64 s[54:55], vcc
	s_cbranch_execz .LBB20_11
; %bb.15:                               ;   in Loop: Header=BB20_13 Depth=4
	v_lshlrev_b64 v[30:31], 3, v[0:1]
	v_add_co_u32_e32 v30, vcc, v26, v30
	v_addc_co_u32_e32 v31, vcc, v27, v31, vcc
	v_lshlrev_b64 v[32:33], 3, v[14:15]
	v_add_co_u32_e32 v32, vcc, v13, v32
	v_addc_co_u32_e32 v33, vcc, v18, v33, vcc
	global_load_dwordx2 v[30:31], v[30:31], off
	s_nop 0
	global_load_dwordx2 v[32:33], v[32:33], off
	s_waitcnt vmcnt(0)
	v_fmac_f64_e32 v[8:9], v[30:31], v[32:33]
	s_branch .LBB20_11
.LBB20_16:                              ;   in Loop: Header=BB20_9 Depth=3
	s_or_b64 exec, exec, s[48:49]
.LBB20_17:                              ;   in Loop: Header=BB20_9 Depth=3
	s_or_b64 exec, exec, s[6:7]
	v_lshlrev_b64 v[16:17], 3, v[4:5]
	v_mov_b32_e32 v5, s31
	v_add_co_u32_e32 v16, vcc, s30, v16
	v_addc_co_u32_e32 v17, vcc, v5, v17, vcc
	global_load_dwordx2 v[16:17], v[16:17], off
	v_cmp_le_i32_e64 s[6:7], v2, v10
	v_cmp_gt_i32_e32 vcc, v2, v10
	s_waitcnt vmcnt(0)
	v_add_f64 v[8:9], v[16:17], -v[8:9]
	s_and_saveexec_b64 s[48:49], vcc
	s_cbranch_execz .LBB20_21
; %bb.18:                               ;   in Loop: Header=BB20_9 Depth=3
	v_lshlrev_b64 v[16:17], 3, v[10:11]
	v_mov_b32_e32 v5, s37
	v_add_co_u32_e32 v16, vcc, s36, v16
	v_addc_co_u32_e32 v17, vcc, v5, v17, vcc
	global_load_dwordx2 v[16:17], v[16:17], off
	v_pk_mov_b32 v[18:19], 0, 0
	s_waitcnt vmcnt(0)
	v_cmp_lg_f64_e32 vcc, 0, v[16:17]
	s_and_saveexec_b64 s[50:51], vcc
; %bb.19:                               ;   in Loop: Header=BB20_9 Depth=3
	v_div_scale_f64 v[18:19], s[52:53], v[16:17], v[16:17], v[8:9]
	v_rcp_f64_e32 v[30:31], v[18:19]
	v_div_scale_f64 v[32:33], vcc, v[8:9], v[16:17], v[8:9]
	v_fma_f64 v[34:35], -v[18:19], v[30:31], 1.0
	v_fmac_f64_e32 v[30:31], v[30:31], v[34:35]
	v_fma_f64 v[34:35], -v[18:19], v[30:31], 1.0
	v_fmac_f64_e32 v[30:31], v[30:31], v[34:35]
	v_mul_f64 v[34:35], v[32:33], v[30:31]
	v_fma_f64 v[18:19], -v[18:19], v[34:35], v[32:33]
	v_div_fmas_f64 v[18:19], v[18:19], v[30:31], v[34:35]
	v_div_fixup_f64 v[18:19], v[18:19], v[16:17], v[8:9]
; %bb.20:                               ;   in Loop: Header=BB20_9 Depth=3
	s_or_b64 exec, exec, s[50:51]
	v_pk_mov_b32 v[8:9], v[18:19], v[18:19] op_sel:[0,1]
.LBB20_21:                              ;   in Loop: Header=BB20_9 Depth=3
	s_or_b64 exec, exec, s[48:49]
	v_cmp_class_f64_e64 s[50:51], v[8:9], s70
	s_and_saveexec_b64 s[48:49], s[50:51]
	s_cbranch_execz .LBB20_8
; %bb.22:                               ;   in Loop: Header=BB20_9 Depth=3
	s_mov_b64 s[50:51], 0
                                        ; implicit-def: $vgpr16_vgpr17
	s_and_saveexec_b64 s[52:53], s[6:7]
	s_xor_b64 s[6:7], exec, s[52:53]
	s_cbranch_execnz .LBB20_25
; %bb.23:                               ;   in Loop: Header=BB20_9 Depth=3
	s_andn2_saveexec_b64 s[6:7], s[6:7]
	s_cbranch_execnz .LBB20_38
.LBB20_24:                              ;   in Loop: Header=BB20_9 Depth=3
	s_or_b64 exec, exec, s[6:7]
	s_and_b64 exec, exec, s[50:51]
	s_cbranch_execz .LBB20_8
	s_branch .LBB20_47
.LBB20_25:                              ;   in Loop: Header=BB20_9 Depth=3
	v_cmp_ge_i32_e32 vcc, v2, v10
                                        ; implicit-def: $vgpr16_vgpr17
	s_and_saveexec_b64 s[52:53], vcc
	s_xor_b64 s[52:53], exec, s[52:53]
; %bb.26:                               ;   in Loop: Header=BB20_9 Depth=3
	v_lshlrev_b64 v[10:11], 3, v[10:11]
	v_mov_b32_e32 v0, s39
	v_add_co_u32_e32 v16, vcc, s38, v10
	s_mov_b64 s[50:51], exec
	v_addc_co_u32_e32 v17, vcc, v0, v11, vcc
                                        ; implicit-def: $vgpr14
                                        ; implicit-def: $vgpr28
                                        ; implicit-def: $vgpr12
; %bb.27:                               ;   in Loop: Header=BB20_9 Depth=3
	s_andn2_saveexec_b64 s[52:53], s[52:53]
	s_cbranch_execz .LBB20_37
; %bb.28:                               ;   in Loop: Header=BB20_9 Depth=3
	v_cmp_lt_i32_e32 vcc, v14, v28
	s_mov_b64 s[56:57], s[50:51]
                                        ; implicit-def: $vgpr16_vgpr17
	s_and_saveexec_b64 s[54:55], vcc
	s_cbranch_execz .LBB20_36
; %bb.29:                               ;   in Loop: Header=BB20_9 Depth=3
	s_mov_b64 s[58:59], 0
                                        ; implicit-def: $sgpr56_sgpr57
                                        ; implicit-def: $sgpr62_sgpr63
                                        ; implicit-def: $sgpr60_sgpr61
	s_branch .LBB20_31
.LBB20_30:                              ;   in Loop: Header=BB20_31 Depth=4
	s_or_b64 exec, exec, s[64:65]
	s_and_b64 s[64:65], exec, s[62:63]
	s_or_b64 s[58:59], s[64:65], s[58:59]
	s_andn2_b64 s[56:57], s[56:57], exec
	s_and_b64 s[64:65], s[60:61], exec
	s_or_b64 s[56:57], s[56:57], s[64:65]
	s_andn2_b64 exec, exec, s[58:59]
	s_cbranch_execz .LBB20_33
.LBB20_31:                              ;   Parent Loop BB20_3 Depth=1
                                        ;     Parent Loop BB20_5 Depth=2
                                        ;       Parent Loop BB20_9 Depth=3
                                        ; =>      This Inner Loop Header: Depth=4
	v_add_u32_e32 v10, v12, v14
	v_ashrrev_i32_e32 v11, 31, v10
	v_lshlrev_b64 v[16:17], 2, v[10:11]
	v_mov_b32_e32 v0, s13
	v_add_co_u32_e32 v16, vcc, s12, v16
	v_addc_co_u32_e32 v17, vcc, v0, v17, vcc
	global_load_dword v0, v[16:17], off
	s_or_b64 s[60:61], s[60:61], exec
	s_or_b64 s[62:63], s[62:63], exec
	s_waitcnt vmcnt(0)
	v_subrev_u32_e32 v0, s68, v0
	v_cmp_ne_u32_e32 vcc, v0, v2
	s_and_saveexec_b64 s[64:65], vcc
	s_cbranch_execz .LBB20_30
; %bb.32:                               ;   in Loop: Header=BB20_31 Depth=4
	v_add_u32_e32 v14, 1, v14
	v_cmp_ge_i32_e32 vcc, v14, v28
	s_andn2_b64 s[62:63], s[62:63], exec
	s_and_b64 s[72:73], vcc, exec
	s_andn2_b64 s[60:61], s[60:61], exec
	s_or_b64 s[62:63], s[62:63], s[72:73]
	s_branch .LBB20_30
.LBB20_33:                              ;   in Loop: Header=BB20_9 Depth=3
	s_or_b64 exec, exec, s[58:59]
	s_mov_b64 s[58:59], s[50:51]
                                        ; implicit-def: $vgpr16_vgpr17
	s_and_saveexec_b64 s[60:61], s[56:57]
	s_xor_b64 s[56:57], exec, s[60:61]
; %bb.34:                               ;   in Loop: Header=BB20_9 Depth=3
	v_lshlrev_b64 v[10:11], 3, v[10:11]
	v_mov_b32_e32 v0, s43
	v_add_co_u32_e32 v16, vcc, s42, v10
	v_addc_co_u32_e32 v17, vcc, v0, v11, vcc
	s_or_b64 s[58:59], s[50:51], exec
; %bb.35:                               ;   in Loop: Header=BB20_9 Depth=3
	s_or_b64 exec, exec, s[56:57]
	s_andn2_b64 s[56:57], s[50:51], exec
	s_and_b64 s[58:59], s[58:59], exec
	s_or_b64 s[56:57], s[56:57], s[58:59]
.LBB20_36:                              ;   in Loop: Header=BB20_9 Depth=3
	s_or_b64 exec, exec, s[54:55]
	s_andn2_b64 s[50:51], s[50:51], exec
	s_and_b64 s[54:55], s[56:57], exec
	s_or_b64 s[50:51], s[50:51], s[54:55]
.LBB20_37:                              ;   in Loop: Header=BB20_9 Depth=3
	s_or_b64 exec, exec, s[52:53]
	s_and_b64 s[50:51], s[50:51], exec
                                        ; implicit-def: $vgpr10_vgpr11
	s_andn2_saveexec_b64 s[6:7], s[6:7]
	s_cbranch_execz .LBB20_24
.LBB20_38:                              ;   in Loop: Header=BB20_9 Depth=3
	v_cmp_lt_i32_e32 vcc, v0, v24
	s_mov_b64 s[54:55], s[50:51]
                                        ; implicit-def: $vgpr16_vgpr17
	s_and_saveexec_b64 s[52:53], vcc
	s_cbranch_execz .LBB20_46
; %bb.39:                               ;   in Loop: Header=BB20_9 Depth=3
	s_mov_b64 s[56:57], 0
                                        ; implicit-def: $sgpr54_sgpr55
                                        ; implicit-def: $sgpr60_sgpr61
                                        ; implicit-def: $sgpr58_sgpr59
	s_branch .LBB20_41
.LBB20_40:                              ;   in Loop: Header=BB20_41 Depth=4
	s_or_b64 exec, exec, s[62:63]
	s_and_b64 s[62:63], exec, s[60:61]
	s_or_b64 s[56:57], s[62:63], s[56:57]
	s_andn2_b64 s[54:55], s[54:55], exec
	s_and_b64 s[62:63], s[58:59], exec
	s_or_b64 s[54:55], s[54:55], s[62:63]
	s_andn2_b64 exec, exec, s[56:57]
	s_cbranch_execz .LBB20_43
.LBB20_41:                              ;   Parent Loop BB20_3 Depth=1
                                        ;     Parent Loop BB20_5 Depth=2
                                        ;       Parent Loop BB20_9 Depth=3
                                        ; =>      This Inner Loop Header: Depth=4
	v_add_u32_e32 v12, v6, v0
	v_ashrrev_i32_e32 v13, 31, v12
	v_lshlrev_b64 v[14:15], 2, v[12:13]
	v_mov_b32_e32 v5, s21
	v_add_co_u32_e32 v14, vcc, s20, v14
	v_addc_co_u32_e32 v15, vcc, v5, v15, vcc
	global_load_dword v5, v[14:15], off
	s_or_b64 s[58:59], s[58:59], exec
	s_or_b64 s[60:61], s[60:61], exec
	s_waitcnt vmcnt(0)
	v_subrev_u32_e32 v5, s67, v5
	v_cmp_ne_u32_e32 vcc, v5, v10
	s_and_saveexec_b64 s[62:63], vcc
	s_cbranch_execz .LBB20_40
; %bb.42:                               ;   in Loop: Header=BB20_41 Depth=4
	v_add_u32_e32 v0, 1, v0
	v_cmp_ge_i32_e32 vcc, v0, v24
	s_andn2_b64 s[60:61], s[60:61], exec
	s_and_b64 s[64:65], vcc, exec
	s_andn2_b64 s[58:59], s[58:59], exec
	s_or_b64 s[60:61], s[60:61], s[64:65]
	s_branch .LBB20_40
.LBB20_43:                              ;   in Loop: Header=BB20_9 Depth=3
	s_or_b64 exec, exec, s[56:57]
	s_mov_b64 s[56:57], s[50:51]
                                        ; implicit-def: $vgpr16_vgpr17
	s_and_saveexec_b64 s[58:59], s[54:55]
	s_xor_b64 s[54:55], exec, s[58:59]
; %bb.44:                               ;   in Loop: Header=BB20_9 Depth=3
	v_lshlrev_b64 v[10:11], 3, v[12:13]
	v_mov_b32_e32 v0, s41
	v_add_co_u32_e32 v16, vcc, s40, v10
	v_addc_co_u32_e32 v17, vcc, v0, v11, vcc
	s_or_b64 s[56:57], s[50:51], exec
; %bb.45:                               ;   in Loop: Header=BB20_9 Depth=3
	s_or_b64 exec, exec, s[54:55]
	s_andn2_b64 s[54:55], s[50:51], exec
	s_and_b64 s[56:57], s[56:57], exec
	s_or_b64 s[54:55], s[54:55], s[56:57]
.LBB20_46:                              ;   in Loop: Header=BB20_9 Depth=3
	s_or_b64 exec, exec, s[52:53]
	s_andn2_b64 s[50:51], s[50:51], exec
	s_and_b64 s[52:53], s[54:55], exec
	s_or_b64 s[50:51], s[50:51], s[52:53]
	s_or_b64 exec, exec, s[6:7]
	s_and_b64 exec, exec, s[50:51]
	s_cbranch_execz .LBB20_8
.LBB20_47:                              ;   in Loop: Header=BB20_9 Depth=3
	global_store_dwordx2 v[16:17], v[8:9], off
	s_branch .LBB20_8
.LBB20_48:                              ;   in Loop: Header=BB20_3 Depth=1
	s_and_saveexec_b64 s[4:5], s[0:1]
	s_cbranch_execz .LBB20_2
; %bb.49:                               ;   in Loop: Header=BB20_3 Depth=1
	s_mov_b64 s[6:7], 0
	v_mov_b32_e32 v2, v20
	s_branch .LBB20_51
.LBB20_50:                              ;   in Loop: Header=BB20_51 Depth=2
	s_or_b64 exec, exec, s[44:45]
	v_add_u32_e32 v2, 16, v2
	v_cmp_le_u32_e32 vcc, s69, v2
	s_or_b64 s[6:7], vcc, s[6:7]
	s_andn2_b64 exec, exec, s[6:7]
	s_cbranch_execz .LBB20_2
.LBB20_51:                              ;   Parent Loop BB20_3 Depth=1
                                        ; =>  This Loop Header: Depth=2
                                        ;       Child Loop BB20_54 Depth 3
                                        ;       Child Loop BB20_57 Depth 3
	v_cmp_gt_i32_e32 vcc, s35, v2
	s_and_saveexec_b64 s[44:45], vcc
	s_cbranch_execz .LBB20_50
; %bb.52:                               ;   in Loop: Header=BB20_51 Depth=2
	v_ashrrev_i32_e32 v3, 31, v2
	v_lshlrev_b64 v[4:5], 2, v[2:3]
	v_mov_b32_e32 v0, s17
	v_add_co_u32_e32 v6, vcc, s16, v4
	v_addc_co_u32_e32 v7, vcc, v0, v5, vcc
	global_load_dword v0, v[6:7], off
	v_mov_b32_e32 v7, s19
	v_add_co_u32_e32 v6, vcc, s18, v4
	v_addc_co_u32_e32 v7, vcc, v7, v5, vcc
	global_load_dword v7, v[6:7], off
	s_waitcnt vmcnt(1)
	v_add_u32_e32 v6, v22, v0
	s_waitcnt vmcnt(0)
	v_subrev_u32_e32 v0, s67, v7
	v_cmp_lt_i32_e32 vcc, v6, v0
	s_and_saveexec_b64 s[46:47], vcc
	s_cbranch_execz .LBB20_55
; %bb.53:                               ;   in Loop: Header=BB20_51 Depth=2
	v_ashrrev_i32_e32 v7, 31, v6
	v_lshlrev_b64 v[10:11], 3, v[6:7]
	v_mov_b32_e32 v7, s41
	v_add_co_u32_e32 v8, vcc, s40, v10
	v_addc_co_u32_e32 v9, vcc, v7, v11, vcc
	v_mov_b32_e32 v7, s23
	v_add_co_u32_e32 v10, vcc, s22, v10
	v_addc_co_u32_e32 v11, vcc, v7, v11, vcc
	s_mov_b64 s[48:49], 0
.LBB20_54:                              ;   Parent Loop BB20_3 Depth=1
                                        ;     Parent Loop BB20_51 Depth=2
                                        ; =>    This Inner Loop Header: Depth=3
	global_load_dwordx2 v[12:13], v[8:9], off
	v_add_co_u32_e32 v8, vcc, 0x200, v8
	v_add_u32_e32 v6, 64, v6
	v_addc_co_u32_e32 v9, vcc, 0, v9, vcc
	v_cmp_ge_i32_e32 vcc, v6, v0
	s_or_b64 s[48:49], vcc, s[48:49]
	s_waitcnt vmcnt(0)
	global_store_dwordx2 v[10:11], v[12:13], off
	v_add_co_u32_e32 v10, vcc, 0x200, v10
	v_addc_co_u32_e32 v11, vcc, 0, v11, vcc
	s_andn2_b64 exec, exec, s[48:49]
	s_cbranch_execnz .LBB20_54
.LBB20_55:                              ;   in Loop: Header=BB20_51 Depth=2
	s_or_b64 exec, exec, s[46:47]
	v_mov_b32_e32 v0, s9
	v_add_co_u32_e32 v6, vcc, s8, v4
	v_addc_co_u32_e32 v7, vcc, v0, v5, vcc
	global_load_dword v0, v[6:7], off
	v_mov_b32_e32 v6, s11
	v_add_co_u32_e32 v4, vcc, s10, v4
	v_addc_co_u32_e32 v5, vcc, v6, v5, vcc
	global_load_dword v5, v[4:5], off
	s_waitcnt vmcnt(1)
	v_add_u32_e32 v4, v23, v0
	s_waitcnt vmcnt(0)
	v_subrev_u32_e32 v0, s68, v5
	v_cmp_lt_i32_e32 vcc, v4, v0
	s_and_saveexec_b64 s[46:47], vcc
	s_cbranch_execz .LBB20_58
; %bb.56:                               ;   in Loop: Header=BB20_51 Depth=2
	v_ashrrev_i32_e32 v5, 31, v4
	v_lshlrev_b64 v[8:9], 3, v[4:5]
	v_mov_b32_e32 v5, s43
	v_add_co_u32_e32 v6, vcc, s42, v8
	v_addc_co_u32_e32 v7, vcc, v5, v9, vcc
	v_mov_b32_e32 v5, s15
	v_add_co_u32_e32 v8, vcc, s14, v8
	v_addc_co_u32_e32 v9, vcc, v5, v9, vcc
	s_mov_b64 s[48:49], 0
.LBB20_57:                              ;   Parent Loop BB20_3 Depth=1
                                        ;     Parent Loop BB20_51 Depth=2
                                        ; =>    This Inner Loop Header: Depth=3
	global_load_dwordx2 v[10:11], v[6:7], off
	v_add_co_u32_e32 v6, vcc, 0x200, v6
	v_add_u32_e32 v4, 64, v4
	v_addc_co_u32_e32 v7, vcc, 0, v7, vcc
	v_cmp_ge_i32_e32 vcc, v4, v0
	s_or_b64 s[48:49], vcc, s[48:49]
	s_waitcnt vmcnt(0)
	global_store_dwordx2 v[8:9], v[10:11], off
	v_add_co_u32_e32 v8, vcc, 0x200, v8
	v_addc_co_u32_e32 v9, vcc, 0, v9, vcc
	s_andn2_b64 exec, exec, s[48:49]
	s_cbranch_execnz .LBB20_57
.LBB20_58:                              ;   in Loop: Header=BB20_51 Depth=2
	s_or_b64 exec, exec, s[46:47]
	s_and_b64 exec, exec, s[2:3]
	s_cbranch_execz .LBB20_50
; %bb.59:                               ;   in Loop: Header=BB20_51 Depth=2
	v_lshlrev_b64 v[4:5], 3, v[2:3]
	v_mov_b32_e32 v0, s39
	v_add_co_u32_e32 v6, vcc, s38, v4
	v_addc_co_u32_e32 v7, vcc, v0, v5, vcc
	global_load_dwordx2 v[6:7], v[6:7], off
	v_mov_b32_e32 v0, s37
	v_add_co_u32_e32 v4, vcc, s36, v4
	v_addc_co_u32_e32 v5, vcc, v0, v5, vcc
	s_waitcnt vmcnt(0)
	global_store_dwordx2 v[4:5], v[6:7], off
	s_branch .LBB20_50
.LBB20_60:
	s_endpgm
	.section	.rodata,"a",@progbits
	.p2align	6, 0x0
	.amdhsa_kernel _ZN9rocsparseL14kernel_freerunILi1024ELi64EdiiEEvT3_S1_T2_PKS2_S4_PKS1_PKT1_21rocsparse_index_base_S4_S4_S6_PS7_SB_SA_S4_S4_S6_SB_SB_SA_SB_SB_
		.amdhsa_group_segment_fixed_size 0
		.amdhsa_private_segment_fixed_size 0
		.amdhsa_kernarg_size 168
		.amdhsa_user_sgpr_count 6
		.amdhsa_user_sgpr_private_segment_buffer 1
		.amdhsa_user_sgpr_dispatch_ptr 0
		.amdhsa_user_sgpr_queue_ptr 0
		.amdhsa_user_sgpr_kernarg_segment_ptr 1
		.amdhsa_user_sgpr_dispatch_id 0
		.amdhsa_user_sgpr_flat_scratch_init 0
		.amdhsa_user_sgpr_kernarg_preload_length 0
		.amdhsa_user_sgpr_kernarg_preload_offset 0
		.amdhsa_user_sgpr_private_segment_size 0
		.amdhsa_uses_dynamic_stack 0
		.amdhsa_system_sgpr_private_segment_wavefront_offset 0
		.amdhsa_system_sgpr_workgroup_id_x 1
		.amdhsa_system_sgpr_workgroup_id_y 0
		.amdhsa_system_sgpr_workgroup_id_z 0
		.amdhsa_system_sgpr_workgroup_info 0
		.amdhsa_system_vgpr_workitem_id 0
		.amdhsa_next_free_vgpr 36
		.amdhsa_next_free_sgpr 74
		.amdhsa_accum_offset 36
		.amdhsa_reserve_vcc 1
		.amdhsa_reserve_flat_scratch 0
		.amdhsa_float_round_mode_32 0
		.amdhsa_float_round_mode_16_64 0
		.amdhsa_float_denorm_mode_32 3
		.amdhsa_float_denorm_mode_16_64 3
		.amdhsa_dx10_clamp 1
		.amdhsa_ieee_mode 1
		.amdhsa_fp16_overflow 0
		.amdhsa_tg_split 0
		.amdhsa_exception_fp_ieee_invalid_op 0
		.amdhsa_exception_fp_denorm_src 0
		.amdhsa_exception_fp_ieee_div_zero 0
		.amdhsa_exception_fp_ieee_overflow 0
		.amdhsa_exception_fp_ieee_underflow 0
		.amdhsa_exception_fp_ieee_inexact 0
		.amdhsa_exception_int_div_zero 0
	.end_amdhsa_kernel
	.section	.text._ZN9rocsparseL14kernel_freerunILi1024ELi64EdiiEEvT3_S1_T2_PKS2_S4_PKS1_PKT1_21rocsparse_index_base_S4_S4_S6_PS7_SB_SA_S4_S4_S6_SB_SB_SA_SB_SB_,"axG",@progbits,_ZN9rocsparseL14kernel_freerunILi1024ELi64EdiiEEvT3_S1_T2_PKS2_S4_PKS1_PKT1_21rocsparse_index_base_S4_S4_S6_PS7_SB_SA_S4_S4_S6_SB_SB_SA_SB_SB_,comdat
.Lfunc_end20:
	.size	_ZN9rocsparseL14kernel_freerunILi1024ELi64EdiiEEvT3_S1_T2_PKS2_S4_PKS1_PKT1_21rocsparse_index_base_S4_S4_S6_PS7_SB_SA_S4_S4_S6_SB_SB_SA_SB_SB_, .Lfunc_end20-_ZN9rocsparseL14kernel_freerunILi1024ELi64EdiiEEvT3_S1_T2_PKS2_S4_PKS1_PKT1_21rocsparse_index_base_S4_S4_S6_PS7_SB_SA_S4_S4_S6_SB_SB_SA_SB_SB_
                                        ; -- End function
	.section	.AMDGPU.csdata,"",@progbits
; Kernel info:
; codeLenInByte = 2152
; NumSgprs: 78
; NumVgprs: 36
; NumAgprs: 0
; TotalNumVgprs: 36
; ScratchSize: 0
; MemoryBound: 1
; FloatMode: 240
; IeeeMode: 1
; LDSByteSize: 0 bytes/workgroup (compile time only)
; SGPRBlocks: 9
; VGPRBlocks: 4
; NumSGPRsForWavesPerEU: 78
; NumVGPRsForWavesPerEU: 36
; AccumOffset: 36
; Occupancy: 8
; WaveLimiterHint : 1
; COMPUTE_PGM_RSRC2:SCRATCH_EN: 0
; COMPUTE_PGM_RSRC2:USER_SGPR: 6
; COMPUTE_PGM_RSRC2:TRAP_HANDLER: 0
; COMPUTE_PGM_RSRC2:TGID_X_EN: 1
; COMPUTE_PGM_RSRC2:TGID_Y_EN: 0
; COMPUTE_PGM_RSRC2:TGID_Z_EN: 0
; COMPUTE_PGM_RSRC2:TIDIG_COMP_CNT: 0
; COMPUTE_PGM_RSRC3_GFX90A:ACCUM_OFFSET: 8
; COMPUTE_PGM_RSRC3_GFX90A:TG_SPLIT: 0
	.section	.text._ZN9rocsparseL6kernelILi1024ELi1EdiiEEvbbbT3_PS1_NS_15floating_traitsIT1_E6data_tES1_T2_PKS7_S9_PKS1_PKS4_21rocsparse_index_base_S9_S9_SB_PS4_SF_SE_S9_S9_SB_SF_SF_SE_SF_SF_PS6_SG_PKS6_,"axG",@progbits,_ZN9rocsparseL6kernelILi1024ELi1EdiiEEvbbbT3_PS1_NS_15floating_traitsIT1_E6data_tES1_T2_PKS7_S9_PKS1_PKS4_21rocsparse_index_base_S9_S9_SB_PS4_SF_SE_S9_S9_SB_SF_SF_SE_SF_SF_PS6_SG_PKS6_,comdat
	.globl	_ZN9rocsparseL6kernelILi1024ELi1EdiiEEvbbbT3_PS1_NS_15floating_traitsIT1_E6data_tES1_T2_PKS7_S9_PKS1_PKS4_21rocsparse_index_base_S9_S9_SB_PS4_SF_SE_S9_S9_SB_SF_SF_SE_SF_SF_PS6_SG_PKS6_ ; -- Begin function _ZN9rocsparseL6kernelILi1024ELi1EdiiEEvbbbT3_PS1_NS_15floating_traitsIT1_E6data_tES1_T2_PKS7_S9_PKS1_PKS4_21rocsparse_index_base_S9_S9_SB_PS4_SF_SE_S9_S9_SB_SF_SF_SE_SF_SF_PS6_SG_PKS6_
	.p2align	8
	.type	_ZN9rocsparseL6kernelILi1024ELi1EdiiEEvbbbT3_PS1_NS_15floating_traitsIT1_E6data_tES1_T2_PKS7_S9_PKS1_PKS4_21rocsparse_index_base_S9_S9_SB_PS4_SF_SE_S9_S9_SB_SF_SF_SE_SF_SF_PS6_SG_PKS6_,@function
_ZN9rocsparseL6kernelILi1024ELi1EdiiEEvbbbT3_PS1_NS_15floating_traitsIT1_E6data_tES1_T2_PKS7_S9_PKS1_PKS4_21rocsparse_index_base_S9_S9_SB_PS4_SF_SE_S9_S9_SB_SF_SF_SE_SF_SF_PS6_SG_PKS6_: ; @_ZN9rocsparseL6kernelILi1024ELi1EdiiEEvbbbT3_PS1_NS_15floating_traitsIT1_E6data_tES1_T2_PKS7_S9_PKS1_PKS4_21rocsparse_index_base_S9_S9_SB_PS4_SF_SE_S9_S9_SB_SF_SF_SE_SF_SF_PS6_SG_PKS6_
; %bb.0:
	s_load_dword s0, s[4:5], 0x0
	s_load_dwordx2 s[68:69], s[4:5], 0x0
	s_load_dwordx4 s[20:23], s[4:5], 0xb8
	s_load_dwordx4 s[8:11], s[4:5], 0x8
	s_load_dword s33, s[4:5], 0x18
	s_waitcnt lgkmcnt(0)
	s_bitcmp1_b32 s0, 0
	s_cselect_b64 s[66:67], -1, 0
	s_bitcmp1_b32 s0, 8
                                        ; implicit-def: $vgpr42 : SGPR spill to VGPR lane
	s_cselect_b64 s[64:65], -1, 0
	s_bitcmp1_b32 s68, 16
	v_writelane_b32 v42, s8, 0
	s_cselect_b64 s[34:35], -1, 0
	s_lshl_b32 s73, s6, 10
	v_writelane_b32 v42, s9, 1
	v_or_b32_e32 v6, s73, v0
	v_mov_b32_e32 v8, 0
	s_cmp_gt_i32 s69, 0
	v_pk_mov_b32 v[2:3], 0, 0
	v_writelane_b32 v42, s10, 2
	v_lshlrev_b32_e32 v1, 3, v0
	s_mov_b32 s54, 0
	v_mov_b32_e32 v9, v8
	v_cmp_gt_i32_e32 vcc, s33, v6
	s_cselect_b64 s[0:1], -1, 0
	v_pk_mov_b32 v[4:5], v[2:3], v[2:3] op_sel:[0,1]
	v_writelane_b32 v42, s11, 3
	ds_write_b64 v1, v[8:9]
	s_waitcnt lgkmcnt(0)
	s_barrier
	s_and_b64 s[0:1], s[0:1], vcc
	s_mov_b64 s[2:3], exec
	v_writelane_b32 v42, s2, 4
	s_and_b64 s[0:1], s[2:3], s[0:1]
	v_writelane_b32 v42, s3, 5
	s_mov_b64 exec, s[0:1]
	s_cbranch_execz .LBB21_147
; %bb.1:
	s_load_dwordx8 s[36:43], s[4:5], 0x48
	s_load_dwordx8 s[24:31], s[4:5], 0x20
	v_ashrrev_i32_e32 v7, 31, v6
	v_lshlrev_b64 v[2:3], 2, v[6:7]
	s_load_dwordx2 s[0:1], s[4:5], 0xc8
	s_waitcnt lgkmcnt(0)
	v_mov_b32_e32 v5, s39
	v_add_co_u32_e32 v4, vcc, s38, v2
	v_addc_co_u32_e32 v5, vcc, v5, v3, vcc
	global_load_dword v7, v[4:5], off
	v_mov_b32_e32 v5, s37
	v_add_co_u32_e32 v4, vcc, s36, v2
	v_addc_co_u32_e32 v5, vcc, v5, v3, vcc
	global_load_dword v8, v[4:5], off
	;; [unrolled: 4-line block ×4, first 2 shown]
	v_writelane_b32 v42, s20, 6
	v_writelane_b32 v42, s21, 7
	;; [unrolled: 1-line block ×6, first 2 shown]
	s_load_dwordx4 s[60:63], s[4:5], 0xa8
	s_load_dwordx8 s[44:51], s[4:5], 0x78
	s_xor_b64 s[0:1], s[64:65], -1
	s_load_dword s55, s[4:5], 0x40
	s_load_dwordx2 s[76:77], s[4:5], 0x68
	s_load_dword s68, s[4:5], 0x70
	s_load_dwordx2 s[78:79], s[4:5], 0x98
	s_load_dword s72, s[4:5], 0xa0
	v_writelane_b32 v42, s0, 12
	s_and_b64 s[22:23], s[64:65], s[34:35]
	v_writelane_b32 v42, s1, 13
	s_xor_b64 s[22:23], s[22:23], -1
	v_writelane_b32 v42, s22, 14
	v_writelane_b32 v42, s23, 15
	v_mov_b32_e32 v14, s41
	s_addk_i32 s73, 0x400
	s_movk_i32 s16, 0x200
	s_movk_i32 s18, 0x100
	;; [unrolled: 1-line block ×3, first 2 shown]
	v_pk_mov_b32 v[4:5], 0, 0
	v_mov_b32_e32 v15, s43
	v_cmp_gt_u32_e64 s[0:1], 64, v0
	v_cmp_gt_u32_e64 s[2:3], 32, v0
	;; [unrolled: 1-line block ×6, first 2 shown]
	v_cmp_eq_u32_e64 s[12:13], 0, v0
	s_mov_b64 s[80:81], 0
	s_movk_i32 s82, 0x1f8
	v_mov_b32_e32 v9, 0
	v_cmp_gt_u32_e64 s[14:15], s73, v6
	v_cmp_gt_u32_e64 s[16:17], s16, v0
	;; [unrolled: 1-line block ×4, first 2 shown]
	s_waitcnt vmcnt(2) lgkmcnt(0)
	v_subrev_u32_e32 v10, s68, v8
	v_sub_u32_e32 v7, v7, v8
	v_cmp_lt_i32_e64 s[24:25], 0, v7
	s_waitcnt vmcnt(1)
	v_subrev_u32_e32 v30, s55, v11
	s_waitcnt vmcnt(0)
	v_cmp_lt_i32_e64 s[22:23], v11, v2
	v_ashrrev_i32_e32 v11, 31, v10
	v_subrev_u32_e32 v31, s55, v2
	v_lshlrev_b64 v[2:3], 2, v[10:11]
	v_lshlrev_b64 v[12:13], 3, v[10:11]
	v_add_co_u32_e32 v11, vcc, s40, v2
	v_addc_co_u32_e32 v32, vcc, v14, v3, vcc
	v_add_co_u32_e32 v33, vcc, s42, v12
	v_addc_co_u32_e32 v34, vcc, v15, v13, vcc
	v_pk_mov_b32 v[2:3], v[4:5], v[4:5] op_sel:[0,1]
	s_branch .LBB21_3
.LBB21_2:                               ;   in Loop: Header=BB21_3 Depth=1
	s_or_b64 exec, exec, s[52:53]
	s_and_b64 s[26:27], exec, s[84:85]
	s_or_b64 s[80:81], s[26:27], s[80:81]
	s_andn2_b64 exec, exec, s[80:81]
	s_cbranch_execz .LBB21_146
.LBB21_3:                               ; =>This Loop Header: Depth=1
                                        ;     Child Loop BB21_10 Depth 2
                                        ;       Child Loop BB21_14 Depth 3
                                        ;       Child Loop BB21_35 Depth 3
	;; [unrolled: 1-line block ×5, first 2 shown]
                                        ;     Child Loop BB21_127 Depth 2
                                        ;       Child Loop BB21_130 Depth 3
                                        ;       Child Loop BB21_133 Depth 3
	v_cndmask_b32_e64 v5, v5, 0, s[64:65]
	v_cndmask_b32_e64 v4, v4, 0, s[64:65]
	;; [unrolled: 1-line block ×4, first 2 shown]
	s_and_saveexec_b64 s[84:85], s[22:23]
	s_cbranch_execnz .LBB21_7
; %bb.4:                                ;   in Loop: Header=BB21_3 Depth=1
	s_or_b64 exec, exec, s[84:85]
	s_andn2_b64 vcc, exec, s[64:65]
	s_cbranch_vccz .LBB21_82
.LBB21_5:                               ;   in Loop: Header=BB21_3 Depth=1
	s_andn2_b64 vcc, exec, s[34:35]
	s_cbranch_vccz .LBB21_103
.LBB21_6:                               ;   in Loop: Header=BB21_3 Depth=1
	s_and_saveexec_b64 s[26:27], s[14:15]
	s_cbranch_execnz .LBB21_124
	s_branch .LBB21_134
.LBB21_7:                               ;   in Loop: Header=BB21_3 Depth=1
	s_mov_b64 s[86:87], 0
	v_mov_b32_e32 v12, v30
	s_branch .LBB21_10
.LBB21_8:                               ;   in Loop: Header=BB21_10 Depth=2
	s_or_b64 exec, exec, s[52:53]
.LBB21_9:                               ;   in Loop: Header=BB21_10 Depth=2
	s_or_b64 exec, exec, s[26:27]
	v_add_u32_e32 v12, 1, v12
	v_cmp_ge_i32_e32 vcc, v12, v31
	s_or_b64 s[86:87], vcc, s[86:87]
	s_andn2_b64 exec, exec, s[86:87]
	s_cbranch_execz .LBB21_81
.LBB21_10:                              ;   Parent Loop BB21_3 Depth=1
                                        ; =>  This Loop Header: Depth=2
                                        ;       Child Loop BB21_14 Depth 3
                                        ;       Child Loop BB21_35 Depth 3
	;; [unrolled: 1-line block ×5, first 2 shown]
	v_ashrrev_i32_e32 v13, 31, v12
	v_lshlrev_b64 v[14:15], 2, v[12:13]
	v_mov_b32_e32 v8, s29
	v_add_co_u32_e32 v14, vcc, s28, v14
	v_addc_co_u32_e32 v15, vcc, v8, v15, vcc
	global_load_dword v8, v[14:15], off
	v_mov_b32_e32 v19, s45
	v_mov_b32_e32 v20, s47
	;; [unrolled: 1-line block ×3, first 2 shown]
	s_waitcnt vmcnt(0)
	v_subrev_u32_e32 v14, s55, v8
	v_ashrrev_i32_e32 v15, 31, v14
	v_lshlrev_b64 v[16:17], 2, v[14:15]
	v_add_co_u32_e32 v18, vcc, s44, v16
	v_addc_co_u32_e32 v19, vcc, v19, v17, vcc
	v_add_co_u32_e32 v16, vcc, s46, v16
	v_addc_co_u32_e32 v17, vcc, v20, v17, vcc
	global_load_dword v8, v[18:19], off
	s_nop 0
	global_load_dword v18, v[16:17], off
	v_pk_mov_b32 v[16:17], 0, 0
	s_waitcnt vmcnt(1)
	v_subrev_u32_e32 v20, s72, v8
	s_waitcnt vmcnt(0)
	v_sub_u32_e32 v35, v18, v8
	v_mov_b32_e32 v8, 0
	s_and_saveexec_b64 s[26:27], s[24:25]
	s_cbranch_execz .LBB21_18
; %bb.11:                               ;   in Loop: Header=BB21_10 Depth=2
	v_ashrrev_i32_e32 v21, 31, v20
	v_lshlrev_b64 v[16:17], 2, v[20:21]
	v_mov_b32_e32 v8, s49
	v_add_co_u32_e32 v18, vcc, s48, v16
	v_addc_co_u32_e32 v19, vcc, v8, v17, vcc
	v_lshlrev_b64 v[16:17], 3, v[20:21]
	v_mov_b32_e32 v8, s51
	v_add_co_u32_e32 v21, vcc, s50, v16
	v_addc_co_u32_e32 v24, vcc, v8, v17, vcc
	v_mov_b32_e32 v8, 0
	s_mov_b64 s[88:89], 0
	v_pk_mov_b32 v[16:17], 0, 0
	v_mov_b32_e32 v22, v8
                                        ; implicit-def: $sgpr90_sgpr91
	s_branch .LBB21_14
.LBB21_12:                              ;   in Loop: Header=BB21_14 Depth=3
	s_or_b64 exec, exec, s[56:57]
	v_cmp_le_i32_e32 vcc, v25, v26
	v_addc_co_u32_e32 v8, vcc, 0, v8, vcc
	v_cmp_ge_i32_e32 vcc, v25, v26
	v_addc_co_u32_e32 v22, vcc, 0, v22, vcc
	v_cmp_ge_i32_e32 vcc, v8, v7
	s_andn2_b64 s[52:53], s[90:91], exec
	s_and_b64 s[56:57], vcc, exec
	s_or_b64 s[90:91], s[52:53], s[56:57]
.LBB21_13:                              ;   in Loop: Header=BB21_14 Depth=3
	s_or_b64 exec, exec, s[70:71]
	s_and_b64 s[52:53], exec, s[90:91]
	s_or_b64 s[88:89], s[52:53], s[88:89]
	s_andn2_b64 exec, exec, s[88:89]
	s_cbranch_execz .LBB21_17
.LBB21_14:                              ;   Parent Loop BB21_3 Depth=1
                                        ;     Parent Loop BB21_10 Depth=2
                                        ; =>    This Inner Loop Header: Depth=3
	v_cmp_lt_i32_e32 vcc, v22, v35
	s_or_b64 s[90:91], s[90:91], exec
	s_and_saveexec_b64 s[70:71], vcc
	s_cbranch_execz .LBB21_13
; %bb.15:                               ;   in Loop: Header=BB21_14 Depth=3
	v_lshlrev_b64 v[26:27], 2, v[8:9]
	v_add_co_u32_e32 v26, vcc, v11, v26
	v_addc_co_u32_e32 v27, vcc, v32, v27, vcc
	v_mov_b32_e32 v23, v9
	global_load_dword v25, v[26:27], off
	v_lshlrev_b64 v[26:27], 2, v[22:23]
	v_add_co_u32_e32 v26, vcc, v18, v26
	v_addc_co_u32_e32 v27, vcc, v19, v27, vcc
	global_load_dword v26, v[26:27], off
	s_waitcnt vmcnt(1)
	v_subrev_u32_e32 v25, s68, v25
	s_waitcnt vmcnt(0)
	v_subrev_u32_e32 v26, s72, v26
	v_cmp_eq_u32_e32 vcc, v25, v26
	s_and_saveexec_b64 s[56:57], vcc
	s_cbranch_execz .LBB21_12
; %bb.16:                               ;   in Loop: Header=BB21_14 Depth=3
	v_lshlrev_b64 v[28:29], 3, v[8:9]
	v_add_co_u32_e32 v28, vcc, v33, v28
	v_addc_co_u32_e32 v29, vcc, v34, v29, vcc
	v_lshlrev_b64 v[36:37], 3, v[22:23]
	v_add_co_u32_e32 v36, vcc, v21, v36
	v_addc_co_u32_e32 v37, vcc, v24, v37, vcc
	global_load_dwordx2 v[28:29], v[28:29], off
	s_nop 0
	global_load_dwordx2 v[36:37], v[36:37], off
	s_waitcnt vmcnt(0)
	v_fmac_f64_e32 v[16:17], v[28:29], v[36:37]
	s_branch .LBB21_12
.LBB21_17:                              ;   in Loop: Header=BB21_10 Depth=2
	s_or_b64 exec, exec, s[88:89]
.LBB21_18:                              ;   in Loop: Header=BB21_10 Depth=2
	s_or_b64 exec, exec, s[26:27]
	v_lshlrev_b64 v[18:19], 3, v[12:13]
	v_mov_b32_e32 v13, s31
	v_add_co_u32_e32 v18, vcc, s30, v18
	v_addc_co_u32_e32 v19, vcc, v13, v19, vcc
	global_load_dwordx2 v[18:19], v[18:19], off
	v_cmp_le_i32_e64 s[26:27], v6, v14
	v_cmp_gt_i32_e32 vcc, v6, v14
	s_waitcnt vmcnt(0)
	v_add_f64 v[24:25], v[18:19], -v[16:17]
	s_and_saveexec_b64 s[56:57], vcc
	s_cbranch_execnz .LBB21_21
; %bb.19:                               ;   in Loop: Header=BB21_10 Depth=2
	s_or_b64 exec, exec, s[56:57]
	v_cmp_class_f64_e64 s[88:89], v[24:25], s82
	s_and_saveexec_b64 s[90:91], s[88:89]
	s_cbranch_execnz .LBB21_24
.LBB21_20:                              ;   in Loop: Header=BB21_10 Depth=2
	s_or_b64 exec, exec, s[90:91]
	s_and_b64 s[52:53], s[88:89], s[34:35]
	s_and_saveexec_b64 s[26:27], s[52:53]
	s_cbranch_execz .LBB21_9
	s_branch .LBB21_59
.LBB21_21:                              ;   in Loop: Header=BB21_10 Depth=2
	v_lshlrev_b64 v[26:27], 3, v[14:15]
	v_mov_b32_e32 v13, s61
	v_add_co_u32_e32 v26, vcc, s60, v26
	v_addc_co_u32_e32 v27, vcc, v13, v27, vcc
	global_load_dwordx2 v[26:27], v[26:27], off
	v_pk_mov_b32 v[28:29], 0, 0
	s_waitcnt vmcnt(0)
	v_cmp_lg_f64_e32 vcc, 0, v[26:27]
	s_and_saveexec_b64 s[58:59], vcc
; %bb.22:                               ;   in Loop: Header=BB21_10 Depth=2
	v_div_scale_f64 v[28:29], s[52:53], v[26:27], v[26:27], v[24:25]
	v_rcp_f64_e32 v[36:37], v[28:29]
	v_div_scale_f64 v[38:39], vcc, v[24:25], v[26:27], v[24:25]
	v_fma_f64 v[40:41], -v[28:29], v[36:37], 1.0
	v_fmac_f64_e32 v[36:37], v[36:37], v[40:41]
	v_fma_f64 v[40:41], -v[28:29], v[36:37], 1.0
	v_fmac_f64_e32 v[36:37], v[36:37], v[40:41]
	v_mul_f64 v[40:41], v[38:39], v[36:37]
	v_fma_f64 v[28:29], -v[28:29], v[40:41], v[38:39]
	v_div_fmas_f64 v[28:29], v[28:29], v[36:37], v[40:41]
	v_div_fixup_f64 v[28:29], v[28:29], v[26:27], v[24:25]
; %bb.23:                               ;   in Loop: Header=BB21_10 Depth=2
	s_or_b64 exec, exec, s[58:59]
	v_pk_mov_b32 v[24:25], v[28:29], v[28:29] op_sel:[0,1]
	s_or_b64 exec, exec, s[56:57]
	v_cmp_class_f64_e64 s[88:89], v[24:25], s82
	s_and_saveexec_b64 s[90:91], s[88:89]
	s_cbranch_execz .LBB21_20
.LBB21_24:                              ;   in Loop: Header=BB21_10 Depth=2
	s_and_saveexec_b64 s[52:53], s[26:27]
	s_xor_b64 s[26:27], exec, s[52:53]
	s_cbranch_execz .LBB21_45
; %bb.25:                               ;   in Loop: Header=BB21_10 Depth=2
	v_cmp_ge_i32_e32 vcc, v6, v14
	s_and_saveexec_b64 s[52:53], vcc
	s_xor_b64 s[56:57], exec, s[52:53]
	s_cbranch_execz .LBB21_31
; %bb.26:                               ;   in Loop: Header=BB21_10 Depth=2
	v_lshlrev_b64 v[26:27], 3, v[14:15]
	v_mov_b32_e32 v13, s63
	v_add_co_u32_e32 v28, vcc, s62, v26
	v_addc_co_u32_e32 v29, vcc, v13, v27, vcc
	s_andn2_b64 vcc, exec, s[64:65]
	global_store_dwordx2 v[28:29], v[24:25], off
	s_cbranch_vccnz .LBB21_30
; %bb.27:                               ;   in Loop: Header=BB21_10 Depth=2
	v_mov_b32_e32 v13, s61
	v_add_co_u32_e32 v26, vcc, s60, v26
	v_addc_co_u32_e32 v27, vcc, v13, v27, vcc
	global_load_dwordx2 v[26:27], v[26:27], off
	s_waitcnt vmcnt(0)
	v_add_f64 v[24:25], v[26:27], -v[24:25]
	v_cmp_class_f64_e64 s[58:59], v[24:25], s82
	s_and_saveexec_b64 s[52:53], s[58:59]
; %bb.28:                               ;   in Loop: Header=BB21_10 Depth=2
	v_and_b32_e32 v13, 0x7fffffff, v25
	v_cmp_lt_f64_e64 vcc, v[4:5], |v[24:25]|
	v_cndmask_b32_e32 v5, v5, v13, vcc
	v_cndmask_b32_e32 v4, v4, v24, vcc
; %bb.29:                               ;   in Loop: Header=BB21_10 Depth=2
	s_or_b64 exec, exec, s[52:53]
.LBB21_30:                              ;   in Loop: Header=BB21_10 Depth=2
                                        ; implicit-def: $vgpr24_vgpr25
.LBB21_31:                              ;   in Loop: Header=BB21_10 Depth=2
	s_andn2_saveexec_b64 s[92:93], s[56:57]
	s_cbranch_execz .LBB21_44
; %bb.32:                               ;   in Loop: Header=BB21_10 Depth=2
	v_cmp_lt_i32_e32 vcc, v22, v35
	s_and_saveexec_b64 s[94:95], vcc
	s_cbranch_execz .LBB21_43
; %bb.33:                               ;   in Loop: Header=BB21_10 Depth=2
	s_mov_b64 s[70:71], 0
	v_mov_b32_e32 v13, v22
                                        ; implicit-def: $sgpr74_sgpr75
                                        ; implicit-def: $sgpr58_sgpr59
                                        ; implicit-def: $sgpr56_sgpr57
	s_branch .LBB21_35
.LBB21_34:                              ;   in Loop: Header=BB21_35 Depth=3
	s_or_b64 exec, exec, s[52:53]
	s_and_b64 s[52:53], exec, s[58:59]
	s_or_b64 s[70:71], s[52:53], s[70:71]
	s_andn2_b64 s[52:53], s[74:75], exec
	s_and_b64 s[74:75], s[56:57], exec
	s_or_b64 s[74:75], s[52:53], s[74:75]
	s_andn2_b64 exec, exec, s[70:71]
	s_cbranch_execz .LBB21_37
.LBB21_35:                              ;   Parent Loop BB21_3 Depth=1
                                        ;     Parent Loop BB21_10 Depth=2
                                        ; =>    This Inner Loop Header: Depth=3
	v_add_u32_e32 v26, v20, v13
	v_ashrrev_i32_e32 v27, 31, v26
	v_lshlrev_b64 v[28:29], 2, v[26:27]
	v_mov_b32_e32 v21, s49
	v_add_co_u32_e32 v28, vcc, s48, v28
	v_addc_co_u32_e32 v29, vcc, v21, v29, vcc
	global_load_dword v21, v[28:29], off
	s_or_b64 s[56:57], s[56:57], exec
	s_or_b64 s[58:59], s[58:59], exec
	s_waitcnt vmcnt(0)
	v_subrev_u32_e32 v21, s72, v21
	v_cmp_ne_u32_e32 vcc, v21, v6
	s_and_saveexec_b64 s[52:53], vcc
	s_cbranch_execz .LBB21_34
; %bb.36:                               ;   in Loop: Header=BB21_35 Depth=3
	v_add_u32_e32 v13, 1, v13
	v_cmp_ge_i32_e32 vcc, v13, v35
	s_andn2_b64 s[58:59], s[58:59], exec
	s_and_b64 vcc, vcc, exec
	s_andn2_b64 s[56:57], s[56:57], exec
	s_or_b64 s[58:59], s[58:59], vcc
	s_branch .LBB21_34
.LBB21_37:                              ;   in Loop: Header=BB21_10 Depth=2
	s_or_b64 exec, exec, s[70:71]
	s_and_saveexec_b64 s[52:53], s[74:75]
	s_xor_b64 s[56:57], exec, s[52:53]
	s_cbranch_execz .LBB21_42
; %bb.38:                               ;   in Loop: Header=BB21_10 Depth=2
	v_lshlrev_b64 v[26:27], 3, v[26:27]
	v_mov_b32_e32 v13, s79
	v_add_co_u32_e32 v28, vcc, s78, v26
	v_addc_co_u32_e32 v29, vcc, v13, v27, vcc
	s_andn2_b64 vcc, exec, s[64:65]
	global_store_dwordx2 v[28:29], v[24:25], off
	s_cbranch_vccnz .LBB21_42
; %bb.39:                               ;   in Loop: Header=BB21_10 Depth=2
	v_mov_b32_e32 v13, s51
	v_add_co_u32_e32 v26, vcc, s50, v26
	v_addc_co_u32_e32 v27, vcc, v13, v27, vcc
	global_load_dwordx2 v[26:27], v[26:27], off
	s_waitcnt vmcnt(0)
	v_add_f64 v[24:25], v[26:27], -v[24:25]
	v_cmp_class_f64_e64 s[58:59], v[24:25], s82
	s_and_saveexec_b64 s[52:53], s[58:59]
; %bb.40:                               ;   in Loop: Header=BB21_10 Depth=2
	v_and_b32_e32 v13, 0x7fffffff, v25
	v_cmp_lt_f64_e64 vcc, v[4:5], |v[24:25]|
	v_cndmask_b32_e32 v5, v5, v13, vcc
	v_cndmask_b32_e32 v4, v4, v24, vcc
; %bb.41:                               ;   in Loop: Header=BB21_10 Depth=2
	s_or_b64 exec, exec, s[52:53]
.LBB21_42:                              ;   in Loop: Header=BB21_10 Depth=2
	s_or_b64 exec, exec, s[56:57]
.LBB21_43:                              ;   in Loop: Header=BB21_10 Depth=2
	s_or_b64 exec, exec, s[94:95]
.LBB21_44:                              ;   in Loop: Header=BB21_10 Depth=2
	s_or_b64 exec, exec, s[92:93]
                                        ; implicit-def: $vgpr24_vgpr25
.LBB21_45:                              ;   in Loop: Header=BB21_10 Depth=2
	s_andn2_saveexec_b64 s[26:27], s[26:27]
	s_cbranch_execz .LBB21_58
; %bb.46:                               ;   in Loop: Header=BB21_10 Depth=2
	v_cmp_lt_i32_e32 vcc, v8, v7
	s_and_saveexec_b64 s[92:93], vcc
	s_cbranch_execz .LBB21_57
; %bb.47:                               ;   in Loop: Header=BB21_10 Depth=2
	s_mov_b64 s[94:95], 0
	v_mov_b32_e32 v13, v8
                                        ; implicit-def: $sgpr70_sgpr71
                                        ; implicit-def: $sgpr58_sgpr59
                                        ; implicit-def: $sgpr56_sgpr57
	s_branch .LBB21_49
.LBB21_48:                              ;   in Loop: Header=BB21_49 Depth=3
	s_or_b64 exec, exec, s[74:75]
	s_and_b64 s[52:53], exec, s[58:59]
	s_or_b64 s[94:95], s[52:53], s[94:95]
	s_andn2_b64 s[52:53], s[70:71], exec
	s_and_b64 s[70:71], s[56:57], exec
	s_or_b64 s[70:71], s[52:53], s[70:71]
	s_andn2_b64 exec, exec, s[94:95]
	s_cbranch_execz .LBB21_51
.LBB21_49:                              ;   Parent Loop BB21_3 Depth=1
                                        ;     Parent Loop BB21_10 Depth=2
                                        ; =>    This Inner Loop Header: Depth=3
	v_add_u32_e32 v26, v10, v13
	v_ashrrev_i32_e32 v27, 31, v26
	v_lshlrev_b64 v[28:29], 2, v[26:27]
	v_mov_b32_e32 v21, s41
	v_add_co_u32_e32 v28, vcc, s40, v28
	v_addc_co_u32_e32 v29, vcc, v21, v29, vcc
	global_load_dword v21, v[28:29], off
	s_or_b64 s[56:57], s[56:57], exec
	s_or_b64 s[58:59], s[58:59], exec
	s_waitcnt vmcnt(0)
	v_subrev_u32_e32 v21, s68, v21
	v_cmp_ne_u32_e32 vcc, v21, v14
	s_and_saveexec_b64 s[74:75], vcc
	s_cbranch_execz .LBB21_48
; %bb.50:                               ;   in Loop: Header=BB21_49 Depth=3
	v_add_u32_e32 v13, 1, v13
	v_cmp_ge_i32_e32 vcc, v13, v7
	s_andn2_b64 s[52:53], s[58:59], exec
	s_and_b64 s[58:59], vcc, exec
	s_andn2_b64 s[56:57], s[56:57], exec
	s_or_b64 s[58:59], s[52:53], s[58:59]
	s_branch .LBB21_48
.LBB21_51:                              ;   in Loop: Header=BB21_10 Depth=2
	s_or_b64 exec, exec, s[94:95]
	s_and_saveexec_b64 s[52:53], s[70:71]
	s_xor_b64 s[56:57], exec, s[52:53]
	s_cbranch_execz .LBB21_56
; %bb.52:                               ;   in Loop: Header=BB21_10 Depth=2
	v_lshlrev_b64 v[26:27], 3, v[26:27]
	v_mov_b32_e32 v13, s77
	v_add_co_u32_e32 v28, vcc, s76, v26
	v_addc_co_u32_e32 v29, vcc, v13, v27, vcc
	s_andn2_b64 vcc, exec, s[64:65]
	global_store_dwordx2 v[28:29], v[24:25], off
	s_cbranch_vccnz .LBB21_56
; %bb.53:                               ;   in Loop: Header=BB21_10 Depth=2
	v_mov_b32_e32 v13, s43
	v_add_co_u32_e32 v26, vcc, s42, v26
	v_addc_co_u32_e32 v27, vcc, v13, v27, vcc
	global_load_dwordx2 v[26:27], v[26:27], off
	s_waitcnt vmcnt(0)
	v_add_f64 v[24:25], v[26:27], -v[24:25]
	v_cmp_class_f64_e64 s[58:59], v[24:25], s82
	s_and_saveexec_b64 s[52:53], s[58:59]
; %bb.54:                               ;   in Loop: Header=BB21_10 Depth=2
	v_and_b32_e32 v13, 0x7fffffff, v25
	v_cmp_lt_f64_e64 vcc, v[4:5], |v[24:25]|
	v_cndmask_b32_e32 v5, v5, v13, vcc
	v_cndmask_b32_e32 v4, v4, v24, vcc
; %bb.55:                               ;   in Loop: Header=BB21_10 Depth=2
	s_or_b64 exec, exec, s[52:53]
.LBB21_56:                              ;   in Loop: Header=BB21_10 Depth=2
	s_or_b64 exec, exec, s[56:57]
.LBB21_57:                              ;   in Loop: Header=BB21_10 Depth=2
	s_or_b64 exec, exec, s[92:93]
.LBB21_58:                              ;   in Loop: Header=BB21_10 Depth=2
	s_or_b64 exec, exec, s[26:27]
	s_or_b64 exec, exec, s[90:91]
	s_and_b64 s[52:53], s[88:89], s[34:35]
	s_and_saveexec_b64 s[26:27], s[52:53]
	s_cbranch_execz .LBB21_9
.LBB21_59:                              ;   in Loop: Header=BB21_10 Depth=2
	v_cmp_ge_i32_e32 vcc, v22, v35
	s_and_saveexec_b64 s[52:53], vcc
	s_xor_b64 s[88:89], exec, s[52:53]
	s_cbranch_execnz .LBB21_65
; %bb.60:                               ;   in Loop: Header=BB21_10 Depth=2
	s_andn2_saveexec_b64 s[88:89], s[88:89]
	s_cbranch_execnz .LBB21_74
.LBB21_61:                              ;   in Loop: Header=BB21_10 Depth=2
	s_or_b64 exec, exec, s[88:89]
	v_cmp_eq_u32_e32 vcc, v6, v14
	s_and_saveexec_b64 s[52:53], vcc
	s_cbranch_execz .LBB21_63
.LBB21_62:                              ;   in Loop: Header=BB21_10 Depth=2
	v_lshlrev_b64 v[14:15], 3, v[14:15]
	v_mov_b32_e32 v8, s61
	v_add_co_u32_e32 v14, vcc, s60, v14
	v_addc_co_u32_e32 v15, vcc, v8, v15, vcc
	global_load_dwordx2 v[14:15], v[14:15], off
	s_waitcnt vmcnt(0)
	v_add_f64 v[16:17], v[16:17], v[14:15]
.LBB21_63:                              ;   in Loop: Header=BB21_10 Depth=2
	s_or_b64 exec, exec, s[52:53]
	v_add_f64 v[14:15], v[18:19], -v[16:17]
	v_cmp_class_f64_e64 s[56:57], v[14:15], s82
	s_and_saveexec_b64 s[52:53], s[56:57]
	s_cbranch_execz .LBB21_8
; %bb.64:                               ;   in Loop: Header=BB21_10 Depth=2
	v_and_b32_e32 v8, 0x7fffffff, v15
	v_cmp_lt_f64_e64 vcc, v[2:3], |v[14:15]|
	v_cndmask_b32_e32 v3, v3, v8, vcc
	v_cndmask_b32_e32 v2, v2, v14, vcc
	s_branch .LBB21_8
.LBB21_65:                              ;   in Loop: Header=BB21_10 Depth=2
	v_cmp_lt_i32_e32 vcc, v8, v7
	s_and_saveexec_b64 s[90:91], vcc
	s_cbranch_execz .LBB21_73
; %bb.66:                               ;   in Loop: Header=BB21_10 Depth=2
	s_mov_b64 s[70:71], 0
                                        ; implicit-def: $sgpr74_sgpr75
                                        ; implicit-def: $sgpr58_sgpr59
                                        ; implicit-def: $sgpr56_sgpr57
	s_branch .LBB21_68
.LBB21_67:                              ;   in Loop: Header=BB21_68 Depth=3
	s_or_b64 exec, exec, s[52:53]
	s_and_b64 s[52:53], exec, s[58:59]
	s_or_b64 s[70:71], s[52:53], s[70:71]
	s_andn2_b64 s[52:53], s[74:75], exec
	s_and_b64 s[74:75], s[56:57], exec
	s_or_b64 s[74:75], s[52:53], s[74:75]
	s_andn2_b64 exec, exec, s[70:71]
	s_cbranch_execz .LBB21_70
.LBB21_68:                              ;   Parent Loop BB21_3 Depth=1
                                        ;     Parent Loop BB21_10 Depth=2
                                        ; =>    This Inner Loop Header: Depth=3
	v_add_u32_e32 v20, v10, v8
	v_ashrrev_i32_e32 v21, 31, v20
	v_lshlrev_b64 v[22:23], 2, v[20:21]
	v_mov_b32_e32 v13, s41
	v_add_co_u32_e32 v22, vcc, s40, v22
	v_addc_co_u32_e32 v23, vcc, v13, v23, vcc
	global_load_dword v13, v[22:23], off
	s_or_b64 s[56:57], s[56:57], exec
	s_or_b64 s[58:59], s[58:59], exec
	s_waitcnt vmcnt(0)
	v_subrev_u32_e32 v13, s68, v13
	v_cmp_ne_u32_e32 vcc, v13, v14
	s_and_saveexec_b64 s[52:53], vcc
	s_cbranch_execz .LBB21_67
; %bb.69:                               ;   in Loop: Header=BB21_68 Depth=3
	v_add_u32_e32 v8, 1, v8
	v_cmp_ge_i32_e32 vcc, v8, v7
	s_andn2_b64 s[58:59], s[58:59], exec
	s_and_b64 s[92:93], vcc, exec
	s_andn2_b64 s[56:57], s[56:57], exec
	s_or_b64 s[58:59], s[58:59], s[92:93]
	s_branch .LBB21_67
.LBB21_70:                              ;   in Loop: Header=BB21_10 Depth=2
	s_or_b64 exec, exec, s[70:71]
	s_and_saveexec_b64 s[52:53], s[74:75]
	s_xor_b64 s[56:57], exec, s[52:53]
	s_cbranch_execz .LBB21_72
; %bb.71:                               ;   in Loop: Header=BB21_10 Depth=2
	v_lshlrev_b64 v[20:21], 3, v[20:21]
	v_mov_b32_e32 v8, s43
	v_add_co_u32_e32 v20, vcc, s42, v20
	v_addc_co_u32_e32 v21, vcc, v8, v21, vcc
	v_lshlrev_b64 v[22:23], 3, v[14:15]
	v_mov_b32_e32 v8, s61
	v_add_co_u32_e32 v22, vcc, s60, v22
	v_addc_co_u32_e32 v23, vcc, v8, v23, vcc
	global_load_dwordx2 v[20:21], v[20:21], off
	s_nop 0
	global_load_dwordx2 v[22:23], v[22:23], off
	s_waitcnt vmcnt(0)
	v_fmac_f64_e32 v[16:17], v[20:21], v[22:23]
.LBB21_72:                              ;   in Loop: Header=BB21_10 Depth=2
	s_or_b64 exec, exec, s[56:57]
.LBB21_73:                              ;   in Loop: Header=BB21_10 Depth=2
	s_or_b64 exec, exec, s[90:91]
                                        ; implicit-def: $vgpr22
                                        ; implicit-def: $vgpr20
                                        ; implicit-def: $vgpr35
	s_andn2_saveexec_b64 s[88:89], s[88:89]
	s_cbranch_execz .LBB21_61
.LBB21_74:                              ;   in Loop: Header=BB21_10 Depth=2
	s_mov_b64 s[70:71], 0
                                        ; implicit-def: $sgpr74_sgpr75
                                        ; implicit-def: $sgpr58_sgpr59
                                        ; implicit-def: $sgpr56_sgpr57
	s_branch .LBB21_76
.LBB21_75:                              ;   in Loop: Header=BB21_76 Depth=3
	s_or_b64 exec, exec, s[52:53]
	s_and_b64 s[52:53], exec, s[58:59]
	s_or_b64 s[70:71], s[52:53], s[70:71]
	s_andn2_b64 s[52:53], s[74:75], exec
	s_and_b64 s[74:75], s[56:57], exec
	s_or_b64 s[74:75], s[52:53], s[74:75]
	s_andn2_b64 exec, exec, s[70:71]
	s_cbranch_execz .LBB21_78
.LBB21_76:                              ;   Parent Loop BB21_3 Depth=1
                                        ;     Parent Loop BB21_10 Depth=2
                                        ; =>    This Inner Loop Header: Depth=3
	v_add_u32_e32 v24, v20, v22
	v_ashrrev_i32_e32 v25, 31, v24
	v_lshlrev_b64 v[26:27], 2, v[24:25]
	v_mov_b32_e32 v8, s49
	v_add_co_u32_e32 v26, vcc, s48, v26
	v_addc_co_u32_e32 v27, vcc, v8, v27, vcc
	global_load_dword v8, v[26:27], off
	s_or_b64 s[56:57], s[56:57], exec
	s_or_b64 s[58:59], s[58:59], exec
	s_waitcnt vmcnt(0)
	v_subrev_u32_e32 v8, s72, v8
	v_cmp_ne_u32_e32 vcc, v8, v6
	s_and_saveexec_b64 s[52:53], vcc
	s_cbranch_execz .LBB21_75
; %bb.77:                               ;   in Loop: Header=BB21_76 Depth=3
	v_add_u32_e32 v22, 1, v22
	v_cmp_ge_i32_e32 vcc, v22, v35
	s_andn2_b64 s[58:59], s[58:59], exec
	s_and_b64 s[90:91], vcc, exec
	s_andn2_b64 s[56:57], s[56:57], exec
	s_or_b64 s[58:59], s[58:59], s[90:91]
	s_branch .LBB21_75
.LBB21_78:                              ;   in Loop: Header=BB21_10 Depth=2
	s_or_b64 exec, exec, s[70:71]
	s_and_saveexec_b64 s[52:53], s[74:75]
	s_xor_b64 s[52:53], exec, s[52:53]
	s_cbranch_execz .LBB21_80
; %bb.79:                               ;   in Loop: Header=BB21_10 Depth=2
	v_lshlrev_b64 v[20:21], 3, v[24:25]
	v_mov_b32_e32 v8, s51
	v_add_co_u32_e32 v20, vcc, s50, v20
	v_addc_co_u32_e32 v21, vcc, v8, v21, vcc
	global_load_dwordx2 v[20:21], v[20:21], off
	s_waitcnt vmcnt(0)
	v_add_f64 v[16:17], v[16:17], v[20:21]
.LBB21_80:                              ;   in Loop: Header=BB21_10 Depth=2
	s_or_b64 exec, exec, s[52:53]
	s_or_b64 exec, exec, s[88:89]
	v_cmp_eq_u32_e32 vcc, v6, v14
	s_and_saveexec_b64 s[52:53], vcc
	s_cbranch_execnz .LBB21_62
	s_branch .LBB21_63
.LBB21_81:                              ;   in Loop: Header=BB21_3 Depth=1
	s_or_b64 exec, exec, s[86:87]
	s_or_b64 exec, exec, s[84:85]
	s_andn2_b64 vcc, exec, s[64:65]
	s_cbranch_vccnz .LBB21_5
.LBB21_82:                              ;   in Loop: Header=BB21_3 Depth=1
	ds_write_b64 v1, v[4:5]
	s_waitcnt lgkmcnt(0)
	s_barrier
	s_and_saveexec_b64 s[26:27], s[16:17]
	s_cbranch_execz .LBB21_84
; %bb.83:                               ;   in Loop: Header=BB21_3 Depth=1
	ds_read2st64_b64 v[12:15], v1 offset1:8
	s_waitcnt lgkmcnt(0)
	v_cmp_lt_f64_e32 vcc, v[12:13], v[14:15]
	v_cndmask_b32_e32 v5, v13, v15, vcc
	v_cndmask_b32_e32 v4, v12, v14, vcc
	ds_write_b64 v1, v[4:5]
.LBB21_84:                              ;   in Loop: Header=BB21_3 Depth=1
	s_or_b64 exec, exec, s[26:27]
	s_waitcnt lgkmcnt(0)
	s_barrier
	s_and_saveexec_b64 s[26:27], s[18:19]
	s_cbranch_execz .LBB21_86
; %bb.85:                               ;   in Loop: Header=BB21_3 Depth=1
	ds_read2st64_b64 v[12:15], v1 offset1:4
	s_waitcnt lgkmcnt(0)
	v_cmp_lt_f64_e32 vcc, v[12:13], v[14:15]
	v_cndmask_b32_e32 v5, v13, v15, vcc
	v_cndmask_b32_e32 v4, v12, v14, vcc
	ds_write_b64 v1, v[4:5]
.LBB21_86:                              ;   in Loop: Header=BB21_3 Depth=1
	s_or_b64 exec, exec, s[26:27]
	;; [unrolled: 13-line block ×4, first 2 shown]
	s_waitcnt lgkmcnt(0)
	s_barrier
	s_and_saveexec_b64 s[26:27], s[2:3]
	s_cbranch_execz .LBB21_92
; %bb.91:                               ;   in Loop: Header=BB21_3 Depth=1
	ds_read2_b64 v[12:15], v1 offset1:32
	s_waitcnt lgkmcnt(0)
	v_cmp_lt_f64_e32 vcc, v[12:13], v[14:15]
	v_cndmask_b32_e32 v5, v13, v15, vcc
	v_cndmask_b32_e32 v4, v12, v14, vcc
	ds_write_b64 v1, v[4:5]
.LBB21_92:                              ;   in Loop: Header=BB21_3 Depth=1
	s_or_b64 exec, exec, s[26:27]
	s_waitcnt lgkmcnt(0)
	s_barrier
	s_and_saveexec_b64 s[26:27], s[4:5]
	s_cbranch_execz .LBB21_94
; %bb.93:                               ;   in Loop: Header=BB21_3 Depth=1
	ds_read2_b64 v[12:15], v1 offset1:16
	s_waitcnt lgkmcnt(0)
	v_cmp_lt_f64_e32 vcc, v[12:13], v[14:15]
	v_cndmask_b32_e32 v5, v13, v15, vcc
	v_cndmask_b32_e32 v4, v12, v14, vcc
	ds_write_b64 v1, v[4:5]
.LBB21_94:                              ;   in Loop: Header=BB21_3 Depth=1
	s_or_b64 exec, exec, s[26:27]
	;; [unrolled: 13-line block ×4, first 2 shown]
	s_waitcnt lgkmcnt(0)
	s_barrier
	s_and_saveexec_b64 s[26:27], s[10:11]
	s_cbranch_execz .LBB21_100
; %bb.99:                               ;   in Loop: Header=BB21_3 Depth=1
	ds_read2_b64 v[12:15], v1 offset1:2
	s_waitcnt lgkmcnt(0)
	v_cmp_lt_f64_e32 vcc, v[12:13], v[14:15]
	v_cndmask_b32_e32 v5, v13, v15, vcc
	v_cndmask_b32_e32 v4, v12, v14, vcc
	ds_write_b64 v1, v[4:5]
.LBB21_100:                             ;   in Loop: Header=BB21_3 Depth=1
	s_or_b64 exec, exec, s[26:27]
	s_waitcnt lgkmcnt(0)
	s_barrier
	s_and_saveexec_b64 s[26:27], s[12:13]
	s_cbranch_execz .LBB21_102
; %bb.101:                              ;   in Loop: Header=BB21_3 Depth=1
	ds_read_b128 v[12:15], v9
	s_waitcnt lgkmcnt(0)
	v_cmp_lt_f64_e32 vcc, v[12:13], v[14:15]
	v_cndmask_b32_e32 v5, v13, v15, vcc
	v_cndmask_b32_e32 v4, v12, v14, vcc
	ds_write_b64 v9, v[4:5]
.LBB21_102:                             ;   in Loop: Header=BB21_3 Depth=1
	s_or_b64 exec, exec, s[26:27]
	v_readlane_b32 s26, v42, 10
	v_readlane_b32 s27, v42, 11
	s_waitcnt lgkmcnt(0)
	s_barrier
	ds_read_b64 v[4:5], v9
	s_load_dwordx2 s[26:27], s[26:27], 0x0
	s_waitcnt lgkmcnt(0)
	v_div_scale_f64 v[12:13], s[52:53], s[26:27], s[26:27], v[4:5]
	v_rcp_f64_e32 v[14:15], v[12:13]
	v_div_scale_f64 v[16:17], vcc, v[4:5], s[26:27], v[4:5]
	v_fma_f64 v[18:19], -v[12:13], v[14:15], 1.0
	v_fmac_f64_e32 v[14:15], v[14:15], v[18:19]
	v_fma_f64 v[18:19], -v[12:13], v[14:15], 1.0
	v_fmac_f64_e32 v[14:15], v[14:15], v[18:19]
	v_mul_f64 v[18:19], v[16:17], v[14:15]
	v_fma_f64 v[12:13], -v[12:13], v[18:19], v[16:17]
	v_div_fmas_f64 v[12:13], v[12:13], v[14:15], v[18:19]
	v_div_fixup_f64 v[4:5], v[12:13], s[26:27], v[4:5]
	s_andn2_b64 vcc, exec, s[34:35]
	s_cbranch_vccnz .LBB21_6
.LBB21_103:                             ;   in Loop: Header=BB21_3 Depth=1
	ds_write_b64 v1, v[2:3]
	s_waitcnt lgkmcnt(0)
	s_barrier
	s_and_saveexec_b64 s[26:27], s[16:17]
	s_cbranch_execz .LBB21_105
; %bb.104:                              ;   in Loop: Header=BB21_3 Depth=1
	ds_read2st64_b64 v[12:15], v1 offset1:8
	s_waitcnt lgkmcnt(0)
	v_cmp_lt_f64_e32 vcc, v[12:13], v[14:15]
	v_cndmask_b32_e32 v3, v13, v15, vcc
	v_cndmask_b32_e32 v2, v12, v14, vcc
	ds_write_b64 v1, v[2:3]
.LBB21_105:                             ;   in Loop: Header=BB21_3 Depth=1
	s_or_b64 exec, exec, s[26:27]
	s_waitcnt lgkmcnt(0)
	s_barrier
	s_and_saveexec_b64 s[26:27], s[18:19]
	s_cbranch_execz .LBB21_107
; %bb.106:                              ;   in Loop: Header=BB21_3 Depth=1
	ds_read2st64_b64 v[12:15], v1 offset1:4
	s_waitcnt lgkmcnt(0)
	v_cmp_lt_f64_e32 vcc, v[12:13], v[14:15]
	v_cndmask_b32_e32 v3, v13, v15, vcc
	v_cndmask_b32_e32 v2, v12, v14, vcc
	ds_write_b64 v1, v[2:3]
.LBB21_107:                             ;   in Loop: Header=BB21_3 Depth=1
	s_or_b64 exec, exec, s[26:27]
	;; [unrolled: 13-line block ×4, first 2 shown]
	s_waitcnt lgkmcnt(0)
	s_barrier
	s_and_saveexec_b64 s[26:27], s[2:3]
	s_cbranch_execz .LBB21_113
; %bb.112:                              ;   in Loop: Header=BB21_3 Depth=1
	ds_read2_b64 v[12:15], v1 offset1:32
	s_waitcnt lgkmcnt(0)
	v_cmp_lt_f64_e32 vcc, v[12:13], v[14:15]
	v_cndmask_b32_e32 v3, v13, v15, vcc
	v_cndmask_b32_e32 v2, v12, v14, vcc
	ds_write_b64 v1, v[2:3]
.LBB21_113:                             ;   in Loop: Header=BB21_3 Depth=1
	s_or_b64 exec, exec, s[26:27]
	s_waitcnt lgkmcnt(0)
	s_barrier
	s_and_saveexec_b64 s[26:27], s[4:5]
	s_cbranch_execz .LBB21_115
; %bb.114:                              ;   in Loop: Header=BB21_3 Depth=1
	ds_read2_b64 v[12:15], v1 offset1:16
	s_waitcnt lgkmcnt(0)
	v_cmp_lt_f64_e32 vcc, v[12:13], v[14:15]
	v_cndmask_b32_e32 v3, v13, v15, vcc
	v_cndmask_b32_e32 v2, v12, v14, vcc
	ds_write_b64 v1, v[2:3]
.LBB21_115:                             ;   in Loop: Header=BB21_3 Depth=1
	s_or_b64 exec, exec, s[26:27]
	;; [unrolled: 13-line block ×5, first 2 shown]
	s_waitcnt lgkmcnt(0)
	s_barrier
	s_and_saveexec_b64 s[26:27], s[12:13]
	s_cbranch_execz .LBB21_123
; %bb.122:                              ;   in Loop: Header=BB21_3 Depth=1
	ds_read_b128 v[12:15], v9
	s_waitcnt lgkmcnt(0)
	v_cmp_lt_f64_e32 vcc, v[12:13], v[14:15]
	v_cndmask_b32_e32 v3, v13, v15, vcc
	v_cndmask_b32_e32 v2, v12, v14, vcc
	ds_write_b64 v9, v[2:3]
.LBB21_123:                             ;   in Loop: Header=BB21_3 Depth=1
	s_or_b64 exec, exec, s[26:27]
	v_readlane_b32 s26, v42, 10
	v_readlane_b32 s27, v42, 11
	s_waitcnt lgkmcnt(0)
	s_barrier
	ds_read_b64 v[2:3], v9
	s_load_dwordx2 s[26:27], s[26:27], 0x0
	s_waitcnt lgkmcnt(0)
	v_div_scale_f64 v[12:13], s[52:53], s[26:27], s[26:27], v[2:3]
	v_rcp_f64_e32 v[14:15], v[12:13]
	v_div_scale_f64 v[16:17], vcc, v[2:3], s[26:27], v[2:3]
	v_fma_f64 v[18:19], -v[12:13], v[14:15], 1.0
	v_fmac_f64_e32 v[14:15], v[14:15], v[18:19]
	v_fma_f64 v[18:19], -v[12:13], v[14:15], 1.0
	v_fmac_f64_e32 v[14:15], v[14:15], v[18:19]
	v_mul_f64 v[18:19], v[16:17], v[14:15]
	v_fma_f64 v[12:13], -v[12:13], v[18:19], v[16:17]
	v_div_fmas_f64 v[12:13], v[12:13], v[14:15], v[18:19]
	v_div_fixup_f64 v[2:3], v[12:13], s[26:27], v[2:3]
	s_and_saveexec_b64 s[26:27], s[14:15]
	s_cbranch_execz .LBB21_134
.LBB21_124:                             ;   in Loop: Header=BB21_3 Depth=1
	s_mov_b64 s[84:85], 0
	v_mov_b32_e32 v12, v6
	s_branch .LBB21_127
.LBB21_125:                             ;   in Loop: Header=BB21_127 Depth=2
	s_or_b64 exec, exec, s[56:57]
	v_lshlrev_b64 v[14:15], 3, v[12:13]
	v_mov_b32_e32 v8, s63
	v_add_co_u32_e32 v16, vcc, s62, v14
	v_addc_co_u32_e32 v17, vcc, v8, v15, vcc
	global_load_dwordx2 v[16:17], v[16:17], off
	v_mov_b32_e32 v8, s61
	v_add_co_u32_e32 v14, vcc, s60, v14
	v_addc_co_u32_e32 v15, vcc, v8, v15, vcc
	s_waitcnt vmcnt(0)
	global_store_dwordx2 v[14:15], v[16:17], off
.LBB21_126:                             ;   in Loop: Header=BB21_127 Depth=2
	s_or_b64 exec, exec, s[86:87]
	v_add_u32_e32 v12, 0x400, v12
	v_cmp_le_u32_e32 vcc, s73, v12
	s_or_b64 s[84:85], vcc, s[84:85]
	s_andn2_b64 exec, exec, s[84:85]
	s_cbranch_execz .LBB21_134
.LBB21_127:                             ;   Parent Loop BB21_3 Depth=1
                                        ; =>  This Loop Header: Depth=2
                                        ;       Child Loop BB21_130 Depth 3
                                        ;       Child Loop BB21_133 Depth 3
	v_cmp_gt_i32_e32 vcc, s33, v12
	s_and_saveexec_b64 s[86:87], vcc
	s_cbranch_execz .LBB21_126
; %bb.128:                              ;   in Loop: Header=BB21_127 Depth=2
	v_ashrrev_i32_e32 v13, 31, v12
	v_lshlrev_b64 v[14:15], 2, v[12:13]
	v_mov_b32_e32 v8, s37
	v_add_co_u32_e32 v16, vcc, s36, v14
	v_addc_co_u32_e32 v17, vcc, v8, v15, vcc
	v_mov_b32_e32 v8, s39
	v_add_co_u32_e32 v18, vcc, s38, v14
	v_addc_co_u32_e32 v19, vcc, v8, v15, vcc
	global_load_dword v16, v[16:17], off
	s_nop 0
	global_load_dword v8, v[18:19], off
	s_waitcnt vmcnt(0)
	v_cmp_lt_i32_e32 vcc, v16, v8
	s_and_saveexec_b64 s[56:57], vcc
	s_cbranch_execz .LBB21_131
; %bb.129:                              ;   in Loop: Header=BB21_127 Depth=2
	v_subrev_u32_e32 v16, s68, v16
	v_ashrrev_i32_e32 v17, 31, v16
	v_lshlrev_b64 v[20:21], 3, v[16:17]
	v_mov_b32_e32 v17, s77
	v_add_co_u32_e32 v18, vcc, s76, v20
	v_addc_co_u32_e32 v19, vcc, v17, v21, vcc
	v_mov_b32_e32 v17, s43
	v_add_co_u32_e32 v20, vcc, s42, v20
	v_subrev_u32_e32 v8, s68, v8
	v_addc_co_u32_e32 v21, vcc, v17, v21, vcc
	s_mov_b64 s[58:59], 0
.LBB21_130:                             ;   Parent Loop BB21_3 Depth=1
                                        ;     Parent Loop BB21_127 Depth=2
                                        ; =>    This Inner Loop Header: Depth=3
	global_load_dwordx2 v[22:23], v[18:19], off
	v_add_co_u32_e32 v18, vcc, 8, v18
	v_add_u32_e32 v16, 1, v16
	v_addc_co_u32_e32 v19, vcc, 0, v19, vcc
	v_cmp_ge_i32_e32 vcc, v16, v8
	s_or_b64 s[58:59], vcc, s[58:59]
	s_waitcnt vmcnt(0)
	global_store_dwordx2 v[20:21], v[22:23], off
	v_add_co_u32_e32 v20, vcc, 8, v20
	v_addc_co_u32_e32 v21, vcc, 0, v21, vcc
	s_andn2_b64 exec, exec, s[58:59]
	s_cbranch_execnz .LBB21_130
.LBB21_131:                             ;   in Loop: Header=BB21_127 Depth=2
	s_or_b64 exec, exec, s[56:57]
	v_mov_b32_e32 v8, s45
	v_add_co_u32_e32 v16, vcc, s44, v14
	v_addc_co_u32_e32 v17, vcc, v8, v15, vcc
	v_mov_b32_e32 v8, s47
	v_add_co_u32_e32 v14, vcc, s46, v14
	v_addc_co_u32_e32 v15, vcc, v8, v15, vcc
	global_load_dword v16, v[16:17], off
	s_nop 0
	global_load_dword v8, v[14:15], off
	s_waitcnt vmcnt(0)
	v_cmp_lt_i32_e32 vcc, v16, v8
	s_and_saveexec_b64 s[56:57], vcc
	s_cbranch_execz .LBB21_125
; %bb.132:                              ;   in Loop: Header=BB21_127 Depth=2
	v_subrev_u32_e32 v14, s72, v16
	v_ashrrev_i32_e32 v15, 31, v14
	v_lshlrev_b64 v[18:19], 3, v[14:15]
	v_mov_b32_e32 v15, s79
	v_add_co_u32_e32 v16, vcc, s78, v18
	v_addc_co_u32_e32 v17, vcc, v15, v19, vcc
	v_mov_b32_e32 v15, s51
	v_add_co_u32_e32 v18, vcc, s50, v18
	v_subrev_u32_e32 v8, s72, v8
	v_addc_co_u32_e32 v19, vcc, v15, v19, vcc
	s_mov_b64 s[58:59], 0
.LBB21_133:                             ;   Parent Loop BB21_3 Depth=1
                                        ;     Parent Loop BB21_127 Depth=2
                                        ; =>    This Inner Loop Header: Depth=3
	global_load_dwordx2 v[20:21], v[16:17], off
	v_add_co_u32_e32 v16, vcc, 8, v16
	v_add_u32_e32 v14, 1, v14
	v_addc_co_u32_e32 v17, vcc, 0, v17, vcc
	v_cmp_ge_i32_e32 vcc, v14, v8
	s_or_b64 s[58:59], vcc, s[58:59]
	s_waitcnt vmcnt(0)
	global_store_dwordx2 v[18:19], v[20:21], off
	v_add_co_u32_e32 v18, vcc, 8, v18
	v_addc_co_u32_e32 v19, vcc, 0, v19, vcc
	s_andn2_b64 exec, exec, s[58:59]
	s_cbranch_execnz .LBB21_133
	s_branch .LBB21_125
.LBB21_134:                             ;   in Loop: Header=BB21_3 Depth=1
	s_or_b64 exec, exec, s[26:27]
	s_mov_b64 s[84:85], -1
	s_mov_b64 s[26:27], -1
	s_and_b64 vcc, exec, s[66:67]
	s_cbranch_vccz .LBB21_144
; %bb.135:                              ;   in Loop: Header=BB21_3 Depth=1
	v_readlane_b32 s52, v42, 14
	v_readlane_b32 s53, v42, 15
	s_and_b64 vcc, exec, s[52:53]
                                        ; implicit-def: $sgpr56_sgpr57
	s_cbranch_vccz .LBB21_141
; %bb.136:                              ;   in Loop: Header=BB21_3 Depth=1
	v_readlane_b32 s52, v42, 12
	v_readlane_b32 s53, v42, 13
	s_and_b64 vcc, exec, s[52:53]
                                        ; implicit-def: $sgpr56_sgpr57
	s_cbranch_vccz .LBB21_138
; %bb.137:                              ;   in Loop: Header=BB21_3 Depth=1
	v_readlane_b32 s56, v42, 0
	v_readlane_b32 s58, v42, 2
	;; [unrolled: 1-line block ×4, first 2 shown]
	v_cmp_ge_f64_e32 vcc, s[58:59], v[2:3]
	s_mov_b64 s[26:27], 0
	s_and_b64 s[56:57], vcc, exec
.LBB21_138:                             ;   in Loop: Header=BB21_3 Depth=1
	s_andn2_b64 vcc, exec, s[26:27]
	s_cbranch_vccnz .LBB21_140
; %bb.139:                              ;   in Loop: Header=BB21_3 Depth=1
	v_readlane_b32 s88, v42, 0
	v_readlane_b32 s90, v42, 2
	;; [unrolled: 1-line block ×3, first 2 shown]
	v_cmp_ge_f64_e32 vcc, s[90:91], v[4:5]
	s_andn2_b64 s[26:27], s[56:57], exec
	s_and_b64 s[52:53], vcc, exec
	s_or_b64 s[56:57], s[26:27], s[52:53]
	v_readlane_b32 s89, v42, 1
.LBB21_140:                             ;   in Loop: Header=BB21_3 Depth=1
	s_mov_b64 s[26:27], 0
.LBB21_141:                             ;   in Loop: Header=BB21_3 Depth=1
	s_andn2_b64 vcc, exec, s[26:27]
	s_cbranch_vccnz .LBB21_143
; %bb.142:                              ;   in Loop: Header=BB21_3 Depth=1
	v_readlane_b32 s88, v42, 0
	v_readlane_b32 s90, v42, 2
	v_readlane_b32 s91, v42, 3
	v_cmp_ge_f64_e32 vcc, s[90:91], v[4:5]
	v_cmp_ge_f64_e64 s[26:27], s[90:91], v[2:3]
	s_and_b64 s[26:27], vcc, s[26:27]
	s_andn2_b64 s[52:53], s[56:57], exec
	s_and_b64 s[26:27], s[26:27], exec
	s_or_b64 s[56:57], s[52:53], s[26:27]
	v_readlane_b32 s89, v42, 1
.LBB21_143:                             ;   in Loop: Header=BB21_3 Depth=1
	s_xor_b64 s[26:27], s[56:57], -1
.LBB21_144:                             ;   in Loop: Header=BB21_3 Depth=1
	v_mov_b32_e32 v8, s54
	s_and_saveexec_b64 s[52:53], s[26:27]
	s_cbranch_execz .LBB21_2
; %bb.145:                              ;   in Loop: Header=BB21_3 Depth=1
	s_add_i32 s54, s54, 1
	s_cmp_eq_u32 s54, s69
	s_cselect_b64 s[26:27], -1, 0
	v_mov_b32_e32 v8, s69
	s_orn2_b64 s[84:85], s[26:27], exec
	s_branch .LBB21_2
.LBB21_146:
	s_or_b64 exec, exec, s[80:81]
	v_readlane_b32 s20, v42, 6
	v_readlane_b32 s21, v42, 7
	;; [unrolled: 1-line block ×4, first 2 shown]
.LBB21_147:
	v_readlane_b32 s0, v42, 4
	v_readlane_b32 s1, v42, 5
	s_or_b64 exec, exec, s[0:1]
	s_andn2_b64 vcc, exec, s[66:67]
	s_cbranch_vccnz .LBB21_172
; %bb.148:
	v_lshlrev_b32_e32 v6, 2, v0
	s_movk_i32 s0, 0x200
	v_or_b32_e32 v1, 0x2000, v6
	v_cmp_gt_u32_e32 vcc, s0, v0
	ds_write_b32 v6, v8 offset:8192
	s_waitcnt lgkmcnt(0)
	s_barrier
	s_and_saveexec_b64 s[0:1], vcc
	s_cbranch_execz .LBB21_150
; %bb.149:
	ds_read2st64_b32 v[6:7], v1 offset1:8
	s_waitcnt lgkmcnt(0)
	v_max_i32_e32 v6, v6, v7
	ds_write_b32 v1, v6
.LBB21_150:
	s_or_b64 exec, exec, s[0:1]
	s_movk_i32 s0, 0x100
	v_cmp_gt_u32_e32 vcc, s0, v0
	s_waitcnt lgkmcnt(0)
	s_barrier
	s_and_saveexec_b64 s[0:1], vcc
	s_cbranch_execz .LBB21_152
; %bb.151:
	ds_read2st64_b32 v[6:7], v1 offset1:4
	s_waitcnt lgkmcnt(0)
	v_max_i32_e32 v6, v6, v7
	ds_write_b32 v1, v6
.LBB21_152:
	s_or_b64 exec, exec, s[0:1]
	s_movk_i32 s0, 0x80
	v_cmp_gt_u32_e32 vcc, s0, v0
	s_waitcnt lgkmcnt(0)
	s_barrier
	s_and_saveexec_b64 s[0:1], vcc
	s_cbranch_execz .LBB21_154
; %bb.153:
	ds_read2st64_b32 v[6:7], v1 offset1:2
	s_waitcnt lgkmcnt(0)
	v_max_i32_e32 v6, v6, v7
	ds_write_b32 v1, v6
.LBB21_154:
	s_or_b64 exec, exec, s[0:1]
	v_cmp_gt_u32_e32 vcc, 64, v0
	s_waitcnt lgkmcnt(0)
	s_barrier
	s_and_saveexec_b64 s[0:1], vcc
	s_cbranch_execz .LBB21_156
; %bb.155:
	ds_read2st64_b32 v[6:7], v1 offset1:1
	s_waitcnt lgkmcnt(0)
	v_max_i32_e32 v6, v6, v7
	ds_write_b32 v1, v6
.LBB21_156:
	s_or_b64 exec, exec, s[0:1]
	v_cmp_gt_u32_e32 vcc, 32, v0
	s_waitcnt lgkmcnt(0)
	s_barrier
	s_and_saveexec_b64 s[0:1], vcc
	s_cbranch_execz .LBB21_158
; %bb.157:
	ds_read2_b32 v[6:7], v1 offset1:32
	s_waitcnt lgkmcnt(0)
	v_max_i32_e32 v6, v6, v7
	ds_write_b32 v1, v6
.LBB21_158:
	s_or_b64 exec, exec, s[0:1]
	v_cmp_gt_u32_e32 vcc, 16, v0
	s_waitcnt lgkmcnt(0)
	s_barrier
	s_and_saveexec_b64 s[0:1], vcc
	s_cbranch_execz .LBB21_160
; %bb.159:
	ds_read2_b32 v[6:7], v1 offset1:16
	s_waitcnt lgkmcnt(0)
	v_max_i32_e32 v6, v6, v7
	ds_write_b32 v1, v6
.LBB21_160:
	;; [unrolled: 12-line block ×5, first 2 shown]
	s_or_b64 exec, exec, s[0:1]
	v_cmp_eq_u32_e32 vcc, 0, v0
	s_waitcnt lgkmcnt(0)
	s_barrier
	s_and_saveexec_b64 s[0:1], vcc
	s_cbranch_execz .LBB21_168
; %bb.167:
	v_mov_b32_e32 v1, 0
	ds_read_b64 v[6:7], v1 offset:8192
	s_waitcnt lgkmcnt(0)
	v_max_i32_e32 v6, v6, v7
	ds_write_b32 v1, v6 offset:8192
.LBB21_168:
	s_or_b64 exec, exec, s[0:1]
	s_waitcnt lgkmcnt(0)
	s_barrier
	s_and_saveexec_b64 s[0:1], vcc
	s_cbranch_execz .LBB21_171
; %bb.169:
	v_mbcnt_lo_u32_b32 v1, exec_lo, 0
	v_mbcnt_hi_u32_b32 v1, exec_hi, v1
	v_cmp_eq_u32_e32 vcc, 0, v1
	s_and_b64 exec, exec, vcc
	s_cbranch_execz .LBB21_171
; %bb.170:
	v_mov_b32_e32 v1, 0
	ds_read_b32 v6, v1 offset:8192
	v_readlane_b32 s4, v42, 0
	v_readlane_b32 s5, v42, 1
	;; [unrolled: 1-line block ×4, first 2 shown]
	s_waitcnt lgkmcnt(0)
	v_add_u32_e32 v6, 1, v6
	s_nop 0
	global_atomic_smax v1, v6, s[4:5]
.LBB21_171:
	s_or_b64 exec, exec, s[0:1]
.LBB21_172:
	v_cmp_eq_u32_e32 vcc, 0, v0
	s_mov_b32 s0, 0
	s_and_b64 s[2:3], vcc, s[64:65]
	s_and_saveexec_b64 s[4:5], s[2:3]
	s_cbranch_execz .LBB21_177
; %bb.173:
	v_mov_b32_e32 v0, 0
	global_load_dwordx2 v[6:7], v0, s[20:21] glc
	s_brev_b32 s1, 1
	s_mov_b64 s[6:7], 0
                                        ; implicit-def: $sgpr8_sgpr9
                                        ; implicit-def: $sgpr10_sgpr11
	s_waitcnt vmcnt(0)
	v_cmp_eq_u64_e64 s[12:13], s[0:1], v[6:7]
	v_cmp_eq_f64_e64 s[0:1], 0, v[4:5]
	s_branch .LBB21_175
.LBB21_174:                             ;   in Loop: Header=BB21_175 Depth=1
	s_or_b64 exec, exec, s[14:15]
	s_and_b64 s[2:3], exec, s[8:9]
	s_or_b64 s[6:7], s[2:3], s[6:7]
	s_andn2_b64 s[2:3], s[12:13], exec
	s_and_b64 s[12:13], s[10:11], exec
	s_or_b64 s[12:13], s[2:3], s[12:13]
	s_andn2_b64 exec, exec, s[6:7]
	s_cbranch_execz .LBB21_177
.LBB21_175:                             ; =>This Inner Loop Header: Depth=1
	v_cmp_lt_f64_e64 s[2:3], v[6:7], v[4:5]
	s_and_b64 s[14:15], s[0:1], s[12:13]
	s_or_b64 s[2:3], s[2:3], s[14:15]
	s_andn2_b64 s[10:11], s[10:11], exec
	s_or_b64 s[8:9], s[8:9], exec
	s_and_saveexec_b64 s[14:15], s[2:3]
	s_cbranch_execz .LBB21_174
; %bb.176:                              ;   in Loop: Header=BB21_175 Depth=1
	global_atomic_cmpswap_x2 v[8:9], v0, v[4:7], s[20:21] glc
	s_andn2_b64 s[8:9], s[8:9], exec
	s_andn2_b64 s[10:11], s[10:11], exec
                                        ; implicit-def: $sgpr12_sgpr13
	s_waitcnt vmcnt(0)
	v_cmp_eq_u64_e64 s[2:3], v[8:9], v[6:7]
	v_cndmask_b32_e64 v7, v9, v7, s[2:3]
	v_cndmask_b32_e64 v6, v8, v6, s[2:3]
	s_and_b64 s[2:3], s[2:3], exec
	v_cmp_class_f64_e64 s[16:17], v[6:7], 32
	s_or_b64 s[8:9], s[8:9], s[2:3]
	s_and_b64 s[2:3], s[16:17], exec
	s_or_b64 s[10:11], s[10:11], s[2:3]
	v_pk_mov_b32 v[6:7], v[8:9], v[8:9] op_sel:[0,1]
	s_branch .LBB21_174
.LBB21_177:
	s_or_b64 exec, exec, s[4:5]
	s_and_b64 s[0:1], vcc, s[34:35]
	s_and_saveexec_b64 s[2:3], s[0:1]
	s_cbranch_execz .LBB21_182
; %bb.178:
	v_mov_b32_e32 v0, 0
	global_load_dwordx2 v[4:5], v0, s[22:23] glc
	s_mov_b32 s0, 0
	s_brev_b32 s1, 1
	s_mov_b64 s[2:3], 0
	v_cmp_eq_f64_e32 vcc, 0, v[2:3]
                                        ; implicit-def: $sgpr4_sgpr5
                                        ; implicit-def: $sgpr6_sgpr7
	s_waitcnt vmcnt(0)
	v_cmp_eq_u64_e64 s[8:9], s[0:1], v[4:5]
	s_branch .LBB21_180
.LBB21_179:                             ;   in Loop: Header=BB21_180 Depth=1
	s_or_b64 exec, exec, s[10:11]
	s_and_b64 s[0:1], exec, s[4:5]
	s_or_b64 s[2:3], s[0:1], s[2:3]
	s_andn2_b64 s[0:1], s[8:9], exec
	s_and_b64 s[8:9], s[6:7], exec
	s_or_b64 s[8:9], s[0:1], s[8:9]
	s_andn2_b64 exec, exec, s[2:3]
	s_cbranch_execz .LBB21_182
.LBB21_180:                             ; =>This Inner Loop Header: Depth=1
	v_cmp_lt_f64_e64 s[0:1], v[4:5], v[2:3]
	s_and_b64 s[10:11], vcc, s[8:9]
	s_or_b64 s[0:1], s[0:1], s[10:11]
	s_andn2_b64 s[6:7], s[6:7], exec
	s_or_b64 s[4:5], s[4:5], exec
	s_and_saveexec_b64 s[10:11], s[0:1]
	s_cbranch_execz .LBB21_179
; %bb.181:                              ;   in Loop: Header=BB21_180 Depth=1
	global_atomic_cmpswap_x2 v[6:7], v0, v[2:5], s[22:23] glc
	s_andn2_b64 s[4:5], s[4:5], exec
	s_andn2_b64 s[6:7], s[6:7], exec
                                        ; implicit-def: $sgpr8_sgpr9
	s_waitcnt vmcnt(0)
	v_cmp_eq_u64_e64 s[0:1], v[6:7], v[4:5]
	v_cndmask_b32_e64 v5, v7, v5, s[0:1]
	v_cndmask_b32_e64 v4, v6, v4, s[0:1]
	s_and_b64 s[0:1], s[0:1], exec
	v_cmp_class_f64_e64 s[12:13], v[4:5], 32
	s_or_b64 s[4:5], s[4:5], s[0:1]
	s_and_b64 s[0:1], s[12:13], exec
	s_or_b64 s[6:7], s[6:7], s[0:1]
	v_pk_mov_b32 v[4:5], v[6:7], v[6:7] op_sel:[0,1]
	s_branch .LBB21_179
.LBB21_182:
	s_endpgm
	.section	.rodata,"a",@progbits
	.p2align	6, 0x0
	.amdhsa_kernel _ZN9rocsparseL6kernelILi1024ELi1EdiiEEvbbbT3_PS1_NS_15floating_traitsIT1_E6data_tES1_T2_PKS7_S9_PKS1_PKS4_21rocsparse_index_base_S9_S9_SB_PS4_SF_SE_S9_S9_SB_SF_SF_SE_SF_SF_PS6_SG_PKS6_
		.amdhsa_group_segment_fixed_size 12288
		.amdhsa_private_segment_fixed_size 0
		.amdhsa_kernarg_size 208
		.amdhsa_user_sgpr_count 6
		.amdhsa_user_sgpr_private_segment_buffer 1
		.amdhsa_user_sgpr_dispatch_ptr 0
		.amdhsa_user_sgpr_queue_ptr 0
		.amdhsa_user_sgpr_kernarg_segment_ptr 1
		.amdhsa_user_sgpr_dispatch_id 0
		.amdhsa_user_sgpr_flat_scratch_init 0
		.amdhsa_user_sgpr_kernarg_preload_length 0
		.amdhsa_user_sgpr_kernarg_preload_offset 0
		.amdhsa_user_sgpr_private_segment_size 0
		.amdhsa_uses_dynamic_stack 0
		.amdhsa_system_sgpr_private_segment_wavefront_offset 0
		.amdhsa_system_sgpr_workgroup_id_x 1
		.amdhsa_system_sgpr_workgroup_id_y 0
		.amdhsa_system_sgpr_workgroup_id_z 0
		.amdhsa_system_sgpr_workgroup_info 0
		.amdhsa_system_vgpr_workitem_id 0
		.amdhsa_next_free_vgpr 43
		.amdhsa_next_free_sgpr 96
		.amdhsa_accum_offset 44
		.amdhsa_reserve_vcc 1
		.amdhsa_reserve_flat_scratch 0
		.amdhsa_float_round_mode_32 0
		.amdhsa_float_round_mode_16_64 0
		.amdhsa_float_denorm_mode_32 3
		.amdhsa_float_denorm_mode_16_64 3
		.amdhsa_dx10_clamp 1
		.amdhsa_ieee_mode 1
		.amdhsa_fp16_overflow 0
		.amdhsa_tg_split 0
		.amdhsa_exception_fp_ieee_invalid_op 0
		.amdhsa_exception_fp_denorm_src 0
		.amdhsa_exception_fp_ieee_div_zero 0
		.amdhsa_exception_fp_ieee_overflow 0
		.amdhsa_exception_fp_ieee_underflow 0
		.amdhsa_exception_fp_ieee_inexact 0
		.amdhsa_exception_int_div_zero 0
	.end_amdhsa_kernel
	.section	.text._ZN9rocsparseL6kernelILi1024ELi1EdiiEEvbbbT3_PS1_NS_15floating_traitsIT1_E6data_tES1_T2_PKS7_S9_PKS1_PKS4_21rocsparse_index_base_S9_S9_SB_PS4_SF_SE_S9_S9_SB_SF_SF_SE_SF_SF_PS6_SG_PKS6_,"axG",@progbits,_ZN9rocsparseL6kernelILi1024ELi1EdiiEEvbbbT3_PS1_NS_15floating_traitsIT1_E6data_tES1_T2_PKS7_S9_PKS1_PKS4_21rocsparse_index_base_S9_S9_SB_PS4_SF_SE_S9_S9_SB_SF_SF_SE_SF_SF_PS6_SG_PKS6_,comdat
.Lfunc_end21:
	.size	_ZN9rocsparseL6kernelILi1024ELi1EdiiEEvbbbT3_PS1_NS_15floating_traitsIT1_E6data_tES1_T2_PKS7_S9_PKS1_PKS4_21rocsparse_index_base_S9_S9_SB_PS4_SF_SE_S9_S9_SB_SF_SF_SE_SF_SF_PS6_SG_PKS6_, .Lfunc_end21-_ZN9rocsparseL6kernelILi1024ELi1EdiiEEvbbbT3_PS1_NS_15floating_traitsIT1_E6data_tES1_T2_PKS7_S9_PKS1_PKS4_21rocsparse_index_base_S9_S9_SB_PS4_SF_SE_S9_S9_SB_SF_SF_SE_SF_SF_PS6_SG_PKS6_
                                        ; -- End function
	.section	.AMDGPU.csdata,"",@progbits
; Kernel info:
; codeLenInByte = 6012
; NumSgprs: 100
; NumVgprs: 43
; NumAgprs: 0
; TotalNumVgprs: 43
; ScratchSize: 0
; MemoryBound: 1
; FloatMode: 240
; IeeeMode: 1
; LDSByteSize: 12288 bytes/workgroup (compile time only)
; SGPRBlocks: 12
; VGPRBlocks: 5
; NumSGPRsForWavesPerEU: 100
; NumVGPRsForWavesPerEU: 43
; AccumOffset: 44
; Occupancy: 8
; WaveLimiterHint : 1
; COMPUTE_PGM_RSRC2:SCRATCH_EN: 0
; COMPUTE_PGM_RSRC2:USER_SGPR: 6
; COMPUTE_PGM_RSRC2:TRAP_HANDLER: 0
; COMPUTE_PGM_RSRC2:TGID_X_EN: 1
; COMPUTE_PGM_RSRC2:TGID_Y_EN: 0
; COMPUTE_PGM_RSRC2:TGID_Z_EN: 0
; COMPUTE_PGM_RSRC2:TIDIG_COMP_CNT: 0
; COMPUTE_PGM_RSRC3_GFX90A:ACCUM_OFFSET: 10
; COMPUTE_PGM_RSRC3_GFX90A:TG_SPLIT: 0
	.section	.text._ZN9rocsparseL6kernelILi1024ELi2EdiiEEvbbbT3_PS1_NS_15floating_traitsIT1_E6data_tES1_T2_PKS7_S9_PKS1_PKS4_21rocsparse_index_base_S9_S9_SB_PS4_SF_SE_S9_S9_SB_SF_SF_SE_SF_SF_PS6_SG_PKS6_,"axG",@progbits,_ZN9rocsparseL6kernelILi1024ELi2EdiiEEvbbbT3_PS1_NS_15floating_traitsIT1_E6data_tES1_T2_PKS7_S9_PKS1_PKS4_21rocsparse_index_base_S9_S9_SB_PS4_SF_SE_S9_S9_SB_SF_SF_SE_SF_SF_PS6_SG_PKS6_,comdat
	.globl	_ZN9rocsparseL6kernelILi1024ELi2EdiiEEvbbbT3_PS1_NS_15floating_traitsIT1_E6data_tES1_T2_PKS7_S9_PKS1_PKS4_21rocsparse_index_base_S9_S9_SB_PS4_SF_SE_S9_S9_SB_SF_SF_SE_SF_SF_PS6_SG_PKS6_ ; -- Begin function _ZN9rocsparseL6kernelILi1024ELi2EdiiEEvbbbT3_PS1_NS_15floating_traitsIT1_E6data_tES1_T2_PKS7_S9_PKS1_PKS4_21rocsparse_index_base_S9_S9_SB_PS4_SF_SE_S9_S9_SB_SF_SF_SE_SF_SF_PS6_SG_PKS6_
	.p2align	8
	.type	_ZN9rocsparseL6kernelILi1024ELi2EdiiEEvbbbT3_PS1_NS_15floating_traitsIT1_E6data_tES1_T2_PKS7_S9_PKS1_PKS4_21rocsparse_index_base_S9_S9_SB_PS4_SF_SE_S9_S9_SB_SF_SF_SE_SF_SF_PS6_SG_PKS6_,@function
_ZN9rocsparseL6kernelILi1024ELi2EdiiEEvbbbT3_PS1_NS_15floating_traitsIT1_E6data_tES1_T2_PKS7_S9_PKS1_PKS4_21rocsparse_index_base_S9_S9_SB_PS4_SF_SE_S9_S9_SB_SF_SF_SE_SF_SF_PS6_SG_PKS6_: ; @_ZN9rocsparseL6kernelILi1024ELi2EdiiEEvbbbT3_PS1_NS_15floating_traitsIT1_E6data_tES1_T2_PKS7_S9_PKS1_PKS4_21rocsparse_index_base_S9_S9_SB_PS4_SF_SE_S9_S9_SB_SF_SF_SE_SF_SF_PS6_SG_PKS6_
; %bb.0:
	s_load_dword s0, s[4:5], 0x0
	s_load_dwordx2 s[2:3], s[4:5], 0x0
	s_load_dwordx4 s[20:23], s[4:5], 0xb8
	s_load_dwordx4 s[8:11], s[4:5], 0x8
                                        ; implicit-def: $vgpr48 : SGPR spill to VGPR lane
	s_load_dword s33, s[4:5], 0x18
	s_waitcnt lgkmcnt(0)
	s_bitcmp1_b32 s0, 0
	s_cselect_b64 s[70:71], -1, 0
	s_bitcmp1_b32 s0, 8
	v_writelane_b32 v48, s8, 0
	v_writelane_b32 v48, s9, 1
	s_cselect_b64 s[68:69], -1, 0
	s_bitcmp1_b32 s2, 16
	v_writelane_b32 v48, s10, 2
	s_cselect_b64 s[34:35], -1, 0
	v_lshrrev_b32_e32 v1, 1, v0
	s_lshl_b32 s2, s6, 10
	v_writelane_b32 v48, s11, 3
	v_or_b32_e32 v31, s2, v1
	s_mov_b32 s0, 0
	v_mov_b32_e32 v6, 0
	s_mov_b32 s1, s3
	s_cmp_gt_i32 s3, 0
	v_pk_mov_b32 v[2:3], 0, 0
	v_and_b32_e32 v30, 1, v0
	v_lshlrev_b32_e32 v32, 3, v0
	v_mov_b32_e32 v7, v6
	v_cmp_gt_i32_e32 vcc, s33, v31
	v_writelane_b32 v48, s0, 4
	s_cselect_b64 s[6:7], -1, 0
	v_pk_mov_b32 v[4:5], v[2:3], v[2:3] op_sel:[0,1]
	ds_write_b64 v32, v[6:7]
	s_waitcnt lgkmcnt(0)
	s_barrier
	v_writelane_b32 v48, s1, 5
	s_and_b64 s[6:7], s[6:7], vcc
	s_mov_b64 s[8:9], exec
	v_writelane_b32 v48, s8, 6
	s_and_b64 s[6:7], s[8:9], s[6:7]
	v_writelane_b32 v48, s9, 7
	s_mov_b64 exec, s[6:7]
	s_cbranch_execz .LBB22_152
; %bb.1:
	s_load_dwordx2 s[6:7], s[4:5], 0xc8
	v_writelane_b32 v48, s20, 8
	v_writelane_b32 v48, s21, 9
	;; [unrolled: 1-line block ×4, first 2 shown]
	s_waitcnt lgkmcnt(0)
	v_writelane_b32 v48, s6, 12
	v_writelane_b32 v48, s7, 13
	s_xor_b64 s[6:7], s[68:69], -1
	v_writelane_b32 v48, s6, 14
	s_load_dwordx4 s[64:67], s[4:5], 0xa8
	s_load_dwordx8 s[36:43], s[4:5], 0x78
	s_load_dwordx8 s[44:51], s[4:5], 0x48
	;; [unrolled: 1-line block ×3, first 2 shown]
	v_writelane_b32 v48, s7, 15
	s_load_dword s1, s[4:5], 0x40
	s_load_dwordx2 s[80:81], s[4:5], 0x68
	s_load_dword s6, s[4:5], 0x70
	s_load_dwordx2 s[82:83], s[4:5], 0x98
	s_load_dword s7, s[4:5], 0xa0
	s_add_i32 s4, s2, 0x400
	v_cmp_gt_u32_e64 s[2:3], s4, v31
	v_writelane_b32 v48, s2, 16
	v_writelane_b32 v48, s3, 17
	v_cmp_ne_u32_e64 s[8:9], 0, v30
	v_writelane_b32 v48, s8, 18
	s_movk_i32 s5, 0x100
	v_writelane_b32 v48, s9, 19
	v_cmp_gt_u32_e64 s[8:9], s5, v0
	v_writelane_b32 v48, s8, 20
	s_and_b64 s[24:25], s[68:69], s[34:35]
	v_writelane_b32 v48, s9, 21
	s_movk_i32 s5, 0x80
	s_xor_b64 s[24:25], s[24:25], -1
	v_pk_mov_b32 v[4:5], 0, 0
	s_waitcnt lgkmcnt(0)
	v_subrev_u32_e32 v33, s1, v30
	v_cmp_eq_u32_e64 s[2:3], 0, v30
	v_lshlrev_b32_e32 v34, 3, v1
	v_cmp_gt_u32_e64 s[8:9], s5, v0
	v_cmp_gt_u32_e64 s[10:11], 64, v0
	;; [unrolled: 1-line block ×7, first 2 shown]
	v_cmp_eq_u32_e64 s[22:23], 0, v0
	v_subrev_u32_e32 v35, s6, v30
	v_subrev_u32_e32 v36, s7, v30
	v_writelane_b32 v48, s24, 22
	s_mov_b64 s[84:85], 0
	s_movk_i32 s5, 0x1f8
	v_mov_b32_e32 v7, 0
	v_pk_mov_b32 v[2:3], v[4:5], v[4:5] op_sel:[0,1]
	v_writelane_b32 v48, s25, 23
	s_branch .LBB22_3
.LBB22_2:                               ;   in Loop: Header=BB22_3 Depth=1
	s_or_b64 exec, exec, s[28:29]
	s_and_b64 s[24:25], exec, s[26:27]
	s_or_b64 s[84:85], s[24:25], s[84:85]
	s_andn2_b64 exec, exec, s[84:85]
	s_cbranch_execz .LBB22_151
.LBB22_3:                               ; =>This Loop Header: Depth=1
                                        ;     Child Loop BB22_7 Depth 2
                                        ;       Child Loop BB22_12 Depth 3
                                        ;         Child Loop BB22_16 Depth 4
                                        ;         Child Loop BB22_37 Depth 4
	;; [unrolled: 1-line block ×5, first 2 shown]
                                        ;     Child Loop BB22_130 Depth 2
                                        ;       Child Loop BB22_133 Depth 3
                                        ;       Child Loop BB22_136 Depth 3
	s_mov_b32 s24, 0
	v_cndmask_b32_e64 v5, v5, 0, s[68:69]
	v_cndmask_b32_e64 v4, v4, 0, s[68:69]
	;; [unrolled: 1-line block ×4, first 2 shown]
	s_mov_b64 s[88:89], -1
	s_branch .LBB22_7
.LBB22_4:                               ;   in Loop: Header=BB22_7 Depth=2
	s_or_b64 exec, exec, s[94:95]
.LBB22_5:                               ;   in Loop: Header=BB22_7 Depth=2
	s_or_b64 exec, exec, s[92:93]
.LBB22_6:                               ;   in Loop: Header=BB22_7 Depth=2
	s_or_b64 exec, exec, s[90:91]
	s_xor_b64 s[26:27], s[88:89], -1
	s_movk_i32 s24, 0x200
	s_mov_b64 s[88:89], 0
	s_and_b64 vcc, exec, s[26:27]
	s_cbranch_vccnz .LBB22_83
.LBB22_7:                               ;   Parent Loop BB22_3 Depth=1
                                        ; =>  This Loop Header: Depth=2
                                        ;       Child Loop BB22_12 Depth 3
                                        ;         Child Loop BB22_16 Depth 4
                                        ;         Child Loop BB22_37 Depth 4
	;; [unrolled: 1-line block ×5, first 2 shown]
	v_or_b32_e32 v8, s24, v31
	v_cmp_gt_i32_e32 vcc, s33, v8
	s_and_saveexec_b64 s[90:91], vcc
	s_cbranch_execz .LBB22_6
; %bb.8:                                ;   in Loop: Header=BB22_7 Depth=2
	v_ashrrev_i32_e32 v9, 31, v8
	v_lshlrev_b64 v[12:13], 2, v[8:9]
	v_mov_b32_e32 v6, s53
	v_add_co_u32_e32 v10, vcc, s52, v12
	v_addc_co_u32_e32 v11, vcc, v6, v13, vcc
	global_load_dword v6, v[10:11], off
	v_mov_b32_e32 v9, s55
	v_add_co_u32_e32 v10, vcc, s54, v12
	v_addc_co_u32_e32 v11, vcc, v9, v13, vcc
	global_load_dword v9, v[10:11], off
	s_waitcnt vmcnt(1)
	v_add_u32_e32 v10, v33, v6
	s_waitcnt vmcnt(0)
	v_subrev_u32_e32 v9, s1, v9
	v_cmp_lt_i32_e32 vcc, v10, v9
	s_and_saveexec_b64 s[92:93], vcc
	s_cbranch_execz .LBB22_5
; %bb.9:                                ;   in Loop: Header=BB22_7 Depth=2
	v_mov_b32_e32 v6, s47
	v_add_co_u32_e32 v14, vcc, s46, v12
	v_addc_co_u32_e32 v15, vcc, v6, v13, vcc
	v_mov_b32_e32 v6, s45
	v_add_co_u32_e32 v12, vcc, s44, v12
	v_addc_co_u32_e32 v13, vcc, v6, v13, vcc
	global_load_dword v6, v[12:13], off
	global_load_dword v11, v[14:15], off
	v_mov_b32_e32 v18, s49
	v_mov_b32_e32 v19, s51
	s_mov_b64 s[94:95], 0
	s_waitcnt vmcnt(1)
	v_subrev_u32_e32 v12, s6, v6
	v_ashrrev_i32_e32 v13, 31, v12
	v_lshlrev_b64 v[14:15], 2, v[12:13]
	v_lshlrev_b64 v[16:17], 3, v[12:13]
	v_add_co_u32_e32 v13, vcc, s48, v14
	v_addc_co_u32_e32 v38, vcc, v18, v15, vcc
	s_waitcnt vmcnt(0)
	v_sub_u32_e32 v37, v11, v6
	v_add_co_u32_e32 v39, vcc, s50, v16
	v_cmp_lt_i32_e64 s[24:25], 0, v37
	v_addc_co_u32_e32 v40, vcc, v19, v17, vcc
	s_branch .LBB22_12
.LBB22_10:                              ;   in Loop: Header=BB22_12 Depth=3
	s_or_b64 exec, exec, s[28:29]
.LBB22_11:                              ;   in Loop: Header=BB22_12 Depth=3
	s_or_b64 exec, exec, s[26:27]
	v_add_u32_e32 v10, 2, v10
	v_cmp_ge_i32_e32 vcc, v10, v9
	s_or_b64 s[94:95], vcc, s[94:95]
	s_andn2_b64 exec, exec, s[94:95]
	s_cbranch_execz .LBB22_4
.LBB22_12:                              ;   Parent Loop BB22_3 Depth=1
                                        ;     Parent Loop BB22_7 Depth=2
                                        ; =>    This Loop Header: Depth=3
                                        ;         Child Loop BB22_16 Depth 4
                                        ;         Child Loop BB22_37 Depth 4
	;; [unrolled: 1-line block ×5, first 2 shown]
	v_ashrrev_i32_e32 v11, 31, v10
	v_lshlrev_b64 v[14:15], 2, v[10:11]
	v_mov_b32_e32 v6, s57
	v_add_co_u32_e32 v14, vcc, s56, v14
	v_addc_co_u32_e32 v15, vcc, v6, v15, vcc
	global_load_dword v6, v[14:15], off
	v_mov_b32_e32 v19, s37
	v_mov_b32_e32 v20, s39
	;; [unrolled: 1-line block ×3, first 2 shown]
	s_waitcnt vmcnt(0)
	v_subrev_u32_e32 v14, s1, v6
	v_ashrrev_i32_e32 v15, 31, v14
	v_lshlrev_b64 v[16:17], 2, v[14:15]
	v_add_co_u32_e32 v18, vcc, s36, v16
	v_addc_co_u32_e32 v19, vcc, v19, v17, vcc
	v_add_co_u32_e32 v16, vcc, s38, v16
	v_addc_co_u32_e32 v17, vcc, v20, v17, vcc
	global_load_dword v6, v[18:19], off
	s_nop 0
	global_load_dword v18, v[16:17], off
	v_pk_mov_b32 v[16:17], 0, 0
	s_waitcnt vmcnt(1)
	v_subrev_u32_e32 v20, s7, v6
	s_waitcnt vmcnt(0)
	v_sub_u32_e32 v41, v18, v6
	v_mov_b32_e32 v6, 0
	s_and_saveexec_b64 s[26:27], s[24:25]
	s_cbranch_execz .LBB22_20
; %bb.13:                               ;   in Loop: Header=BB22_12 Depth=3
	v_ashrrev_i32_e32 v21, 31, v20
	v_lshlrev_b64 v[16:17], 2, v[20:21]
	v_mov_b32_e32 v6, s41
	v_add_co_u32_e32 v18, vcc, s40, v16
	v_addc_co_u32_e32 v19, vcc, v6, v17, vcc
	v_lshlrev_b64 v[16:17], 3, v[20:21]
	v_mov_b32_e32 v6, s43
	v_add_co_u32_e32 v21, vcc, s42, v16
	v_addc_co_u32_e32 v24, vcc, v6, v17, vcc
	v_mov_b32_e32 v6, 0
	s_mov_b64 s[60:61], 0
	v_pk_mov_b32 v[16:17], 0, 0
	v_mov_b32_e32 v22, v6
                                        ; implicit-def: $sgpr62_sgpr63
	s_branch .LBB22_16
.LBB22_14:                              ;   in Loop: Header=BB22_16 Depth=4
	s_or_b64 exec, exec, s[30:31]
	v_cmp_le_i32_e32 vcc, v25, v26
	v_addc_co_u32_e32 v6, vcc, 0, v6, vcc
	v_cmp_ge_i32_e32 vcc, v25, v26
	v_addc_co_u32_e32 v22, vcc, 0, v22, vcc
	v_cmp_ge_i32_e32 vcc, v6, v37
	s_andn2_b64 s[30:31], s[62:63], exec
	s_and_b64 s[62:63], vcc, exec
	s_or_b64 s[62:63], s[30:31], s[62:63]
.LBB22_15:                              ;   in Loop: Header=BB22_16 Depth=4
	s_or_b64 exec, exec, s[28:29]
	s_and_b64 s[28:29], exec, s[62:63]
	s_or_b64 s[60:61], s[28:29], s[60:61]
	s_andn2_b64 exec, exec, s[60:61]
	s_cbranch_execz .LBB22_19
.LBB22_16:                              ;   Parent Loop BB22_3 Depth=1
                                        ;     Parent Loop BB22_7 Depth=2
                                        ;       Parent Loop BB22_12 Depth=3
                                        ; =>      This Inner Loop Header: Depth=4
	v_cmp_lt_i32_e32 vcc, v22, v41
	s_or_b64 s[62:63], s[62:63], exec
	s_and_saveexec_b64 s[28:29], vcc
	s_cbranch_execz .LBB22_15
; %bb.17:                               ;   in Loop: Header=BB22_16 Depth=4
	v_lshlrev_b64 v[26:27], 2, v[6:7]
	v_add_co_u32_e32 v26, vcc, v13, v26
	v_addc_co_u32_e32 v27, vcc, v38, v27, vcc
	v_mov_b32_e32 v23, v7
	global_load_dword v25, v[26:27], off
	v_lshlrev_b64 v[26:27], 2, v[22:23]
	v_add_co_u32_e32 v26, vcc, v18, v26
	v_addc_co_u32_e32 v27, vcc, v19, v27, vcc
	global_load_dword v26, v[26:27], off
	s_waitcnt vmcnt(1)
	v_subrev_u32_e32 v25, s6, v25
	s_waitcnt vmcnt(0)
	v_subrev_u32_e32 v26, s7, v26
	v_cmp_eq_u32_e32 vcc, v25, v26
	s_and_saveexec_b64 s[30:31], vcc
	s_cbranch_execz .LBB22_14
; %bb.18:                               ;   in Loop: Header=BB22_16 Depth=4
	v_lshlrev_b64 v[28:29], 3, v[6:7]
	v_add_co_u32_e32 v28, vcc, v39, v28
	v_addc_co_u32_e32 v29, vcc, v40, v29, vcc
	v_lshlrev_b64 v[42:43], 3, v[22:23]
	v_add_co_u32_e32 v42, vcc, v21, v42
	v_addc_co_u32_e32 v43, vcc, v24, v43, vcc
	global_load_dwordx2 v[28:29], v[28:29], off
	s_nop 0
	global_load_dwordx2 v[42:43], v[42:43], off
	s_waitcnt vmcnt(0)
	v_fmac_f64_e32 v[16:17], v[28:29], v[42:43]
	s_branch .LBB22_14
.LBB22_19:                              ;   in Loop: Header=BB22_12 Depth=3
	s_or_b64 exec, exec, s[60:61]
.LBB22_20:                              ;   in Loop: Header=BB22_12 Depth=3
	s_or_b64 exec, exec, s[26:27]
	v_lshlrev_b64 v[18:19], 3, v[10:11]
	v_mov_b32_e32 v11, s59
	v_add_co_u32_e32 v18, vcc, s58, v18
	v_addc_co_u32_e32 v19, vcc, v11, v19, vcc
	global_load_dwordx2 v[18:19], v[18:19], off
	v_cmp_le_i32_e64 s[26:27], v8, v14
	v_cmp_gt_i32_e32 vcc, v8, v14
	s_waitcnt vmcnt(0)
	v_add_f64 v[24:25], v[18:19], -v[16:17]
	s_and_saveexec_b64 s[28:29], vcc
	s_cbranch_execnz .LBB22_23
; %bb.21:                               ;   in Loop: Header=BB22_12 Depth=3
	s_or_b64 exec, exec, s[28:29]
	v_cmp_class_f64_e64 s[74:75], v[24:25], s5
	s_and_saveexec_b64 s[78:79], s[74:75]
	s_cbranch_execnz .LBB22_26
.LBB22_22:                              ;   in Loop: Header=BB22_12 Depth=3
	s_or_b64 exec, exec, s[78:79]
	s_and_b64 s[28:29], s[74:75], s[34:35]
	s_and_saveexec_b64 s[26:27], s[28:29]
	s_cbranch_execz .LBB22_11
	s_branch .LBB22_61
.LBB22_23:                              ;   in Loop: Header=BB22_12 Depth=3
	v_lshlrev_b64 v[26:27], 3, v[14:15]
	v_mov_b32_e32 v11, s65
	v_add_co_u32_e32 v26, vcc, s64, v26
	v_addc_co_u32_e32 v27, vcc, v11, v27, vcc
	global_load_dwordx2 v[26:27], v[26:27], off
	v_pk_mov_b32 v[28:29], 0, 0
	s_waitcnt vmcnt(0)
	v_cmp_lg_f64_e32 vcc, 0, v[26:27]
	s_and_saveexec_b64 s[30:31], vcc
; %bb.24:                               ;   in Loop: Header=BB22_12 Depth=3
	v_div_scale_f64 v[28:29], s[60:61], v[26:27], v[26:27], v[24:25]
	v_rcp_f64_e32 v[42:43], v[28:29]
	v_div_scale_f64 v[44:45], vcc, v[24:25], v[26:27], v[24:25]
	v_fma_f64 v[46:47], -v[28:29], v[42:43], 1.0
	v_fmac_f64_e32 v[42:43], v[42:43], v[46:47]
	v_fma_f64 v[46:47], -v[28:29], v[42:43], 1.0
	v_fmac_f64_e32 v[42:43], v[42:43], v[46:47]
	v_mul_f64 v[46:47], v[44:45], v[42:43]
	v_fma_f64 v[28:29], -v[28:29], v[46:47], v[44:45]
	v_div_fmas_f64 v[28:29], v[28:29], v[42:43], v[46:47]
	v_div_fixup_f64 v[28:29], v[28:29], v[26:27], v[24:25]
; %bb.25:                               ;   in Loop: Header=BB22_12 Depth=3
	s_or_b64 exec, exec, s[30:31]
	v_pk_mov_b32 v[24:25], v[28:29], v[28:29] op_sel:[0,1]
	s_or_b64 exec, exec, s[28:29]
	v_cmp_class_f64_e64 s[74:75], v[24:25], s5
	s_and_saveexec_b64 s[78:79], s[74:75]
	s_cbranch_execz .LBB22_22
.LBB22_26:                              ;   in Loop: Header=BB22_12 Depth=3
	s_and_saveexec_b64 s[28:29], s[26:27]
	s_xor_b64 s[26:27], exec, s[28:29]
	s_cbranch_execz .LBB22_47
; %bb.27:                               ;   in Loop: Header=BB22_12 Depth=3
	v_cmp_ge_i32_e32 vcc, v8, v14
	s_and_saveexec_b64 s[28:29], vcc
	s_xor_b64 s[28:29], exec, s[28:29]
	s_cbranch_execz .LBB22_33
; %bb.28:                               ;   in Loop: Header=BB22_12 Depth=3
	v_lshlrev_b64 v[26:27], 3, v[14:15]
	v_mov_b32_e32 v11, s67
	v_add_co_u32_e32 v28, vcc, s66, v26
	v_addc_co_u32_e32 v29, vcc, v11, v27, vcc
	s_andn2_b64 vcc, exec, s[68:69]
	global_store_dwordx2 v[28:29], v[24:25], off
	s_cbranch_vccnz .LBB22_32
; %bb.29:                               ;   in Loop: Header=BB22_12 Depth=3
	v_mov_b32_e32 v11, s65
	v_add_co_u32_e32 v26, vcc, s64, v26
	v_addc_co_u32_e32 v27, vcc, v11, v27, vcc
	global_load_dwordx2 v[26:27], v[26:27], off
	s_waitcnt vmcnt(0)
	v_add_f64 v[24:25], v[26:27], -v[24:25]
	v_cmp_class_f64_e64 s[60:61], v[24:25], s5
	s_and_saveexec_b64 s[30:31], s[60:61]
; %bb.30:                               ;   in Loop: Header=BB22_12 Depth=3
	v_and_b32_e32 v11, 0x7fffffff, v25
	v_cmp_lt_f64_e64 vcc, v[4:5], |v[24:25]|
	v_cndmask_b32_e32 v5, v5, v11, vcc
	v_cndmask_b32_e32 v4, v4, v24, vcc
; %bb.31:                               ;   in Loop: Header=BB22_12 Depth=3
	s_or_b64 exec, exec, s[30:31]
.LBB22_32:                              ;   in Loop: Header=BB22_12 Depth=3
                                        ; implicit-def: $vgpr24_vgpr25
.LBB22_33:                              ;   in Loop: Header=BB22_12 Depth=3
	s_andn2_saveexec_b64 s[60:61], s[28:29]
	s_cbranch_execz .LBB22_46
; %bb.34:                               ;   in Loop: Header=BB22_12 Depth=3
	v_cmp_lt_i32_e32 vcc, v22, v41
	s_and_saveexec_b64 s[62:63], vcc
	s_cbranch_execz .LBB22_45
; %bb.35:                               ;   in Loop: Header=BB22_12 Depth=3
	s_mov_b64 s[28:29], 0
	v_mov_b32_e32 v11, v22
                                        ; implicit-def: $sgpr30_sgpr31
                                        ; implicit-def: $sgpr86_sgpr87
                                        ; implicit-def: $sgpr76_sgpr77
	s_branch .LBB22_37
.LBB22_36:                              ;   in Loop: Header=BB22_37 Depth=4
	s_or_b64 exec, exec, s[72:73]
	s_and_b64 s[72:73], exec, s[86:87]
	s_or_b64 s[28:29], s[72:73], s[28:29]
	s_andn2_b64 s[30:31], s[30:31], exec
	s_and_b64 s[72:73], s[76:77], exec
	s_or_b64 s[30:31], s[30:31], s[72:73]
	s_andn2_b64 exec, exec, s[28:29]
	s_cbranch_execz .LBB22_39
.LBB22_37:                              ;   Parent Loop BB22_3 Depth=1
                                        ;     Parent Loop BB22_7 Depth=2
                                        ;       Parent Loop BB22_12 Depth=3
                                        ; =>      This Inner Loop Header: Depth=4
	v_add_u32_e32 v26, v20, v11
	v_ashrrev_i32_e32 v27, 31, v26
	v_lshlrev_b64 v[28:29], 2, v[26:27]
	v_mov_b32_e32 v21, s41
	v_add_co_u32_e32 v28, vcc, s40, v28
	v_addc_co_u32_e32 v29, vcc, v21, v29, vcc
	global_load_dword v21, v[28:29], off
	s_or_b64 s[76:77], s[76:77], exec
	s_or_b64 s[86:87], s[86:87], exec
	s_waitcnt vmcnt(0)
	v_subrev_u32_e32 v21, s7, v21
	v_cmp_ne_u32_e32 vcc, v21, v8
	s_and_saveexec_b64 s[72:73], vcc
	s_cbranch_execz .LBB22_36
; %bb.38:                               ;   in Loop: Header=BB22_37 Depth=4
	v_add_u32_e32 v11, 1, v11
	v_cmp_ge_i32_e32 vcc, v11, v41
	s_andn2_b64 s[86:87], s[86:87], exec
	s_and_b64 vcc, vcc, exec
	s_andn2_b64 s[76:77], s[76:77], exec
	s_or_b64 s[86:87], s[86:87], vcc
	s_branch .LBB22_36
.LBB22_39:                              ;   in Loop: Header=BB22_12 Depth=3
	s_or_b64 exec, exec, s[28:29]
	s_and_saveexec_b64 s[28:29], s[30:31]
	s_xor_b64 s[28:29], exec, s[28:29]
	s_cbranch_execz .LBB22_44
; %bb.40:                               ;   in Loop: Header=BB22_12 Depth=3
	v_lshlrev_b64 v[26:27], 3, v[26:27]
	v_mov_b32_e32 v11, s83
	v_add_co_u32_e32 v28, vcc, s82, v26
	v_addc_co_u32_e32 v29, vcc, v11, v27, vcc
	s_andn2_b64 vcc, exec, s[68:69]
	global_store_dwordx2 v[28:29], v[24:25], off
	s_cbranch_vccnz .LBB22_44
; %bb.41:                               ;   in Loop: Header=BB22_12 Depth=3
	v_mov_b32_e32 v11, s43
	v_add_co_u32_e32 v26, vcc, s42, v26
	v_addc_co_u32_e32 v27, vcc, v11, v27, vcc
	global_load_dwordx2 v[26:27], v[26:27], off
	s_waitcnt vmcnt(0)
	v_add_f64 v[24:25], v[26:27], -v[24:25]
	v_cmp_class_f64_e64 s[72:73], v[24:25], s5
	s_and_saveexec_b64 s[30:31], s[72:73]
; %bb.42:                               ;   in Loop: Header=BB22_12 Depth=3
	v_and_b32_e32 v11, 0x7fffffff, v25
	v_cmp_lt_f64_e64 vcc, v[4:5], |v[24:25]|
	v_cndmask_b32_e32 v5, v5, v11, vcc
	v_cndmask_b32_e32 v4, v4, v24, vcc
; %bb.43:                               ;   in Loop: Header=BB22_12 Depth=3
	s_or_b64 exec, exec, s[30:31]
.LBB22_44:                              ;   in Loop: Header=BB22_12 Depth=3
	s_or_b64 exec, exec, s[28:29]
.LBB22_45:                              ;   in Loop: Header=BB22_12 Depth=3
	s_or_b64 exec, exec, s[62:63]
.LBB22_46:                              ;   in Loop: Header=BB22_12 Depth=3
	s_or_b64 exec, exec, s[60:61]
                                        ; implicit-def: $vgpr24_vgpr25
.LBB22_47:                              ;   in Loop: Header=BB22_12 Depth=3
	s_andn2_saveexec_b64 s[26:27], s[26:27]
	s_cbranch_execz .LBB22_60
; %bb.48:                               ;   in Loop: Header=BB22_12 Depth=3
	v_cmp_lt_i32_e32 vcc, v6, v37
	s_and_saveexec_b64 s[60:61], vcc
	s_cbranch_execz .LBB22_59
; %bb.49:                               ;   in Loop: Header=BB22_12 Depth=3
	s_mov_b64 s[62:63], 0
	v_mov_b32_e32 v11, v6
                                        ; implicit-def: $sgpr28_sgpr29
                                        ; implicit-def: $sgpr76_sgpr77
                                        ; implicit-def: $sgpr30_sgpr31
	s_branch .LBB22_51
.LBB22_50:                              ;   in Loop: Header=BB22_51 Depth=4
	s_or_b64 exec, exec, s[86:87]
	s_and_b64 s[72:73], exec, s[76:77]
	s_or_b64 s[62:63], s[72:73], s[62:63]
	s_andn2_b64 s[28:29], s[28:29], exec
	s_and_b64 s[72:73], s[30:31], exec
	s_or_b64 s[28:29], s[28:29], s[72:73]
	s_andn2_b64 exec, exec, s[62:63]
	s_cbranch_execz .LBB22_53
.LBB22_51:                              ;   Parent Loop BB22_3 Depth=1
                                        ;     Parent Loop BB22_7 Depth=2
                                        ;       Parent Loop BB22_12 Depth=3
                                        ; =>      This Inner Loop Header: Depth=4
	v_add_u32_e32 v26, v12, v11
	v_ashrrev_i32_e32 v27, 31, v26
	v_lshlrev_b64 v[28:29], 2, v[26:27]
	v_mov_b32_e32 v21, s49
	v_add_co_u32_e32 v28, vcc, s48, v28
	v_addc_co_u32_e32 v29, vcc, v21, v29, vcc
	global_load_dword v21, v[28:29], off
	s_or_b64 s[30:31], s[30:31], exec
	s_or_b64 s[76:77], s[76:77], exec
	s_waitcnt vmcnt(0)
	v_subrev_u32_e32 v21, s6, v21
	v_cmp_ne_u32_e32 vcc, v21, v14
	s_and_saveexec_b64 s[86:87], vcc
	s_cbranch_execz .LBB22_50
; %bb.52:                               ;   in Loop: Header=BB22_51 Depth=4
	v_add_u32_e32 v11, 1, v11
	v_cmp_ge_i32_e32 vcc, v11, v37
	s_andn2_b64 s[72:73], s[76:77], exec
	s_and_b64 s[76:77], vcc, exec
	s_andn2_b64 s[30:31], s[30:31], exec
	s_or_b64 s[76:77], s[72:73], s[76:77]
	s_branch .LBB22_50
.LBB22_53:                              ;   in Loop: Header=BB22_12 Depth=3
	s_or_b64 exec, exec, s[62:63]
	s_and_saveexec_b64 s[30:31], s[28:29]
	s_xor_b64 s[28:29], exec, s[30:31]
	s_cbranch_execz .LBB22_58
; %bb.54:                               ;   in Loop: Header=BB22_12 Depth=3
	v_lshlrev_b64 v[26:27], 3, v[26:27]
	v_mov_b32_e32 v11, s81
	v_add_co_u32_e32 v28, vcc, s80, v26
	v_addc_co_u32_e32 v29, vcc, v11, v27, vcc
	s_andn2_b64 vcc, exec, s[68:69]
	global_store_dwordx2 v[28:29], v[24:25], off
	s_cbranch_vccnz .LBB22_58
; %bb.55:                               ;   in Loop: Header=BB22_12 Depth=3
	v_mov_b32_e32 v11, s51
	v_add_co_u32_e32 v26, vcc, s50, v26
	v_addc_co_u32_e32 v27, vcc, v11, v27, vcc
	global_load_dwordx2 v[26:27], v[26:27], off
	s_waitcnt vmcnt(0)
	v_add_f64 v[24:25], v[26:27], -v[24:25]
	v_cmp_class_f64_e64 s[62:63], v[24:25], s5
	s_and_saveexec_b64 s[30:31], s[62:63]
; %bb.56:                               ;   in Loop: Header=BB22_12 Depth=3
	v_and_b32_e32 v11, 0x7fffffff, v25
	v_cmp_lt_f64_e64 vcc, v[4:5], |v[24:25]|
	v_cndmask_b32_e32 v5, v5, v11, vcc
	v_cndmask_b32_e32 v4, v4, v24, vcc
; %bb.57:                               ;   in Loop: Header=BB22_12 Depth=3
	s_or_b64 exec, exec, s[30:31]
.LBB22_58:                              ;   in Loop: Header=BB22_12 Depth=3
	s_or_b64 exec, exec, s[28:29]
.LBB22_59:                              ;   in Loop: Header=BB22_12 Depth=3
	s_or_b64 exec, exec, s[60:61]
.LBB22_60:                              ;   in Loop: Header=BB22_12 Depth=3
	s_or_b64 exec, exec, s[26:27]
	s_or_b64 exec, exec, s[78:79]
	s_and_b64 s[28:29], s[74:75], s[34:35]
	s_and_saveexec_b64 s[26:27], s[28:29]
	s_cbranch_execz .LBB22_11
.LBB22_61:                              ;   in Loop: Header=BB22_12 Depth=3
	v_cmp_ge_i32_e32 vcc, v22, v41
	s_and_saveexec_b64 s[28:29], vcc
	s_xor_b64 s[60:61], exec, s[28:29]
	s_cbranch_execnz .LBB22_67
; %bb.62:                               ;   in Loop: Header=BB22_12 Depth=3
	s_andn2_saveexec_b64 s[60:61], s[60:61]
	s_cbranch_execnz .LBB22_76
.LBB22_63:                              ;   in Loop: Header=BB22_12 Depth=3
	s_or_b64 exec, exec, s[60:61]
	v_cmp_eq_u32_e32 vcc, v8, v14
	s_and_saveexec_b64 s[28:29], vcc
	s_cbranch_execz .LBB22_65
.LBB22_64:                              ;   in Loop: Header=BB22_12 Depth=3
	v_lshlrev_b64 v[14:15], 3, v[14:15]
	v_mov_b32_e32 v6, s65
	v_add_co_u32_e32 v14, vcc, s64, v14
	v_addc_co_u32_e32 v15, vcc, v6, v15, vcc
	global_load_dwordx2 v[14:15], v[14:15], off
	s_waitcnt vmcnt(0)
	v_add_f64 v[16:17], v[16:17], v[14:15]
.LBB22_65:                              ;   in Loop: Header=BB22_12 Depth=3
	s_or_b64 exec, exec, s[28:29]
	v_add_f64 v[14:15], v[18:19], -v[16:17]
	v_cmp_class_f64_e64 s[30:31], v[14:15], s5
	s_and_saveexec_b64 s[28:29], s[30:31]
	s_cbranch_execz .LBB22_10
; %bb.66:                               ;   in Loop: Header=BB22_12 Depth=3
	v_and_b32_e32 v6, 0x7fffffff, v15
	v_cmp_lt_f64_e64 vcc, v[2:3], |v[14:15]|
	v_cndmask_b32_e32 v3, v3, v6, vcc
	v_cndmask_b32_e32 v2, v2, v14, vcc
	s_branch .LBB22_10
.LBB22_67:                              ;   in Loop: Header=BB22_12 Depth=3
	v_cmp_lt_i32_e32 vcc, v6, v37
	s_and_saveexec_b64 s[62:63], vcc
	s_cbranch_execz .LBB22_75
; %bb.68:                               ;   in Loop: Header=BB22_12 Depth=3
	s_mov_b64 s[28:29], 0
                                        ; implicit-def: $sgpr30_sgpr31
                                        ; implicit-def: $sgpr76_sgpr77
                                        ; implicit-def: $sgpr74_sgpr75
	s_branch .LBB22_70
.LBB22_69:                              ;   in Loop: Header=BB22_70 Depth=4
	s_or_b64 exec, exec, s[72:73]
	s_and_b64 s[72:73], exec, s[76:77]
	s_or_b64 s[28:29], s[72:73], s[28:29]
	s_andn2_b64 s[30:31], s[30:31], exec
	s_and_b64 s[72:73], s[74:75], exec
	s_or_b64 s[30:31], s[30:31], s[72:73]
	s_andn2_b64 exec, exec, s[28:29]
	s_cbranch_execz .LBB22_72
.LBB22_70:                              ;   Parent Loop BB22_3 Depth=1
                                        ;     Parent Loop BB22_7 Depth=2
                                        ;       Parent Loop BB22_12 Depth=3
                                        ; =>      This Inner Loop Header: Depth=4
	v_add_u32_e32 v20, v12, v6
	v_ashrrev_i32_e32 v21, 31, v20
	v_lshlrev_b64 v[22:23], 2, v[20:21]
	v_mov_b32_e32 v11, s49
	v_add_co_u32_e32 v22, vcc, s48, v22
	v_addc_co_u32_e32 v23, vcc, v11, v23, vcc
	global_load_dword v11, v[22:23], off
	s_or_b64 s[74:75], s[74:75], exec
	s_or_b64 s[76:77], s[76:77], exec
	s_waitcnt vmcnt(0)
	v_subrev_u32_e32 v11, s6, v11
	v_cmp_ne_u32_e32 vcc, v11, v14
	s_and_saveexec_b64 s[72:73], vcc
	s_cbranch_execz .LBB22_69
; %bb.71:                               ;   in Loop: Header=BB22_70 Depth=4
	v_add_u32_e32 v6, 1, v6
	v_cmp_ge_i32_e32 vcc, v6, v37
	s_andn2_b64 s[76:77], s[76:77], exec
	s_and_b64 s[78:79], vcc, exec
	s_andn2_b64 s[74:75], s[74:75], exec
	s_or_b64 s[76:77], s[76:77], s[78:79]
	s_branch .LBB22_69
.LBB22_72:                              ;   in Loop: Header=BB22_12 Depth=3
	s_or_b64 exec, exec, s[28:29]
	s_and_saveexec_b64 s[28:29], s[30:31]
	s_xor_b64 s[28:29], exec, s[28:29]
	s_cbranch_execz .LBB22_74
; %bb.73:                               ;   in Loop: Header=BB22_12 Depth=3
	v_lshlrev_b64 v[20:21], 3, v[20:21]
	v_mov_b32_e32 v6, s51
	v_add_co_u32_e32 v20, vcc, s50, v20
	v_addc_co_u32_e32 v21, vcc, v6, v21, vcc
	v_lshlrev_b64 v[22:23], 3, v[14:15]
	v_mov_b32_e32 v6, s65
	v_add_co_u32_e32 v22, vcc, s64, v22
	v_addc_co_u32_e32 v23, vcc, v6, v23, vcc
	global_load_dwordx2 v[20:21], v[20:21], off
	s_nop 0
	global_load_dwordx2 v[22:23], v[22:23], off
	s_waitcnt vmcnt(0)
	v_fmac_f64_e32 v[16:17], v[20:21], v[22:23]
.LBB22_74:                              ;   in Loop: Header=BB22_12 Depth=3
	s_or_b64 exec, exec, s[28:29]
.LBB22_75:                              ;   in Loop: Header=BB22_12 Depth=3
	s_or_b64 exec, exec, s[62:63]
                                        ; implicit-def: $vgpr22
                                        ; implicit-def: $vgpr20
                                        ; implicit-def: $vgpr41
	s_andn2_saveexec_b64 s[60:61], s[60:61]
	s_cbranch_execz .LBB22_63
.LBB22_76:                              ;   in Loop: Header=BB22_12 Depth=3
	s_mov_b64 s[28:29], 0
                                        ; implicit-def: $sgpr30_sgpr31
                                        ; implicit-def: $sgpr74_sgpr75
                                        ; implicit-def: $sgpr62_sgpr63
	s_branch .LBB22_78
.LBB22_77:                              ;   in Loop: Header=BB22_78 Depth=4
	s_or_b64 exec, exec, s[72:73]
	s_and_b64 s[72:73], exec, s[74:75]
	s_or_b64 s[28:29], s[72:73], s[28:29]
	s_andn2_b64 s[30:31], s[30:31], exec
	s_and_b64 s[72:73], s[62:63], exec
	s_or_b64 s[30:31], s[30:31], s[72:73]
	s_andn2_b64 exec, exec, s[28:29]
	s_cbranch_execz .LBB22_80
.LBB22_78:                              ;   Parent Loop BB22_3 Depth=1
                                        ;     Parent Loop BB22_7 Depth=2
                                        ;       Parent Loop BB22_12 Depth=3
                                        ; =>      This Inner Loop Header: Depth=4
	v_add_u32_e32 v24, v20, v22
	v_ashrrev_i32_e32 v25, 31, v24
	v_lshlrev_b64 v[26:27], 2, v[24:25]
	v_mov_b32_e32 v6, s41
	v_add_co_u32_e32 v26, vcc, s40, v26
	v_addc_co_u32_e32 v27, vcc, v6, v27, vcc
	global_load_dword v6, v[26:27], off
	s_or_b64 s[62:63], s[62:63], exec
	s_or_b64 s[74:75], s[74:75], exec
	s_waitcnt vmcnt(0)
	v_subrev_u32_e32 v6, s7, v6
	v_cmp_ne_u32_e32 vcc, v6, v8
	s_and_saveexec_b64 s[72:73], vcc
	s_cbranch_execz .LBB22_77
; %bb.79:                               ;   in Loop: Header=BB22_78 Depth=4
	v_add_u32_e32 v22, 1, v22
	v_cmp_ge_i32_e32 vcc, v22, v41
	s_andn2_b64 s[74:75], s[74:75], exec
	s_and_b64 s[76:77], vcc, exec
	s_andn2_b64 s[62:63], s[62:63], exec
	s_or_b64 s[74:75], s[74:75], s[76:77]
	s_branch .LBB22_77
.LBB22_80:                              ;   in Loop: Header=BB22_12 Depth=3
	s_or_b64 exec, exec, s[28:29]
	s_and_saveexec_b64 s[28:29], s[30:31]
	s_xor_b64 s[28:29], exec, s[28:29]
	s_cbranch_execz .LBB22_82
; %bb.81:                               ;   in Loop: Header=BB22_12 Depth=3
	v_lshlrev_b64 v[20:21], 3, v[24:25]
	v_mov_b32_e32 v6, s43
	v_add_co_u32_e32 v20, vcc, s42, v20
	v_addc_co_u32_e32 v21, vcc, v6, v21, vcc
	global_load_dwordx2 v[20:21], v[20:21], off
	s_waitcnt vmcnt(0)
	v_add_f64 v[16:17], v[16:17], v[20:21]
.LBB22_82:                              ;   in Loop: Header=BB22_12 Depth=3
	s_or_b64 exec, exec, s[28:29]
	s_or_b64 exec, exec, s[60:61]
	v_cmp_eq_u32_e32 vcc, v8, v14
	s_and_saveexec_b64 s[28:29], vcc
	s_cbranch_execnz .LBB22_64
	s_branch .LBB22_65
.LBB22_83:                              ;   in Loop: Header=BB22_3 Depth=1
	s_and_b64 vcc, exec, s[68:69]
	s_cbranch_vccz .LBB22_105
; %bb.84:                               ;   in Loop: Header=BB22_3 Depth=1
	v_mov_b32_dpp v8, v4 row_shr:1 row_mask:0xf bank_mask:0xf
	v_mov_b32_dpp v9, v5 row_shr:1 row_mask:0xf bank_mask:0xf
	s_mov_b64 s[24:25], exec
	v_readlane_b32 s26, v48, 18
	v_readlane_b32 s27, v48, 19
	s_and_b64 s[26:27], s[24:25], s[26:27]
	s_mov_b64 exec, s[26:27]
	s_cbranch_execz .LBB22_86
; %bb.85:                               ;   in Loop: Header=BB22_3 Depth=1
	v_cmp_lt_f64_e32 vcc, v[4:5], v[8:9]
	v_cndmask_b32_e32 v5, v5, v9, vcc
	v_cndmask_b32_e32 v4, v4, v8, vcc
	ds_write_b64 v34, v[4:5]
.LBB22_86:                              ;   in Loop: Header=BB22_3 Depth=1
	s_or_b64 exec, exec, s[24:25]
	s_waitcnt lgkmcnt(0)
	s_barrier
	s_mov_b64 s[24:25], exec
	v_readlane_b32 s26, v48, 20
	v_readlane_b32 s27, v48, 21
	s_and_b64 s[26:27], s[24:25], s[26:27]
	s_mov_b64 exec, s[26:27]
	s_cbranch_execz .LBB22_88
; %bb.87:                               ;   in Loop: Header=BB22_3 Depth=1
	ds_read2st64_b64 v[8:11], v32 offset1:4
	s_waitcnt lgkmcnt(0)
	v_cmp_lt_f64_e32 vcc, v[8:9], v[10:11]
	v_cndmask_b32_e32 v5, v9, v11, vcc
	v_cndmask_b32_e32 v4, v8, v10, vcc
	ds_write_b64 v32, v[4:5]
.LBB22_88:                              ;   in Loop: Header=BB22_3 Depth=1
	s_or_b64 exec, exec, s[24:25]
	s_waitcnt lgkmcnt(0)
	s_barrier
	s_and_saveexec_b64 s[24:25], s[8:9]
	s_cbranch_execz .LBB22_90
; %bb.89:                               ;   in Loop: Header=BB22_3 Depth=1
	ds_read2st64_b64 v[8:11], v32 offset1:2
	s_waitcnt lgkmcnt(0)
	v_cmp_lt_f64_e32 vcc, v[8:9], v[10:11]
	v_cndmask_b32_e32 v5, v9, v11, vcc
	v_cndmask_b32_e32 v4, v8, v10, vcc
	ds_write_b64 v32, v[4:5]
.LBB22_90:                              ;   in Loop: Header=BB22_3 Depth=1
	s_or_b64 exec, exec, s[24:25]
	s_waitcnt lgkmcnt(0)
	s_barrier
	s_and_saveexec_b64 s[24:25], s[10:11]
	;; [unrolled: 13-line block ×3, first 2 shown]
	s_cbranch_execz .LBB22_94
; %bb.93:                               ;   in Loop: Header=BB22_3 Depth=1
	ds_read2_b64 v[8:11], v32 offset1:32
	s_waitcnt lgkmcnt(0)
	v_cmp_lt_f64_e32 vcc, v[8:9], v[10:11]
	v_cndmask_b32_e32 v5, v9, v11, vcc
	v_cndmask_b32_e32 v4, v8, v10, vcc
	ds_write_b64 v32, v[4:5]
.LBB22_94:                              ;   in Loop: Header=BB22_3 Depth=1
	s_or_b64 exec, exec, s[24:25]
	s_waitcnt lgkmcnt(0)
	s_barrier
	s_and_saveexec_b64 s[24:25], s[14:15]
	s_cbranch_execz .LBB22_96
; %bb.95:                               ;   in Loop: Header=BB22_3 Depth=1
	ds_read2_b64 v[8:11], v32 offset1:16
	s_waitcnt lgkmcnt(0)
	v_cmp_lt_f64_e32 vcc, v[8:9], v[10:11]
	v_cndmask_b32_e32 v5, v9, v11, vcc
	v_cndmask_b32_e32 v4, v8, v10, vcc
	ds_write_b64 v32, v[4:5]
.LBB22_96:                              ;   in Loop: Header=BB22_3 Depth=1
	s_or_b64 exec, exec, s[24:25]
	s_waitcnt lgkmcnt(0)
	s_barrier
	s_and_saveexec_b64 s[24:25], s[16:17]
	;; [unrolled: 13-line block ×3, first 2 shown]
	s_cbranch_execz .LBB22_100
; %bb.99:                               ;   in Loop: Header=BB22_3 Depth=1
	ds_read2_b64 v[8:11], v32 offset1:4
	s_waitcnt lgkmcnt(0)
	v_cmp_lt_f64_e32 vcc, v[8:9], v[10:11]
	v_cndmask_b32_e32 v5, v9, v11, vcc
	v_cndmask_b32_e32 v4, v8, v10, vcc
	ds_write_b64 v32, v[4:5]
.LBB22_100:                             ;   in Loop: Header=BB22_3 Depth=1
	s_or_b64 exec, exec, s[24:25]
	s_waitcnt lgkmcnt(0)
	s_barrier
	s_and_saveexec_b64 s[24:25], s[20:21]
	s_cbranch_execz .LBB22_102
; %bb.101:                              ;   in Loop: Header=BB22_3 Depth=1
	ds_read2_b64 v[8:11], v32 offset1:2
	s_waitcnt lgkmcnt(0)
	v_cmp_lt_f64_e32 vcc, v[8:9], v[10:11]
	v_cndmask_b32_e32 v5, v9, v11, vcc
	v_cndmask_b32_e32 v4, v8, v10, vcc
	ds_write_b64 v32, v[4:5]
.LBB22_102:                             ;   in Loop: Header=BB22_3 Depth=1
	s_or_b64 exec, exec, s[24:25]
	s_waitcnt lgkmcnt(0)
	s_barrier
	s_and_saveexec_b64 s[24:25], s[22:23]
	s_cbranch_execz .LBB22_104
; %bb.103:                              ;   in Loop: Header=BB22_3 Depth=1
	ds_read_b128 v[8:11], v7
	s_waitcnt lgkmcnt(0)
	v_cmp_lt_f64_e32 vcc, v[8:9], v[10:11]
	v_cndmask_b32_e32 v5, v9, v11, vcc
	v_cndmask_b32_e32 v4, v8, v10, vcc
	ds_write_b64 v7, v[4:5]
.LBB22_104:                             ;   in Loop: Header=BB22_3 Depth=1
	s_or_b64 exec, exec, s[24:25]
	v_readlane_b32 s24, v48, 12
	v_readlane_b32 s25, v48, 13
	s_waitcnt lgkmcnt(0)
	s_barrier
	ds_read_b64 v[4:5], v7
	s_load_dwordx2 s[24:25], s[24:25], 0x0
	s_waitcnt lgkmcnt(0)
	v_div_scale_f64 v[8:9], s[26:27], s[24:25], s[24:25], v[4:5]
	v_rcp_f64_e32 v[10:11], v[8:9]
	v_div_scale_f64 v[12:13], vcc, v[4:5], s[24:25], v[4:5]
	v_fma_f64 v[14:15], -v[8:9], v[10:11], 1.0
	v_fmac_f64_e32 v[10:11], v[10:11], v[14:15]
	v_fma_f64 v[14:15], -v[8:9], v[10:11], 1.0
	v_fmac_f64_e32 v[10:11], v[10:11], v[14:15]
	v_mul_f64 v[14:15], v[12:13], v[10:11]
	v_fma_f64 v[8:9], -v[8:9], v[14:15], v[12:13]
	v_div_fmas_f64 v[8:9], v[8:9], v[10:11], v[14:15]
	v_div_fixup_f64 v[4:5], v[8:9], s[24:25], v[4:5]
.LBB22_105:                             ;   in Loop: Header=BB22_3 Depth=1
	s_andn2_b64 vcc, exec, s[34:35]
	s_cbranch_vccnz .LBB22_127
; %bb.106:                              ;   in Loop: Header=BB22_3 Depth=1
	v_mov_b32_dpp v8, v2 row_shr:1 row_mask:0xf bank_mask:0xf
	v_mov_b32_dpp v9, v3 row_shr:1 row_mask:0xf bank_mask:0xf
	s_mov_b64 s[24:25], exec
	v_readlane_b32 s26, v48, 18
	v_readlane_b32 s27, v48, 19
	s_and_b64 s[26:27], s[24:25], s[26:27]
	s_mov_b64 exec, s[26:27]
	s_cbranch_execz .LBB22_108
; %bb.107:                              ;   in Loop: Header=BB22_3 Depth=1
	v_cmp_lt_f64_e32 vcc, v[2:3], v[8:9]
	v_cndmask_b32_e32 v3, v3, v9, vcc
	v_cndmask_b32_e32 v2, v2, v8, vcc
	ds_write_b64 v34, v[2:3]
.LBB22_108:                             ;   in Loop: Header=BB22_3 Depth=1
	s_or_b64 exec, exec, s[24:25]
	s_waitcnt lgkmcnt(0)
	s_barrier
	s_mov_b64 s[24:25], exec
	v_readlane_b32 s26, v48, 20
	v_readlane_b32 s27, v48, 21
	s_and_b64 s[26:27], s[24:25], s[26:27]
	s_mov_b64 exec, s[26:27]
	s_cbranch_execz .LBB22_110
; %bb.109:                              ;   in Loop: Header=BB22_3 Depth=1
	ds_read2st64_b64 v[8:11], v32 offset1:4
	s_waitcnt lgkmcnt(0)
	v_cmp_lt_f64_e32 vcc, v[8:9], v[10:11]
	v_cndmask_b32_e32 v3, v9, v11, vcc
	v_cndmask_b32_e32 v2, v8, v10, vcc
	ds_write_b64 v32, v[2:3]
.LBB22_110:                             ;   in Loop: Header=BB22_3 Depth=1
	s_or_b64 exec, exec, s[24:25]
	s_waitcnt lgkmcnt(0)
	s_barrier
	s_and_saveexec_b64 s[24:25], s[8:9]
	s_cbranch_execz .LBB22_112
; %bb.111:                              ;   in Loop: Header=BB22_3 Depth=1
	ds_read2st64_b64 v[8:11], v32 offset1:2
	s_waitcnt lgkmcnt(0)
	v_cmp_lt_f64_e32 vcc, v[8:9], v[10:11]
	v_cndmask_b32_e32 v3, v9, v11, vcc
	v_cndmask_b32_e32 v2, v8, v10, vcc
	ds_write_b64 v32, v[2:3]
.LBB22_112:                             ;   in Loop: Header=BB22_3 Depth=1
	s_or_b64 exec, exec, s[24:25]
	s_waitcnt lgkmcnt(0)
	s_barrier
	s_and_saveexec_b64 s[24:25], s[10:11]
	;; [unrolled: 13-line block ×3, first 2 shown]
	s_cbranch_execz .LBB22_116
; %bb.115:                              ;   in Loop: Header=BB22_3 Depth=1
	ds_read2_b64 v[8:11], v32 offset1:32
	s_waitcnt lgkmcnt(0)
	v_cmp_lt_f64_e32 vcc, v[8:9], v[10:11]
	v_cndmask_b32_e32 v3, v9, v11, vcc
	v_cndmask_b32_e32 v2, v8, v10, vcc
	ds_write_b64 v32, v[2:3]
.LBB22_116:                             ;   in Loop: Header=BB22_3 Depth=1
	s_or_b64 exec, exec, s[24:25]
	s_waitcnt lgkmcnt(0)
	s_barrier
	s_and_saveexec_b64 s[24:25], s[14:15]
	s_cbranch_execz .LBB22_118
; %bb.117:                              ;   in Loop: Header=BB22_3 Depth=1
	ds_read2_b64 v[8:11], v32 offset1:16
	s_waitcnt lgkmcnt(0)
	v_cmp_lt_f64_e32 vcc, v[8:9], v[10:11]
	v_cndmask_b32_e32 v3, v9, v11, vcc
	v_cndmask_b32_e32 v2, v8, v10, vcc
	ds_write_b64 v32, v[2:3]
.LBB22_118:                             ;   in Loop: Header=BB22_3 Depth=1
	s_or_b64 exec, exec, s[24:25]
	s_waitcnt lgkmcnt(0)
	s_barrier
	s_and_saveexec_b64 s[24:25], s[16:17]
	s_cbranch_execz .LBB22_120
; %bb.119:                              ;   in Loop: Header=BB22_3 Depth=1
	ds_read2_b64 v[8:11], v32 offset1:8
	s_waitcnt lgkmcnt(0)
	v_cmp_lt_f64_e32 vcc, v[8:9], v[10:11]
	v_cndmask_b32_e32 v3, v9, v11, vcc
	v_cndmask_b32_e32 v2, v8, v10, vcc
	ds_write_b64 v32, v[2:3]
.LBB22_120:                             ;   in Loop: Header=BB22_3 Depth=1
	s_or_b64 exec, exec, s[24:25]
	s_waitcnt lgkmcnt(0)
	s_barrier
	s_and_saveexec_b64 s[24:25], s[18:19]
	s_cbranch_execz .LBB22_122
; %bb.121:                              ;   in Loop: Header=BB22_3 Depth=1
	ds_read2_b64 v[8:11], v32 offset1:4
	s_waitcnt lgkmcnt(0)
	v_cmp_lt_f64_e32 vcc, v[8:9], v[10:11]
	v_cndmask_b32_e32 v3, v9, v11, vcc
	v_cndmask_b32_e32 v2, v8, v10, vcc
	ds_write_b64 v32, v[2:3]
.LBB22_122:                             ;   in Loop: Header=BB22_3 Depth=1
	s_or_b64 exec, exec, s[24:25]
	s_waitcnt lgkmcnt(0)
	s_barrier
	s_and_saveexec_b64 s[24:25], s[20:21]
	s_cbranch_execz .LBB22_124
; %bb.123:                              ;   in Loop: Header=BB22_3 Depth=1
	ds_read2_b64 v[8:11], v32 offset1:2
	s_waitcnt lgkmcnt(0)
	v_cmp_lt_f64_e32 vcc, v[8:9], v[10:11]
	v_cndmask_b32_e32 v3, v9, v11, vcc
	v_cndmask_b32_e32 v2, v8, v10, vcc
	ds_write_b64 v32, v[2:3]
.LBB22_124:                             ;   in Loop: Header=BB22_3 Depth=1
	s_or_b64 exec, exec, s[24:25]
	s_waitcnt lgkmcnt(0)
	s_barrier
	s_and_saveexec_b64 s[24:25], s[22:23]
	s_cbranch_execz .LBB22_126
; %bb.125:                              ;   in Loop: Header=BB22_3 Depth=1
	ds_read_b128 v[8:11], v7
	s_waitcnt lgkmcnt(0)
	v_cmp_lt_f64_e32 vcc, v[8:9], v[10:11]
	v_cndmask_b32_e32 v3, v9, v11, vcc
	v_cndmask_b32_e32 v2, v8, v10, vcc
	ds_write_b64 v7, v[2:3]
.LBB22_126:                             ;   in Loop: Header=BB22_3 Depth=1
	s_or_b64 exec, exec, s[24:25]
	v_readlane_b32 s24, v48, 12
	v_readlane_b32 s25, v48, 13
	s_waitcnt lgkmcnt(0)
	s_barrier
	ds_read_b64 v[2:3], v7
	s_load_dwordx2 s[24:25], s[24:25], 0x0
	s_waitcnt lgkmcnt(0)
	v_div_scale_f64 v[8:9], s[26:27], s[24:25], s[24:25], v[2:3]
	v_rcp_f64_e32 v[10:11], v[8:9]
	v_div_scale_f64 v[12:13], vcc, v[2:3], s[24:25], v[2:3]
	v_fma_f64 v[14:15], -v[8:9], v[10:11], 1.0
	v_fmac_f64_e32 v[10:11], v[10:11], v[14:15]
	v_fma_f64 v[14:15], -v[8:9], v[10:11], 1.0
	v_fmac_f64_e32 v[10:11], v[10:11], v[14:15]
	v_mul_f64 v[14:15], v[12:13], v[10:11]
	v_fma_f64 v[8:9], -v[8:9], v[14:15], v[12:13]
	v_div_fmas_f64 v[8:9], v[8:9], v[10:11], v[14:15]
	v_div_fixup_f64 v[2:3], v[8:9], s[24:25], v[2:3]
.LBB22_127:                             ;   in Loop: Header=BB22_3 Depth=1
	s_mov_b64 s[24:25], exec
	v_readlane_b32 s26, v48, 16
	v_readlane_b32 s27, v48, 17
	s_and_b64 s[26:27], s[24:25], s[26:27]
	s_mov_b64 exec, s[26:27]
	s_cbranch_execz .LBB22_139
; %bb.128:                              ;   in Loop: Header=BB22_3 Depth=1
	s_mov_b64 s[26:27], 0
	v_mov_b32_e32 v8, v31
	s_branch .LBB22_130
.LBB22_129:                             ;   in Loop: Header=BB22_130 Depth=2
	s_or_b64 exec, exec, s[74:75]
	v_add_u32_e32 v8, 0x200, v8
	v_cmp_le_u32_e32 vcc, s4, v8
	s_or_b64 s[26:27], vcc, s[26:27]
	s_andn2_b64 exec, exec, s[26:27]
	s_cbranch_execz .LBB22_139
.LBB22_130:                             ;   Parent Loop BB22_3 Depth=1
                                        ; =>  This Loop Header: Depth=2
                                        ;       Child Loop BB22_133 Depth 3
                                        ;       Child Loop BB22_136 Depth 3
	v_cmp_gt_i32_e32 vcc, s33, v8
	s_and_saveexec_b64 s[74:75], vcc
	s_cbranch_execz .LBB22_129
; %bb.131:                              ;   in Loop: Header=BB22_130 Depth=2
	v_ashrrev_i32_e32 v9, 31, v8
	v_lshlrev_b64 v[10:11], 2, v[8:9]
	v_mov_b32_e32 v6, s45
	v_add_co_u32_e32 v12, vcc, s44, v10
	v_addc_co_u32_e32 v13, vcc, v6, v11, vcc
	global_load_dword v6, v[12:13], off
	v_mov_b32_e32 v13, s47
	v_add_co_u32_e32 v12, vcc, s46, v10
	v_addc_co_u32_e32 v13, vcc, v13, v11, vcc
	global_load_dword v13, v[12:13], off
	s_waitcnt vmcnt(1)
	v_add_u32_e32 v12, v35, v6
	s_waitcnt vmcnt(0)
	v_subrev_u32_e32 v6, s6, v13
	v_cmp_lt_i32_e32 vcc, v12, v6
	s_and_saveexec_b64 s[28:29], vcc
	s_cbranch_execz .LBB22_134
; %bb.132:                              ;   in Loop: Header=BB22_130 Depth=2
	v_ashrrev_i32_e32 v13, 31, v12
	v_lshlrev_b64 v[16:17], 3, v[12:13]
	v_mov_b32_e32 v13, s81
	v_add_co_u32_e32 v14, vcc, s80, v16
	v_addc_co_u32_e32 v15, vcc, v13, v17, vcc
	v_mov_b32_e32 v13, s51
	v_add_co_u32_e32 v16, vcc, s50, v16
	v_addc_co_u32_e32 v17, vcc, v13, v17, vcc
	s_mov_b64 s[30:31], 0
.LBB22_133:                             ;   Parent Loop BB22_3 Depth=1
                                        ;     Parent Loop BB22_130 Depth=2
                                        ; =>    This Inner Loop Header: Depth=3
	global_load_dwordx2 v[18:19], v[14:15], off
	v_add_co_u32_e32 v14, vcc, 16, v14
	v_add_u32_e32 v12, 2, v12
	v_addc_co_u32_e32 v15, vcc, 0, v15, vcc
	v_cmp_ge_i32_e32 vcc, v12, v6
	s_or_b64 s[30:31], vcc, s[30:31]
	s_waitcnt vmcnt(0)
	global_store_dwordx2 v[16:17], v[18:19], off
	v_add_co_u32_e32 v16, vcc, 16, v16
	v_addc_co_u32_e32 v17, vcc, 0, v17, vcc
	s_andn2_b64 exec, exec, s[30:31]
	s_cbranch_execnz .LBB22_133
.LBB22_134:                             ;   in Loop: Header=BB22_130 Depth=2
	s_or_b64 exec, exec, s[28:29]
	v_mov_b32_e32 v6, s37
	v_add_co_u32_e32 v12, vcc, s36, v10
	v_addc_co_u32_e32 v13, vcc, v6, v11, vcc
	global_load_dword v6, v[12:13], off
	v_mov_b32_e32 v12, s39
	v_add_co_u32_e32 v10, vcc, s38, v10
	v_addc_co_u32_e32 v11, vcc, v12, v11, vcc
	global_load_dword v11, v[10:11], off
	s_waitcnt vmcnt(1)
	v_add_u32_e32 v10, v36, v6
	s_waitcnt vmcnt(0)
	v_subrev_u32_e32 v6, s7, v11
	v_cmp_lt_i32_e32 vcc, v10, v6
	s_and_saveexec_b64 s[28:29], vcc
	s_cbranch_execz .LBB22_137
; %bb.135:                              ;   in Loop: Header=BB22_130 Depth=2
	v_ashrrev_i32_e32 v11, 31, v10
	v_lshlrev_b64 v[14:15], 3, v[10:11]
	v_mov_b32_e32 v11, s83
	v_add_co_u32_e32 v12, vcc, s82, v14
	v_addc_co_u32_e32 v13, vcc, v11, v15, vcc
	v_mov_b32_e32 v11, s43
	v_add_co_u32_e32 v14, vcc, s42, v14
	v_addc_co_u32_e32 v15, vcc, v11, v15, vcc
	s_mov_b64 s[30:31], 0
.LBB22_136:                             ;   Parent Loop BB22_3 Depth=1
                                        ;     Parent Loop BB22_130 Depth=2
                                        ; =>    This Inner Loop Header: Depth=3
	global_load_dwordx2 v[16:17], v[12:13], off
	v_add_co_u32_e32 v12, vcc, 16, v12
	v_add_u32_e32 v10, 2, v10
	v_addc_co_u32_e32 v13, vcc, 0, v13, vcc
	v_cmp_ge_i32_e32 vcc, v10, v6
	s_or_b64 s[30:31], vcc, s[30:31]
	s_waitcnt vmcnt(0)
	global_store_dwordx2 v[14:15], v[16:17], off
	v_add_co_u32_e32 v14, vcc, 16, v14
	v_addc_co_u32_e32 v15, vcc, 0, v15, vcc
	s_andn2_b64 exec, exec, s[30:31]
	s_cbranch_execnz .LBB22_136
.LBB22_137:                             ;   in Loop: Header=BB22_130 Depth=2
	s_or_b64 exec, exec, s[28:29]
	s_and_b64 exec, exec, s[2:3]
	s_cbranch_execz .LBB22_129
; %bb.138:                              ;   in Loop: Header=BB22_130 Depth=2
	v_lshlrev_b64 v[10:11], 3, v[8:9]
	v_mov_b32_e32 v6, s67
	v_add_co_u32_e32 v12, vcc, s66, v10
	v_addc_co_u32_e32 v13, vcc, v6, v11, vcc
	global_load_dwordx2 v[12:13], v[12:13], off
	v_mov_b32_e32 v6, s65
	v_add_co_u32_e32 v10, vcc, s64, v10
	v_addc_co_u32_e32 v11, vcc, v6, v11, vcc
	s_waitcnt vmcnt(0)
	global_store_dwordx2 v[10:11], v[12:13], off
	s_branch .LBB22_129
.LBB22_139:                             ;   in Loop: Header=BB22_3 Depth=1
	s_or_b64 exec, exec, s[24:25]
	s_mov_b64 s[26:27], -1
	s_mov_b64 s[24:25], -1
	s_and_b64 vcc, exec, s[70:71]
	s_cbranch_vccz .LBB22_149
; %bb.140:                              ;   in Loop: Header=BB22_3 Depth=1
	v_readlane_b32 s28, v48, 22
	v_readlane_b32 s29, v48, 23
	s_and_b64 vcc, exec, s[28:29]
                                        ; implicit-def: $sgpr28_sgpr29
	s_cbranch_vccz .LBB22_146
; %bb.141:                              ;   in Loop: Header=BB22_3 Depth=1
	v_readlane_b32 s28, v48, 14
	v_readlane_b32 s29, v48, 15
	s_and_b64 vcc, exec, s[28:29]
                                        ; implicit-def: $sgpr28_sgpr29
	s_cbranch_vccz .LBB22_143
; %bb.142:                              ;   in Loop: Header=BB22_3 Depth=1
	v_readlane_b32 s28, v48, 0
	v_readlane_b32 s30, v48, 2
	;; [unrolled: 1-line block ×4, first 2 shown]
	v_cmp_ge_f64_e32 vcc, s[30:31], v[2:3]
	s_mov_b64 s[24:25], 0
	s_and_b64 s[28:29], vcc, exec
.LBB22_143:                             ;   in Loop: Header=BB22_3 Depth=1
	s_andn2_b64 vcc, exec, s[24:25]
	s_cbranch_vccnz .LBB22_145
; %bb.144:                              ;   in Loop: Header=BB22_3 Depth=1
	v_readlane_b32 s60, v48, 0
	v_readlane_b32 s62, v48, 2
	;; [unrolled: 1-line block ×3, first 2 shown]
	v_cmp_ge_f64_e32 vcc, s[62:63], v[4:5]
	s_andn2_b64 s[24:25], s[28:29], exec
	s_and_b64 s[28:29], vcc, exec
	s_or_b64 s[28:29], s[24:25], s[28:29]
	v_readlane_b32 s61, v48, 1
.LBB22_145:                             ;   in Loop: Header=BB22_3 Depth=1
	s_mov_b64 s[24:25], 0
.LBB22_146:                             ;   in Loop: Header=BB22_3 Depth=1
	s_andn2_b64 vcc, exec, s[24:25]
	s_cbranch_vccnz .LBB22_148
; %bb.147:                              ;   in Loop: Header=BB22_3 Depth=1
	v_readlane_b32 s60, v48, 0
	v_readlane_b32 s62, v48, 2
	;; [unrolled: 1-line block ×3, first 2 shown]
	v_cmp_ge_f64_e32 vcc, s[62:63], v[4:5]
	v_cmp_ge_f64_e64 s[24:25], s[62:63], v[2:3]
	s_and_b64 s[24:25], vcc, s[24:25]
	s_andn2_b64 s[28:29], s[28:29], exec
	s_and_b64 s[24:25], s[24:25], exec
	s_or_b64 s[28:29], s[28:29], s[24:25]
	v_readlane_b32 s61, v48, 1
.LBB22_148:                             ;   in Loop: Header=BB22_3 Depth=1
	s_xor_b64 s[24:25], s[28:29], -1
.LBB22_149:                             ;   in Loop: Header=BB22_3 Depth=1
	v_mov_b32_e32 v6, s0
	s_and_saveexec_b64 s[28:29], s[24:25]
	s_cbranch_execz .LBB22_2
; %bb.150:                              ;   in Loop: Header=BB22_3 Depth=1
	v_readlane_b32 s24, v48, 4
	s_add_i32 s0, s0, 1
	v_readlane_b32 s25, v48, 5
	s_cmp_eq_u32 s0, s25
	s_mov_b32 s27, s25
	s_cselect_b64 s[24:25], -1, 0
	v_mov_b32_e32 v6, s27
	s_orn2_b64 s[26:27], s[24:25], exec
	s_branch .LBB22_2
.LBB22_151:
	s_or_b64 exec, exec, s[84:85]
	v_readlane_b32 s20, v48, 8
	v_readlane_b32 s21, v48, 9
	;; [unrolled: 1-line block ×4, first 2 shown]
.LBB22_152:
	v_readlane_b32 s0, v48, 6
	v_readlane_b32 s1, v48, 7
	s_or_b64 exec, exec, s[0:1]
	s_andn2_b64 vcc, exec, s[70:71]
	s_cbranch_vccnz .LBB22_177
; %bb.153:
	v_mov_b32_dpp v7, v6 row_shr:1 row_mask:0xf bank_mask:0xf
	v_cmp_ne_u32_e32 vcc, 0, v30
	s_and_saveexec_b64 s[0:1], vcc
	s_cbranch_execz .LBB22_155
; %bb.154:
	v_lshlrev_b32_e32 v1, 2, v1
	v_max_i32_e32 v6, v6, v7
	ds_write_b32 v1, v6 offset:4096
.LBB22_155:
	s_or_b64 exec, exec, s[0:1]
	s_movk_i32 s0, 0x100
	v_cmp_gt_u32_e32 vcc, s0, v0
	v_lshlrev_b32_e32 v1, 2, v0
	s_waitcnt lgkmcnt(0)
	s_barrier
	s_and_saveexec_b64 s[0:1], vcc
	s_cbranch_execz .LBB22_157
; %bb.156:
	ds_read2st64_b32 v[6:7], v1 offset0:16 offset1:20
	s_waitcnt lgkmcnt(0)
	v_max_i32_e32 v6, v6, v7
	ds_write_b32 v1, v6 offset:4096
.LBB22_157:
	s_or_b64 exec, exec, s[0:1]
	s_movk_i32 s0, 0x80
	v_cmp_gt_u32_e32 vcc, s0, v0
	s_waitcnt lgkmcnt(0)
	s_barrier
	s_and_saveexec_b64 s[0:1], vcc
	s_cbranch_execz .LBB22_159
; %bb.158:
	ds_read2st64_b32 v[6:7], v1 offset0:16 offset1:18
	s_waitcnt lgkmcnt(0)
	v_max_i32_e32 v6, v6, v7
	ds_write_b32 v1, v6 offset:4096
.LBB22_159:
	s_or_b64 exec, exec, s[0:1]
	v_cmp_gt_u32_e32 vcc, 64, v0
	s_waitcnt lgkmcnt(0)
	s_barrier
	s_and_saveexec_b64 s[0:1], vcc
	s_cbranch_execz .LBB22_161
; %bb.160:
	ds_read2st64_b32 v[6:7], v1 offset0:16 offset1:17
	s_waitcnt lgkmcnt(0)
	v_max_i32_e32 v6, v6, v7
	ds_write_b32 v1, v6 offset:4096
.LBB22_161:
	s_or_b64 exec, exec, s[0:1]
	v_cmp_gt_u32_e32 vcc, 32, v0
	s_waitcnt lgkmcnt(0)
	s_barrier
	s_and_saveexec_b64 s[0:1], vcc
	s_cbranch_execz .LBB22_163
; %bb.162:
	v_add_u32_e32 v6, 0x1000, v1
	ds_read2_b32 v[6:7], v6 offset1:32
	s_waitcnt lgkmcnt(0)
	v_max_i32_e32 v6, v6, v7
	ds_write_b32 v1, v6 offset:4096
.LBB22_163:
	s_or_b64 exec, exec, s[0:1]
	v_cmp_gt_u32_e32 vcc, 16, v0
	s_waitcnt lgkmcnt(0)
	s_barrier
	s_and_saveexec_b64 s[0:1], vcc
	s_cbranch_execz .LBB22_165
; %bb.164:
	v_add_u32_e32 v6, 0x1000, v1
	ds_read2_b32 v[6:7], v6 offset1:16
	s_waitcnt lgkmcnt(0)
	v_max_i32_e32 v6, v6, v7
	ds_write_b32 v1, v6 offset:4096
.LBB22_165:
	;; [unrolled: 13-line block ×5, first 2 shown]
	s_or_b64 exec, exec, s[0:1]
	v_cmp_eq_u32_e32 vcc, 0, v0
	s_waitcnt lgkmcnt(0)
	s_barrier
	s_and_saveexec_b64 s[0:1], vcc
	s_cbranch_execz .LBB22_173
; %bb.172:
	v_mov_b32_e32 v1, 0
	ds_read_b64 v[6:7], v1 offset:4096
	s_waitcnt lgkmcnt(0)
	v_max_i32_e32 v6, v6, v7
	ds_write_b32 v1, v6 offset:4096
.LBB22_173:
	s_or_b64 exec, exec, s[0:1]
	s_waitcnt lgkmcnt(0)
	s_barrier
	s_and_saveexec_b64 s[0:1], vcc
	s_cbranch_execz .LBB22_176
; %bb.174:
	v_mbcnt_lo_u32_b32 v1, exec_lo, 0
	v_mbcnt_hi_u32_b32 v1, exec_hi, v1
	v_cmp_eq_u32_e32 vcc, 0, v1
	s_and_b64 exec, exec, vcc
	s_cbranch_execz .LBB22_176
; %bb.175:
	v_mov_b32_e32 v1, 0
	ds_read_b32 v6, v1 offset:4096
	v_readlane_b32 s4, v48, 0
	v_readlane_b32 s5, v48, 1
	;; [unrolled: 1-line block ×4, first 2 shown]
	s_waitcnt lgkmcnt(0)
	v_add_u32_e32 v6, 1, v6
	s_nop 0
	global_atomic_smax v1, v6, s[4:5]
.LBB22_176:
	s_or_b64 exec, exec, s[0:1]
.LBB22_177:
	v_cmp_eq_u32_e32 vcc, 0, v0
	s_mov_b32 s0, 0
	s_and_b64 s[2:3], vcc, s[68:69]
	s_and_saveexec_b64 s[4:5], s[2:3]
	s_cbranch_execz .LBB22_182
; %bb.178:
	v_mov_b32_e32 v0, 0
	global_load_dwordx2 v[6:7], v0, s[20:21] glc
	s_brev_b32 s1, 1
	s_mov_b64 s[6:7], 0
                                        ; implicit-def: $sgpr8_sgpr9
                                        ; implicit-def: $sgpr10_sgpr11
	s_waitcnt vmcnt(0)
	v_cmp_eq_u64_e64 s[12:13], s[0:1], v[6:7]
	v_cmp_eq_f64_e64 s[0:1], 0, v[4:5]
	s_branch .LBB22_180
.LBB22_179:                             ;   in Loop: Header=BB22_180 Depth=1
	s_or_b64 exec, exec, s[14:15]
	s_and_b64 s[2:3], exec, s[8:9]
	s_or_b64 s[6:7], s[2:3], s[6:7]
	s_andn2_b64 s[2:3], s[12:13], exec
	s_and_b64 s[12:13], s[10:11], exec
	s_or_b64 s[12:13], s[2:3], s[12:13]
	s_andn2_b64 exec, exec, s[6:7]
	s_cbranch_execz .LBB22_182
.LBB22_180:                             ; =>This Inner Loop Header: Depth=1
	v_cmp_lt_f64_e64 s[2:3], v[6:7], v[4:5]
	s_and_b64 s[14:15], s[0:1], s[12:13]
	s_or_b64 s[2:3], s[2:3], s[14:15]
	s_andn2_b64 s[10:11], s[10:11], exec
	s_or_b64 s[8:9], s[8:9], exec
	s_and_saveexec_b64 s[14:15], s[2:3]
	s_cbranch_execz .LBB22_179
; %bb.181:                              ;   in Loop: Header=BB22_180 Depth=1
	global_atomic_cmpswap_x2 v[8:9], v0, v[4:7], s[20:21] glc
	s_andn2_b64 s[8:9], s[8:9], exec
	s_andn2_b64 s[10:11], s[10:11], exec
                                        ; implicit-def: $sgpr12_sgpr13
	s_waitcnt vmcnt(0)
	v_cmp_eq_u64_e64 s[2:3], v[8:9], v[6:7]
	v_cndmask_b32_e64 v7, v9, v7, s[2:3]
	v_cndmask_b32_e64 v6, v8, v6, s[2:3]
	s_and_b64 s[2:3], s[2:3], exec
	v_cmp_class_f64_e64 s[16:17], v[6:7], 32
	s_or_b64 s[8:9], s[8:9], s[2:3]
	s_and_b64 s[2:3], s[16:17], exec
	s_or_b64 s[10:11], s[10:11], s[2:3]
	v_pk_mov_b32 v[6:7], v[8:9], v[8:9] op_sel:[0,1]
	s_branch .LBB22_179
.LBB22_182:
	s_or_b64 exec, exec, s[4:5]
	s_and_b64 s[0:1], vcc, s[34:35]
	s_and_saveexec_b64 s[2:3], s[0:1]
	s_cbranch_execz .LBB22_187
; %bb.183:
	v_mov_b32_e32 v0, 0
	global_load_dwordx2 v[4:5], v0, s[22:23] glc
	s_mov_b32 s0, 0
	s_brev_b32 s1, 1
	s_mov_b64 s[2:3], 0
	v_cmp_eq_f64_e32 vcc, 0, v[2:3]
                                        ; implicit-def: $sgpr4_sgpr5
                                        ; implicit-def: $sgpr6_sgpr7
	s_waitcnt vmcnt(0)
	v_cmp_eq_u64_e64 s[8:9], s[0:1], v[4:5]
	s_branch .LBB22_185
.LBB22_184:                             ;   in Loop: Header=BB22_185 Depth=1
	s_or_b64 exec, exec, s[10:11]
	s_and_b64 s[0:1], exec, s[4:5]
	s_or_b64 s[2:3], s[0:1], s[2:3]
	s_andn2_b64 s[0:1], s[8:9], exec
	s_and_b64 s[8:9], s[6:7], exec
	s_or_b64 s[8:9], s[0:1], s[8:9]
	s_andn2_b64 exec, exec, s[2:3]
	s_cbranch_execz .LBB22_187
.LBB22_185:                             ; =>This Inner Loop Header: Depth=1
	v_cmp_lt_f64_e64 s[0:1], v[4:5], v[2:3]
	s_and_b64 s[10:11], vcc, s[8:9]
	s_or_b64 s[0:1], s[0:1], s[10:11]
	s_andn2_b64 s[6:7], s[6:7], exec
	s_or_b64 s[4:5], s[4:5], exec
	s_and_saveexec_b64 s[10:11], s[0:1]
	s_cbranch_execz .LBB22_184
; %bb.186:                              ;   in Loop: Header=BB22_185 Depth=1
	global_atomic_cmpswap_x2 v[6:7], v0, v[2:5], s[22:23] glc
	s_andn2_b64 s[4:5], s[4:5], exec
	s_andn2_b64 s[6:7], s[6:7], exec
                                        ; implicit-def: $sgpr8_sgpr9
	s_waitcnt vmcnt(0)
	v_cmp_eq_u64_e64 s[0:1], v[6:7], v[4:5]
	v_cndmask_b32_e64 v5, v7, v5, s[0:1]
	v_cndmask_b32_e64 v4, v6, v4, s[0:1]
	s_and_b64 s[0:1], s[0:1], exec
	v_cmp_class_f64_e64 s[12:13], v[4:5], 32
	s_or_b64 s[4:5], s[4:5], s[0:1]
	s_and_b64 s[0:1], s[12:13], exec
	s_or_b64 s[6:7], s[6:7], s[0:1]
	v_pk_mov_b32 v[4:5], v[6:7], v[6:7] op_sel:[0,1]
	s_branch .LBB22_184
.LBB22_187:
	s_endpgm
	.section	.rodata,"a",@progbits
	.p2align	6, 0x0
	.amdhsa_kernel _ZN9rocsparseL6kernelILi1024ELi2EdiiEEvbbbT3_PS1_NS_15floating_traitsIT1_E6data_tES1_T2_PKS7_S9_PKS1_PKS4_21rocsparse_index_base_S9_S9_SB_PS4_SF_SE_S9_S9_SB_SF_SF_SE_SF_SF_PS6_SG_PKS6_
		.amdhsa_group_segment_fixed_size 6144
		.amdhsa_private_segment_fixed_size 0
		.amdhsa_kernarg_size 208
		.amdhsa_user_sgpr_count 6
		.amdhsa_user_sgpr_private_segment_buffer 1
		.amdhsa_user_sgpr_dispatch_ptr 0
		.amdhsa_user_sgpr_queue_ptr 0
		.amdhsa_user_sgpr_kernarg_segment_ptr 1
		.amdhsa_user_sgpr_dispatch_id 0
		.amdhsa_user_sgpr_flat_scratch_init 0
		.amdhsa_user_sgpr_kernarg_preload_length 0
		.amdhsa_user_sgpr_kernarg_preload_offset 0
		.amdhsa_user_sgpr_private_segment_size 0
		.amdhsa_uses_dynamic_stack 0
		.amdhsa_system_sgpr_private_segment_wavefront_offset 0
		.amdhsa_system_sgpr_workgroup_id_x 1
		.amdhsa_system_sgpr_workgroup_id_y 0
		.amdhsa_system_sgpr_workgroup_id_z 0
		.amdhsa_system_sgpr_workgroup_info 0
		.amdhsa_system_vgpr_workitem_id 0
		.amdhsa_next_free_vgpr 49
		.amdhsa_next_free_sgpr 96
		.amdhsa_accum_offset 52
		.amdhsa_reserve_vcc 1
		.amdhsa_reserve_flat_scratch 0
		.amdhsa_float_round_mode_32 0
		.amdhsa_float_round_mode_16_64 0
		.amdhsa_float_denorm_mode_32 3
		.amdhsa_float_denorm_mode_16_64 3
		.amdhsa_dx10_clamp 1
		.amdhsa_ieee_mode 1
		.amdhsa_fp16_overflow 0
		.amdhsa_tg_split 0
		.amdhsa_exception_fp_ieee_invalid_op 0
		.amdhsa_exception_fp_denorm_src 0
		.amdhsa_exception_fp_ieee_div_zero 0
		.amdhsa_exception_fp_ieee_overflow 0
		.amdhsa_exception_fp_ieee_underflow 0
		.amdhsa_exception_fp_ieee_inexact 0
		.amdhsa_exception_int_div_zero 0
	.end_amdhsa_kernel
	.section	.text._ZN9rocsparseL6kernelILi1024ELi2EdiiEEvbbbT3_PS1_NS_15floating_traitsIT1_E6data_tES1_T2_PKS7_S9_PKS1_PKS4_21rocsparse_index_base_S9_S9_SB_PS4_SF_SE_S9_S9_SB_SF_SF_SE_SF_SF_PS6_SG_PKS6_,"axG",@progbits,_ZN9rocsparseL6kernelILi1024ELi2EdiiEEvbbbT3_PS1_NS_15floating_traitsIT1_E6data_tES1_T2_PKS7_S9_PKS1_PKS4_21rocsparse_index_base_S9_S9_SB_PS4_SF_SE_S9_S9_SB_SF_SF_SE_SF_SF_PS6_SG_PKS6_,comdat
.Lfunc_end22:
	.size	_ZN9rocsparseL6kernelILi1024ELi2EdiiEEvbbbT3_PS1_NS_15floating_traitsIT1_E6data_tES1_T2_PKS7_S9_PKS1_PKS4_21rocsparse_index_base_S9_S9_SB_PS4_SF_SE_S9_S9_SB_SF_SF_SE_SF_SF_PS6_SG_PKS6_, .Lfunc_end22-_ZN9rocsparseL6kernelILi1024ELi2EdiiEEvbbbT3_PS1_NS_15floating_traitsIT1_E6data_tES1_T2_PKS7_S9_PKS1_PKS4_21rocsparse_index_base_S9_S9_SB_PS4_SF_SE_S9_S9_SB_SF_SF_SE_SF_SF_PS6_SG_PKS6_
                                        ; -- End function
	.section	.AMDGPU.csdata,"",@progbits
; Kernel info:
; codeLenInByte = 6268
; NumSgprs: 100
; NumVgprs: 49
; NumAgprs: 0
; TotalNumVgprs: 49
; ScratchSize: 0
; MemoryBound: 1
; FloatMode: 240
; IeeeMode: 1
; LDSByteSize: 6144 bytes/workgroup (compile time only)
; SGPRBlocks: 12
; VGPRBlocks: 6
; NumSGPRsForWavesPerEU: 100
; NumVGPRsForWavesPerEU: 49
; AccumOffset: 52
; Occupancy: 8
; WaveLimiterHint : 1
; COMPUTE_PGM_RSRC2:SCRATCH_EN: 0
; COMPUTE_PGM_RSRC2:USER_SGPR: 6
; COMPUTE_PGM_RSRC2:TRAP_HANDLER: 0
; COMPUTE_PGM_RSRC2:TGID_X_EN: 1
; COMPUTE_PGM_RSRC2:TGID_Y_EN: 0
; COMPUTE_PGM_RSRC2:TGID_Z_EN: 0
; COMPUTE_PGM_RSRC2:TIDIG_COMP_CNT: 0
; COMPUTE_PGM_RSRC3_GFX90A:ACCUM_OFFSET: 12
; COMPUTE_PGM_RSRC3_GFX90A:TG_SPLIT: 0
	.section	.text._ZN9rocsparseL6kernelILi1024ELi4EdiiEEvbbbT3_PS1_NS_15floating_traitsIT1_E6data_tES1_T2_PKS7_S9_PKS1_PKS4_21rocsparse_index_base_S9_S9_SB_PS4_SF_SE_S9_S9_SB_SF_SF_SE_SF_SF_PS6_SG_PKS6_,"axG",@progbits,_ZN9rocsparseL6kernelILi1024ELi4EdiiEEvbbbT3_PS1_NS_15floating_traitsIT1_E6data_tES1_T2_PKS7_S9_PKS1_PKS4_21rocsparse_index_base_S9_S9_SB_PS4_SF_SE_S9_S9_SB_SF_SF_SE_SF_SF_PS6_SG_PKS6_,comdat
	.globl	_ZN9rocsparseL6kernelILi1024ELi4EdiiEEvbbbT3_PS1_NS_15floating_traitsIT1_E6data_tES1_T2_PKS7_S9_PKS1_PKS4_21rocsparse_index_base_S9_S9_SB_PS4_SF_SE_S9_S9_SB_SF_SF_SE_SF_SF_PS6_SG_PKS6_ ; -- Begin function _ZN9rocsparseL6kernelILi1024ELi4EdiiEEvbbbT3_PS1_NS_15floating_traitsIT1_E6data_tES1_T2_PKS7_S9_PKS1_PKS4_21rocsparse_index_base_S9_S9_SB_PS4_SF_SE_S9_S9_SB_SF_SF_SE_SF_SF_PS6_SG_PKS6_
	.p2align	8
	.type	_ZN9rocsparseL6kernelILi1024ELi4EdiiEEvbbbT3_PS1_NS_15floating_traitsIT1_E6data_tES1_T2_PKS7_S9_PKS1_PKS4_21rocsparse_index_base_S9_S9_SB_PS4_SF_SE_S9_S9_SB_SF_SF_SE_SF_SF_PS6_SG_PKS6_,@function
_ZN9rocsparseL6kernelILi1024ELi4EdiiEEvbbbT3_PS1_NS_15floating_traitsIT1_E6data_tES1_T2_PKS7_S9_PKS1_PKS4_21rocsparse_index_base_S9_S9_SB_PS4_SF_SE_S9_S9_SB_SF_SF_SE_SF_SF_PS6_SG_PKS6_: ; @_ZN9rocsparseL6kernelILi1024ELi4EdiiEEvbbbT3_PS1_NS_15floating_traitsIT1_E6data_tES1_T2_PKS7_S9_PKS1_PKS4_21rocsparse_index_base_S9_S9_SB_PS4_SF_SE_S9_S9_SB_SF_SF_SE_SF_SF_PS6_SG_PKS6_
; %bb.0:
	s_load_dword s0, s[4:5], 0x0
	s_load_dwordx2 s[2:3], s[4:5], 0x0
	s_load_dwordx4 s[20:23], s[4:5], 0xb8
	s_load_dwordx4 s[8:11], s[4:5], 0x8
                                        ; implicit-def: $vgpr48 : SGPR spill to VGPR lane
	s_load_dword s33, s[4:5], 0x18
	s_waitcnt lgkmcnt(0)
	s_bitcmp1_b32 s0, 0
	s_cselect_b64 s[68:69], -1, 0
	s_bitcmp1_b32 s0, 8
	v_writelane_b32 v48, s8, 0
	v_writelane_b32 v48, s9, 1
	s_cselect_b64 s[34:35], -1, 0
	s_bitcmp1_b32 s2, 16
	v_writelane_b32 v48, s10, 2
	s_cselect_b64 s[26:27], -1, 0
	v_lshrrev_b32_e32 v1, 2, v0
	s_lshl_b32 s0, s6, 10
	v_writelane_b32 v48, s11, 3
	v_or_b32_e32 v31, s0, v1
	v_mov_b32_e32 v6, 0
	s_mov_b32 s1, s3
	s_cmp_gt_i32 s3, 0
	v_pk_mov_b32 v[2:3], 0, 0
	v_and_b32_e32 v30, 3, v0
	v_lshlrev_b32_e32 v32, 3, v0
	s_mov_b32 s70, 0
	v_mov_b32_e32 v7, v6
	v_cmp_gt_i32_e32 vcc, s33, v31
	v_writelane_b32 v48, s0, 4
	s_cselect_b64 s[2:3], -1, 0
	v_pk_mov_b32 v[4:5], v[2:3], v[2:3] op_sel:[0,1]
	ds_write_b64 v32, v[6:7]
	s_waitcnt lgkmcnt(0)
	s_barrier
	v_writelane_b32 v48, s1, 5
	s_and_b64 s[2:3], s[2:3], vcc
	s_mov_b64 s[6:7], exec
	v_writelane_b32 v48, s6, 6
	s_and_b64 s[2:3], s[6:7], s[2:3]
	v_writelane_b32 v48, s7, 7
	s_mov_b64 exec, s[2:3]
	s_cbranch_execz .LBB23_148
; %bb.1:
	s_load_dwordx2 s[2:3], s[4:5], 0xc8
	v_writelane_b32 v48, s20, 8
	v_writelane_b32 v48, s21, 9
	;; [unrolled: 1-line block ×4, first 2 shown]
	s_waitcnt lgkmcnt(0)
	v_writelane_b32 v48, s2, 12
	v_writelane_b32 v48, s3, 13
	s_xor_b64 s[2:3], s[34:35], -1
	v_writelane_b32 v48, s2, 14
	s_addk_i32 s0, 0x400
	s_load_dwordx4 s[64:67], s[4:5], 0xa8
	s_load_dwordx8 s[36:43], s[4:5], 0x78
	s_load_dwordx8 s[44:51], s[4:5], 0x48
	;; [unrolled: 1-line block ×3, first 2 shown]
	v_writelane_b32 v48, s3, 15
	v_cmp_gt_u32_e64 s[2:3], s0, v31
	s_load_dword s84, s[4:5], 0x40
	s_load_dwordx2 s[78:79], s[4:5], 0x68
	s_load_dword s85, s[4:5], 0x70
	s_load_dwordx2 s[80:81], s[4:5], 0x98
	s_load_dword s71, s[4:5], 0xa0
	v_writelane_b32 v48, s2, 16
	v_writelane_b32 v48, s3, 17
	v_cmp_eq_u32_e64 s[2:3], 3, v30
	v_writelane_b32 v48, s2, 18
	v_writelane_b32 v48, s3, 19
	s_and_b64 s[2:3], s[34:35], s[26:27]
	s_movk_i32 s1, 0x80
	s_xor_b64 s[2:3], s[2:3], -1
	v_pk_mov_b32 v[4:5], 0, 0
	s_waitcnt lgkmcnt(0)
	v_subrev_u32_e32 v33, s84, v30
	v_lshlrev_b32_e32 v34, 3, v1
	v_cmp_gt_u32_e64 s[4:5], s1, v0
	v_cmp_gt_u32_e64 s[6:7], 64, v0
	;; [unrolled: 1-line block ×7, first 2 shown]
	v_cmp_eq_u32_e64 s[18:19], 0, v0
	v_subrev_u32_e32 v35, s85, v30
	v_subrev_u32_e32 v36, s71, v30
	v_cmp_eq_u32_e64 s[20:21], 0, v30
	v_writelane_b32 v48, s2, 20
	s_mov_b64 s[82:83], 0
	s_movk_i32 s1, 0x1f8
	v_mov_b32_e32 v7, 0
	v_pk_mov_b32 v[2:3], v[4:5], v[4:5] op_sel:[0,1]
	v_writelane_b32 v48, s3, 21
	s_branch .LBB23_3
.LBB23_2:                               ;   in Loop: Header=BB23_3 Depth=1
	s_or_b64 exec, exec, s[28:29]
	s_and_b64 s[2:3], exec, s[24:25]
	s_or_b64 s[82:83], s[2:3], s[82:83]
	s_andn2_b64 exec, exec, s[82:83]
	s_cbranch_execz .LBB23_147
.LBB23_3:                               ; =>This Loop Header: Depth=1
                                        ;     Child Loop BB23_7 Depth 2
                                        ;       Child Loop BB23_12 Depth 3
                                        ;         Child Loop BB23_16 Depth 4
                                        ;         Child Loop BB23_37 Depth 4
	;; [unrolled: 1-line block ×5, first 2 shown]
                                        ;     Child Loop BB23_126 Depth 2
                                        ;       Child Loop BB23_129 Depth 3
                                        ;       Child Loop BB23_132 Depth 3
	s_mov_b32 s2, 0
	v_cndmask_b32_e64 v5, v5, 0, s[34:35]
	v_cndmask_b32_e64 v4, v4, 0, s[34:35]
	;; [unrolled: 1-line block ×4, first 2 shown]
	s_branch .LBB23_7
.LBB23_4:                               ;   in Loop: Header=BB23_7 Depth=2
	s_or_b64 exec, exec, s[90:91]
.LBB23_5:                               ;   in Loop: Header=BB23_7 Depth=2
	s_or_b64 exec, exec, s[88:89]
.LBB23_6:                               ;   in Loop: Header=BB23_7 Depth=2
	s_or_b64 exec, exec, s[86:87]
	s_add_i32 s2, s2, 1
	s_cmp_eq_u32 s2, 4
	s_cbranch_scc1 .LBB23_83
.LBB23_7:                               ;   Parent Loop BB23_3 Depth=1
                                        ; =>  This Loop Header: Depth=2
                                        ;       Child Loop BB23_12 Depth 3
                                        ;         Child Loop BB23_16 Depth 4
                                        ;         Child Loop BB23_37 Depth 4
	;; [unrolled: 1-line block ×5, first 2 shown]
	v_lshl_add_u32 v8, s2, 8, v31
	v_cmp_gt_i32_e32 vcc, s33, v8
	s_and_saveexec_b64 s[86:87], vcc
	s_cbranch_execz .LBB23_6
; %bb.8:                                ;   in Loop: Header=BB23_7 Depth=2
	v_ashrrev_i32_e32 v9, 31, v8
	v_lshlrev_b64 v[12:13], 2, v[8:9]
	v_mov_b32_e32 v6, s53
	v_add_co_u32_e32 v10, vcc, s52, v12
	v_addc_co_u32_e32 v11, vcc, v6, v13, vcc
	global_load_dword v6, v[10:11], off
	v_mov_b32_e32 v9, s55
	v_add_co_u32_e32 v10, vcc, s54, v12
	v_addc_co_u32_e32 v11, vcc, v9, v13, vcc
	global_load_dword v9, v[10:11], off
	s_waitcnt vmcnt(1)
	v_add_u32_e32 v10, v33, v6
	s_waitcnt vmcnt(0)
	v_subrev_u32_e32 v9, s84, v9
	v_cmp_lt_i32_e32 vcc, v10, v9
	s_and_saveexec_b64 s[88:89], vcc
	s_cbranch_execz .LBB23_5
; %bb.9:                                ;   in Loop: Header=BB23_7 Depth=2
	v_mov_b32_e32 v6, s47
	v_add_co_u32_e32 v14, vcc, s46, v12
	v_addc_co_u32_e32 v15, vcc, v6, v13, vcc
	v_mov_b32_e32 v6, s45
	v_add_co_u32_e32 v12, vcc, s44, v12
	v_addc_co_u32_e32 v13, vcc, v6, v13, vcc
	global_load_dword v6, v[12:13], off
	global_load_dword v11, v[14:15], off
	v_mov_b32_e32 v18, s49
	v_mov_b32_e32 v19, s51
	s_mov_b64 s[90:91], 0
	s_waitcnt vmcnt(1)
	v_subrev_u32_e32 v12, s85, v6
	v_ashrrev_i32_e32 v13, 31, v12
	v_lshlrev_b64 v[14:15], 2, v[12:13]
	v_lshlrev_b64 v[16:17], 3, v[12:13]
	v_add_co_u32_e32 v13, vcc, s48, v14
	v_addc_co_u32_e32 v38, vcc, v18, v15, vcc
	s_waitcnt vmcnt(0)
	v_sub_u32_e32 v37, v11, v6
	v_add_co_u32_e32 v39, vcc, s50, v16
	v_cmp_lt_i32_e64 s[22:23], 0, v37
	v_addc_co_u32_e32 v40, vcc, v19, v17, vcc
	s_branch .LBB23_12
.LBB23_10:                              ;   in Loop: Header=BB23_12 Depth=3
	s_or_b64 exec, exec, s[28:29]
.LBB23_11:                              ;   in Loop: Header=BB23_12 Depth=3
	s_or_b64 exec, exec, s[24:25]
	v_add_u32_e32 v10, 4, v10
	v_cmp_ge_i32_e32 vcc, v10, v9
	s_or_b64 s[90:91], vcc, s[90:91]
	s_andn2_b64 exec, exec, s[90:91]
	s_cbranch_execz .LBB23_4
.LBB23_12:                              ;   Parent Loop BB23_3 Depth=1
                                        ;     Parent Loop BB23_7 Depth=2
                                        ; =>    This Loop Header: Depth=3
                                        ;         Child Loop BB23_16 Depth 4
                                        ;         Child Loop BB23_37 Depth 4
	;; [unrolled: 1-line block ×5, first 2 shown]
	v_ashrrev_i32_e32 v11, 31, v10
	v_lshlrev_b64 v[14:15], 2, v[10:11]
	v_mov_b32_e32 v6, s57
	v_add_co_u32_e32 v14, vcc, s56, v14
	v_addc_co_u32_e32 v15, vcc, v6, v15, vcc
	global_load_dword v6, v[14:15], off
	v_mov_b32_e32 v19, s37
	v_mov_b32_e32 v20, s39
	;; [unrolled: 1-line block ×3, first 2 shown]
	s_waitcnt vmcnt(0)
	v_subrev_u32_e32 v14, s84, v6
	v_ashrrev_i32_e32 v15, 31, v14
	v_lshlrev_b64 v[16:17], 2, v[14:15]
	v_add_co_u32_e32 v18, vcc, s36, v16
	v_addc_co_u32_e32 v19, vcc, v19, v17, vcc
	v_add_co_u32_e32 v16, vcc, s38, v16
	v_addc_co_u32_e32 v17, vcc, v20, v17, vcc
	global_load_dword v6, v[18:19], off
	s_nop 0
	global_load_dword v18, v[16:17], off
	v_pk_mov_b32 v[16:17], 0, 0
	s_waitcnt vmcnt(1)
	v_subrev_u32_e32 v20, s71, v6
	s_waitcnt vmcnt(0)
	v_sub_u32_e32 v41, v18, v6
	v_mov_b32_e32 v6, 0
	s_and_saveexec_b64 s[24:25], s[22:23]
	s_cbranch_execz .LBB23_20
; %bb.13:                               ;   in Loop: Header=BB23_12 Depth=3
	v_ashrrev_i32_e32 v21, 31, v20
	v_lshlrev_b64 v[16:17], 2, v[20:21]
	v_mov_b32_e32 v6, s41
	v_add_co_u32_e32 v18, vcc, s40, v16
	v_addc_co_u32_e32 v19, vcc, v6, v17, vcc
	v_lshlrev_b64 v[16:17], 3, v[20:21]
	v_mov_b32_e32 v6, s43
	v_add_co_u32_e32 v21, vcc, s42, v16
	v_addc_co_u32_e32 v24, vcc, v6, v17, vcc
	v_mov_b32_e32 v6, 0
	s_mov_b64 s[72:73], 0
	v_pk_mov_b32 v[16:17], 0, 0
	v_mov_b32_e32 v22, v6
                                        ; implicit-def: $sgpr76_sgpr77
	s_branch .LBB23_16
.LBB23_14:                              ;   in Loop: Header=BB23_16 Depth=4
	s_or_b64 exec, exec, s[28:29]
	v_cmp_le_i32_e32 vcc, v25, v26
	v_addc_co_u32_e32 v6, vcc, 0, v6, vcc
	v_cmp_ge_i32_e32 vcc, v25, v26
	v_addc_co_u32_e32 v22, vcc, 0, v22, vcc
	v_cmp_ge_i32_e32 vcc, v6, v37
	s_andn2_b64 s[28:29], s[76:77], exec
	s_and_b64 s[30:31], vcc, exec
	s_or_b64 s[76:77], s[28:29], s[30:31]
.LBB23_15:                              ;   in Loop: Header=BB23_16 Depth=4
	s_or_b64 exec, exec, s[60:61]
	s_and_b64 s[28:29], exec, s[76:77]
	s_or_b64 s[72:73], s[28:29], s[72:73]
	s_andn2_b64 exec, exec, s[72:73]
	s_cbranch_execz .LBB23_19
.LBB23_16:                              ;   Parent Loop BB23_3 Depth=1
                                        ;     Parent Loop BB23_7 Depth=2
                                        ;       Parent Loop BB23_12 Depth=3
                                        ; =>      This Inner Loop Header: Depth=4
	v_cmp_lt_i32_e32 vcc, v22, v41
	s_or_b64 s[76:77], s[76:77], exec
	s_and_saveexec_b64 s[60:61], vcc
	s_cbranch_execz .LBB23_15
; %bb.17:                               ;   in Loop: Header=BB23_16 Depth=4
	v_lshlrev_b64 v[26:27], 2, v[6:7]
	v_add_co_u32_e32 v26, vcc, v13, v26
	v_addc_co_u32_e32 v27, vcc, v38, v27, vcc
	v_mov_b32_e32 v23, v7
	global_load_dword v25, v[26:27], off
	v_lshlrev_b64 v[26:27], 2, v[22:23]
	v_add_co_u32_e32 v26, vcc, v18, v26
	v_addc_co_u32_e32 v27, vcc, v19, v27, vcc
	global_load_dword v26, v[26:27], off
	s_waitcnt vmcnt(1)
	v_subrev_u32_e32 v25, s85, v25
	s_waitcnt vmcnt(0)
	v_subrev_u32_e32 v26, s71, v26
	v_cmp_eq_u32_e32 vcc, v25, v26
	s_and_saveexec_b64 s[28:29], vcc
	s_cbranch_execz .LBB23_14
; %bb.18:                               ;   in Loop: Header=BB23_16 Depth=4
	v_lshlrev_b64 v[28:29], 3, v[6:7]
	v_add_co_u32_e32 v28, vcc, v39, v28
	v_addc_co_u32_e32 v29, vcc, v40, v29, vcc
	v_lshlrev_b64 v[42:43], 3, v[22:23]
	v_add_co_u32_e32 v42, vcc, v21, v42
	v_addc_co_u32_e32 v43, vcc, v24, v43, vcc
	global_load_dwordx2 v[28:29], v[28:29], off
	s_nop 0
	global_load_dwordx2 v[42:43], v[42:43], off
	s_waitcnt vmcnt(0)
	v_fmac_f64_e32 v[16:17], v[28:29], v[42:43]
	s_branch .LBB23_14
.LBB23_19:                              ;   in Loop: Header=BB23_12 Depth=3
	s_or_b64 exec, exec, s[72:73]
.LBB23_20:                              ;   in Loop: Header=BB23_12 Depth=3
	s_or_b64 exec, exec, s[24:25]
	v_lshlrev_b64 v[18:19], 3, v[10:11]
	v_mov_b32_e32 v11, s59
	v_add_co_u32_e32 v18, vcc, s58, v18
	v_addc_co_u32_e32 v19, vcc, v11, v19, vcc
	global_load_dwordx2 v[18:19], v[18:19], off
	v_cmp_le_i32_e64 s[24:25], v8, v14
	v_cmp_gt_i32_e32 vcc, v8, v14
	s_waitcnt vmcnt(0)
	v_add_f64 v[24:25], v[18:19], -v[16:17]
	s_and_saveexec_b64 s[28:29], vcc
	s_cbranch_execnz .LBB23_23
; %bb.21:                               ;   in Loop: Header=BB23_12 Depth=3
	s_or_b64 exec, exec, s[28:29]
	v_cmp_class_f64_e64 s[92:93], v[24:25], s1
	s_and_saveexec_b64 s[94:95], s[92:93]
	s_cbranch_execnz .LBB23_26
.LBB23_22:                              ;   in Loop: Header=BB23_12 Depth=3
	s_or_b64 exec, exec, s[94:95]
	s_and_b64 s[28:29], s[92:93], s[26:27]
	s_and_saveexec_b64 s[24:25], s[28:29]
	s_cbranch_execz .LBB23_11
	s_branch .LBB23_61
.LBB23_23:                              ;   in Loop: Header=BB23_12 Depth=3
	v_lshlrev_b64 v[26:27], 3, v[14:15]
	v_mov_b32_e32 v11, s65
	v_add_co_u32_e32 v26, vcc, s64, v26
	v_addc_co_u32_e32 v27, vcc, v11, v27, vcc
	global_load_dwordx2 v[26:27], v[26:27], off
	v_pk_mov_b32 v[28:29], 0, 0
	s_waitcnt vmcnt(0)
	v_cmp_lg_f64_e32 vcc, 0, v[26:27]
	s_and_saveexec_b64 s[30:31], vcc
; %bb.24:                               ;   in Loop: Header=BB23_12 Depth=3
	v_div_scale_f64 v[28:29], s[60:61], v[26:27], v[26:27], v[24:25]
	v_rcp_f64_e32 v[42:43], v[28:29]
	v_div_scale_f64 v[44:45], vcc, v[24:25], v[26:27], v[24:25]
	v_fma_f64 v[46:47], -v[28:29], v[42:43], 1.0
	v_fmac_f64_e32 v[42:43], v[42:43], v[46:47]
	v_fma_f64 v[46:47], -v[28:29], v[42:43], 1.0
	v_fmac_f64_e32 v[42:43], v[42:43], v[46:47]
	v_mul_f64 v[46:47], v[44:45], v[42:43]
	v_fma_f64 v[28:29], -v[28:29], v[46:47], v[44:45]
	v_div_fmas_f64 v[28:29], v[28:29], v[42:43], v[46:47]
	v_div_fixup_f64 v[28:29], v[28:29], v[26:27], v[24:25]
; %bb.25:                               ;   in Loop: Header=BB23_12 Depth=3
	s_or_b64 exec, exec, s[30:31]
	v_pk_mov_b32 v[24:25], v[28:29], v[28:29] op_sel:[0,1]
	s_or_b64 exec, exec, s[28:29]
	v_cmp_class_f64_e64 s[92:93], v[24:25], s1
	s_and_saveexec_b64 s[94:95], s[92:93]
	s_cbranch_execz .LBB23_22
.LBB23_26:                              ;   in Loop: Header=BB23_12 Depth=3
	s_and_saveexec_b64 s[28:29], s[24:25]
	s_xor_b64 s[24:25], exec, s[28:29]
	s_cbranch_execz .LBB23_47
; %bb.27:                               ;   in Loop: Header=BB23_12 Depth=3
	v_cmp_ge_i32_e32 vcc, v8, v14
	s_and_saveexec_b64 s[28:29], vcc
	s_xor_b64 s[28:29], exec, s[28:29]
	s_cbranch_execz .LBB23_33
; %bb.28:                               ;   in Loop: Header=BB23_12 Depth=3
	v_lshlrev_b64 v[26:27], 3, v[14:15]
	v_mov_b32_e32 v11, s67
	v_add_co_u32_e32 v28, vcc, s66, v26
	v_addc_co_u32_e32 v29, vcc, v11, v27, vcc
	s_andn2_b64 vcc, exec, s[34:35]
	global_store_dwordx2 v[28:29], v[24:25], off
	s_cbranch_vccnz .LBB23_32
; %bb.29:                               ;   in Loop: Header=BB23_12 Depth=3
	v_mov_b32_e32 v11, s65
	v_add_co_u32_e32 v26, vcc, s64, v26
	v_addc_co_u32_e32 v27, vcc, v11, v27, vcc
	global_load_dwordx2 v[26:27], v[26:27], off
	s_waitcnt vmcnt(0)
	v_add_f64 v[24:25], v[26:27], -v[24:25]
	v_cmp_class_f64_e64 s[60:61], v[24:25], s1
	s_and_saveexec_b64 s[30:31], s[60:61]
; %bb.30:                               ;   in Loop: Header=BB23_12 Depth=3
	v_and_b32_e32 v11, 0x7fffffff, v25
	v_cmp_lt_f64_e64 vcc, v[4:5], |v[24:25]|
	v_cndmask_b32_e32 v5, v5, v11, vcc
	v_cndmask_b32_e32 v4, v4, v24, vcc
; %bb.31:                               ;   in Loop: Header=BB23_12 Depth=3
	s_or_b64 exec, exec, s[30:31]
.LBB23_32:                              ;   in Loop: Header=BB23_12 Depth=3
                                        ; implicit-def: $vgpr24_vgpr25
.LBB23_33:                              ;   in Loop: Header=BB23_12 Depth=3
	s_andn2_saveexec_b64 s[72:73], s[28:29]
	s_cbranch_execz .LBB23_46
; %bb.34:                               ;   in Loop: Header=BB23_12 Depth=3
	v_cmp_lt_i32_e32 vcc, v22, v41
	s_and_saveexec_b64 s[76:77], vcc
	s_cbranch_execz .LBB23_45
; %bb.35:                               ;   in Loop: Header=BB23_12 Depth=3
	s_mov_b64 s[60:61], 0
	v_mov_b32_e32 v11, v22
                                        ; implicit-def: $sgpr62_sgpr63
                                        ; implicit-def: $sgpr30_sgpr31
                                        ; implicit-def: $sgpr28_sgpr29
	s_branch .LBB23_37
.LBB23_36:                              ;   in Loop: Header=BB23_37 Depth=4
	s_or_b64 exec, exec, s[74:75]
	s_and_b64 s[74:75], exec, s[30:31]
	s_or_b64 s[60:61], s[74:75], s[60:61]
	s_andn2_b64 s[62:63], s[62:63], exec
	s_and_b64 s[74:75], s[28:29], exec
	s_or_b64 s[62:63], s[62:63], s[74:75]
	s_andn2_b64 exec, exec, s[60:61]
	s_cbranch_execz .LBB23_39
.LBB23_37:                              ;   Parent Loop BB23_3 Depth=1
                                        ;     Parent Loop BB23_7 Depth=2
                                        ;       Parent Loop BB23_12 Depth=3
                                        ; =>      This Inner Loop Header: Depth=4
	v_add_u32_e32 v26, v20, v11
	v_ashrrev_i32_e32 v27, 31, v26
	v_lshlrev_b64 v[28:29], 2, v[26:27]
	v_mov_b32_e32 v21, s41
	v_add_co_u32_e32 v28, vcc, s40, v28
	v_addc_co_u32_e32 v29, vcc, v21, v29, vcc
	global_load_dword v21, v[28:29], off
	s_or_b64 s[28:29], s[28:29], exec
	s_or_b64 s[30:31], s[30:31], exec
	s_waitcnt vmcnt(0)
	v_subrev_u32_e32 v21, s71, v21
	v_cmp_ne_u32_e32 vcc, v21, v8
	s_and_saveexec_b64 s[74:75], vcc
	s_cbranch_execz .LBB23_36
; %bb.38:                               ;   in Loop: Header=BB23_37 Depth=4
	v_add_u32_e32 v11, 1, v11
	v_cmp_ge_i32_e32 vcc, v11, v41
	s_andn2_b64 s[30:31], s[30:31], exec
	s_and_b64 vcc, vcc, exec
	s_andn2_b64 s[28:29], s[28:29], exec
	s_or_b64 s[30:31], s[30:31], vcc
	s_branch .LBB23_36
.LBB23_39:                              ;   in Loop: Header=BB23_12 Depth=3
	s_or_b64 exec, exec, s[60:61]
	s_and_saveexec_b64 s[28:29], s[62:63]
	s_xor_b64 s[28:29], exec, s[28:29]
	s_cbranch_execz .LBB23_44
; %bb.40:                               ;   in Loop: Header=BB23_12 Depth=3
	v_lshlrev_b64 v[26:27], 3, v[26:27]
	v_mov_b32_e32 v11, s81
	v_add_co_u32_e32 v28, vcc, s80, v26
	v_addc_co_u32_e32 v29, vcc, v11, v27, vcc
	s_andn2_b64 vcc, exec, s[34:35]
	global_store_dwordx2 v[28:29], v[24:25], off
	s_cbranch_vccnz .LBB23_44
; %bb.41:                               ;   in Loop: Header=BB23_12 Depth=3
	v_mov_b32_e32 v11, s43
	v_add_co_u32_e32 v26, vcc, s42, v26
	v_addc_co_u32_e32 v27, vcc, v11, v27, vcc
	global_load_dwordx2 v[26:27], v[26:27], off
	s_waitcnt vmcnt(0)
	v_add_f64 v[24:25], v[26:27], -v[24:25]
	v_cmp_class_f64_e64 s[60:61], v[24:25], s1
	s_and_saveexec_b64 s[30:31], s[60:61]
; %bb.42:                               ;   in Loop: Header=BB23_12 Depth=3
	v_and_b32_e32 v11, 0x7fffffff, v25
	v_cmp_lt_f64_e64 vcc, v[4:5], |v[24:25]|
	v_cndmask_b32_e32 v5, v5, v11, vcc
	v_cndmask_b32_e32 v4, v4, v24, vcc
; %bb.43:                               ;   in Loop: Header=BB23_12 Depth=3
	s_or_b64 exec, exec, s[30:31]
.LBB23_44:                              ;   in Loop: Header=BB23_12 Depth=3
	s_or_b64 exec, exec, s[28:29]
.LBB23_45:                              ;   in Loop: Header=BB23_12 Depth=3
	s_or_b64 exec, exec, s[76:77]
.LBB23_46:                              ;   in Loop: Header=BB23_12 Depth=3
	s_or_b64 exec, exec, s[72:73]
                                        ; implicit-def: $vgpr24_vgpr25
.LBB23_47:                              ;   in Loop: Header=BB23_12 Depth=3
	s_andn2_saveexec_b64 s[24:25], s[24:25]
	s_cbranch_execz .LBB23_60
; %bb.48:                               ;   in Loop: Header=BB23_12 Depth=3
	v_cmp_lt_i32_e32 vcc, v6, v37
	s_and_saveexec_b64 s[72:73], vcc
	s_cbranch_execz .LBB23_59
; %bb.49:                               ;   in Loop: Header=BB23_12 Depth=3
	s_mov_b64 s[76:77], 0
	v_mov_b32_e32 v11, v6
                                        ; implicit-def: $sgpr60_sgpr61
                                        ; implicit-def: $sgpr30_sgpr31
                                        ; implicit-def: $sgpr28_sgpr29
	s_branch .LBB23_51
.LBB23_50:                              ;   in Loop: Header=BB23_51 Depth=4
	s_or_b64 exec, exec, s[62:63]
	s_and_b64 s[62:63], exec, s[30:31]
	s_or_b64 s[76:77], s[62:63], s[76:77]
	s_andn2_b64 s[60:61], s[60:61], exec
	s_and_b64 s[62:63], s[28:29], exec
	s_or_b64 s[60:61], s[60:61], s[62:63]
	s_andn2_b64 exec, exec, s[76:77]
	s_cbranch_execz .LBB23_53
.LBB23_51:                              ;   Parent Loop BB23_3 Depth=1
                                        ;     Parent Loop BB23_7 Depth=2
                                        ;       Parent Loop BB23_12 Depth=3
                                        ; =>      This Inner Loop Header: Depth=4
	v_add_u32_e32 v26, v12, v11
	v_ashrrev_i32_e32 v27, 31, v26
	v_lshlrev_b64 v[28:29], 2, v[26:27]
	v_mov_b32_e32 v21, s49
	v_add_co_u32_e32 v28, vcc, s48, v28
	v_addc_co_u32_e32 v29, vcc, v21, v29, vcc
	global_load_dword v21, v[28:29], off
	s_or_b64 s[28:29], s[28:29], exec
	s_or_b64 s[30:31], s[30:31], exec
	s_waitcnt vmcnt(0)
	v_subrev_u32_e32 v21, s85, v21
	v_cmp_ne_u32_e32 vcc, v21, v14
	s_and_saveexec_b64 s[62:63], vcc
	s_cbranch_execz .LBB23_50
; %bb.52:                               ;   in Loop: Header=BB23_51 Depth=4
	v_add_u32_e32 v11, 1, v11
	v_cmp_ge_i32_e32 vcc, v11, v37
	s_andn2_b64 s[30:31], s[30:31], exec
	s_and_b64 s[74:75], vcc, exec
	s_andn2_b64 s[28:29], s[28:29], exec
	s_or_b64 s[30:31], s[30:31], s[74:75]
	s_branch .LBB23_50
.LBB23_53:                              ;   in Loop: Header=BB23_12 Depth=3
	s_or_b64 exec, exec, s[76:77]
	s_and_saveexec_b64 s[28:29], s[60:61]
	s_xor_b64 s[28:29], exec, s[28:29]
	s_cbranch_execz .LBB23_58
; %bb.54:                               ;   in Loop: Header=BB23_12 Depth=3
	v_lshlrev_b64 v[26:27], 3, v[26:27]
	v_mov_b32_e32 v11, s79
	v_add_co_u32_e32 v28, vcc, s78, v26
	v_addc_co_u32_e32 v29, vcc, v11, v27, vcc
	s_andn2_b64 vcc, exec, s[34:35]
	global_store_dwordx2 v[28:29], v[24:25], off
	s_cbranch_vccnz .LBB23_58
; %bb.55:                               ;   in Loop: Header=BB23_12 Depth=3
	v_mov_b32_e32 v11, s51
	v_add_co_u32_e32 v26, vcc, s50, v26
	v_addc_co_u32_e32 v27, vcc, v11, v27, vcc
	global_load_dwordx2 v[26:27], v[26:27], off
	s_waitcnt vmcnt(0)
	v_add_f64 v[24:25], v[26:27], -v[24:25]
	v_cmp_class_f64_e64 s[60:61], v[24:25], s1
	s_and_saveexec_b64 s[30:31], s[60:61]
; %bb.56:                               ;   in Loop: Header=BB23_12 Depth=3
	v_and_b32_e32 v11, 0x7fffffff, v25
	v_cmp_lt_f64_e64 vcc, v[4:5], |v[24:25]|
	v_cndmask_b32_e32 v5, v5, v11, vcc
	v_cndmask_b32_e32 v4, v4, v24, vcc
; %bb.57:                               ;   in Loop: Header=BB23_12 Depth=3
	s_or_b64 exec, exec, s[30:31]
.LBB23_58:                              ;   in Loop: Header=BB23_12 Depth=3
	s_or_b64 exec, exec, s[28:29]
.LBB23_59:                              ;   in Loop: Header=BB23_12 Depth=3
	s_or_b64 exec, exec, s[72:73]
.LBB23_60:                              ;   in Loop: Header=BB23_12 Depth=3
	s_or_b64 exec, exec, s[24:25]
	s_or_b64 exec, exec, s[94:95]
	s_and_b64 s[28:29], s[92:93], s[26:27]
	s_and_saveexec_b64 s[24:25], s[28:29]
	s_cbranch_execz .LBB23_11
.LBB23_61:                              ;   in Loop: Header=BB23_12 Depth=3
	v_cmp_ge_i32_e32 vcc, v22, v41
	s_and_saveexec_b64 s[28:29], vcc
	s_xor_b64 s[72:73], exec, s[28:29]
	s_cbranch_execnz .LBB23_67
; %bb.62:                               ;   in Loop: Header=BB23_12 Depth=3
	s_andn2_saveexec_b64 s[72:73], s[72:73]
	s_cbranch_execnz .LBB23_76
.LBB23_63:                              ;   in Loop: Header=BB23_12 Depth=3
	s_or_b64 exec, exec, s[72:73]
	v_cmp_eq_u32_e32 vcc, v8, v14
	s_and_saveexec_b64 s[28:29], vcc
	s_cbranch_execz .LBB23_65
.LBB23_64:                              ;   in Loop: Header=BB23_12 Depth=3
	v_lshlrev_b64 v[14:15], 3, v[14:15]
	v_mov_b32_e32 v6, s65
	v_add_co_u32_e32 v14, vcc, s64, v14
	v_addc_co_u32_e32 v15, vcc, v6, v15, vcc
	global_load_dwordx2 v[14:15], v[14:15], off
	s_waitcnt vmcnt(0)
	v_add_f64 v[16:17], v[16:17], v[14:15]
.LBB23_65:                              ;   in Loop: Header=BB23_12 Depth=3
	s_or_b64 exec, exec, s[28:29]
	v_add_f64 v[14:15], v[18:19], -v[16:17]
	v_cmp_class_f64_e64 s[30:31], v[14:15], s1
	s_and_saveexec_b64 s[28:29], s[30:31]
	s_cbranch_execz .LBB23_10
; %bb.66:                               ;   in Loop: Header=BB23_12 Depth=3
	v_and_b32_e32 v6, 0x7fffffff, v15
	v_cmp_lt_f64_e64 vcc, v[2:3], |v[14:15]|
	v_cndmask_b32_e32 v3, v3, v6, vcc
	v_cndmask_b32_e32 v2, v2, v14, vcc
	s_branch .LBB23_10
.LBB23_67:                              ;   in Loop: Header=BB23_12 Depth=3
	v_cmp_lt_i32_e32 vcc, v6, v37
	s_and_saveexec_b64 s[76:77], vcc
	s_cbranch_execz .LBB23_75
; %bb.68:                               ;   in Loop: Header=BB23_12 Depth=3
	s_mov_b64 s[60:61], 0
                                        ; implicit-def: $sgpr62_sgpr63
                                        ; implicit-def: $sgpr30_sgpr31
                                        ; implicit-def: $sgpr28_sgpr29
	s_branch .LBB23_70
.LBB23_69:                              ;   in Loop: Header=BB23_70 Depth=4
	s_or_b64 exec, exec, s[74:75]
	s_and_b64 s[74:75], exec, s[30:31]
	s_or_b64 s[60:61], s[74:75], s[60:61]
	s_andn2_b64 s[62:63], s[62:63], exec
	s_and_b64 s[74:75], s[28:29], exec
	s_or_b64 s[62:63], s[62:63], s[74:75]
	s_andn2_b64 exec, exec, s[60:61]
	s_cbranch_execz .LBB23_72
.LBB23_70:                              ;   Parent Loop BB23_3 Depth=1
                                        ;     Parent Loop BB23_7 Depth=2
                                        ;       Parent Loop BB23_12 Depth=3
                                        ; =>      This Inner Loop Header: Depth=4
	v_add_u32_e32 v20, v12, v6
	v_ashrrev_i32_e32 v21, 31, v20
	v_lshlrev_b64 v[22:23], 2, v[20:21]
	v_mov_b32_e32 v11, s49
	v_add_co_u32_e32 v22, vcc, s48, v22
	v_addc_co_u32_e32 v23, vcc, v11, v23, vcc
	global_load_dword v11, v[22:23], off
	s_or_b64 s[28:29], s[28:29], exec
	s_or_b64 s[30:31], s[30:31], exec
	s_waitcnt vmcnt(0)
	v_subrev_u32_e32 v11, s85, v11
	v_cmp_ne_u32_e32 vcc, v11, v14
	s_and_saveexec_b64 s[74:75], vcc
	s_cbranch_execz .LBB23_69
; %bb.71:                               ;   in Loop: Header=BB23_70 Depth=4
	v_add_u32_e32 v6, 1, v6
	v_cmp_ge_i32_e32 vcc, v6, v37
	s_andn2_b64 s[30:31], s[30:31], exec
	s_and_b64 s[92:93], vcc, exec
	s_andn2_b64 s[28:29], s[28:29], exec
	s_or_b64 s[30:31], s[30:31], s[92:93]
	s_branch .LBB23_69
.LBB23_72:                              ;   in Loop: Header=BB23_12 Depth=3
	s_or_b64 exec, exec, s[60:61]
	s_and_saveexec_b64 s[28:29], s[62:63]
	s_xor_b64 s[28:29], exec, s[28:29]
	s_cbranch_execz .LBB23_74
; %bb.73:                               ;   in Loop: Header=BB23_12 Depth=3
	v_lshlrev_b64 v[20:21], 3, v[20:21]
	v_mov_b32_e32 v6, s51
	v_add_co_u32_e32 v20, vcc, s50, v20
	v_addc_co_u32_e32 v21, vcc, v6, v21, vcc
	v_lshlrev_b64 v[22:23], 3, v[14:15]
	v_mov_b32_e32 v6, s65
	v_add_co_u32_e32 v22, vcc, s64, v22
	v_addc_co_u32_e32 v23, vcc, v6, v23, vcc
	global_load_dwordx2 v[20:21], v[20:21], off
	s_nop 0
	global_load_dwordx2 v[22:23], v[22:23], off
	s_waitcnt vmcnt(0)
	v_fmac_f64_e32 v[16:17], v[20:21], v[22:23]
.LBB23_74:                              ;   in Loop: Header=BB23_12 Depth=3
	s_or_b64 exec, exec, s[28:29]
.LBB23_75:                              ;   in Loop: Header=BB23_12 Depth=3
	s_or_b64 exec, exec, s[76:77]
                                        ; implicit-def: $vgpr22
                                        ; implicit-def: $vgpr20
                                        ; implicit-def: $vgpr41
	s_andn2_saveexec_b64 s[72:73], s[72:73]
	s_cbranch_execz .LBB23_63
.LBB23_76:                              ;   in Loop: Header=BB23_12 Depth=3
	s_mov_b64 s[60:61], 0
                                        ; implicit-def: $sgpr62_sgpr63
                                        ; implicit-def: $sgpr30_sgpr31
                                        ; implicit-def: $sgpr28_sgpr29
	s_branch .LBB23_78
.LBB23_77:                              ;   in Loop: Header=BB23_78 Depth=4
	s_or_b64 exec, exec, s[74:75]
	s_and_b64 s[74:75], exec, s[30:31]
	s_or_b64 s[60:61], s[74:75], s[60:61]
	s_andn2_b64 s[62:63], s[62:63], exec
	s_and_b64 s[74:75], s[28:29], exec
	s_or_b64 s[62:63], s[62:63], s[74:75]
	s_andn2_b64 exec, exec, s[60:61]
	s_cbranch_execz .LBB23_80
.LBB23_78:                              ;   Parent Loop BB23_3 Depth=1
                                        ;     Parent Loop BB23_7 Depth=2
                                        ;       Parent Loop BB23_12 Depth=3
                                        ; =>      This Inner Loop Header: Depth=4
	v_add_u32_e32 v24, v20, v22
	v_ashrrev_i32_e32 v25, 31, v24
	v_lshlrev_b64 v[26:27], 2, v[24:25]
	v_mov_b32_e32 v6, s41
	v_add_co_u32_e32 v26, vcc, s40, v26
	v_addc_co_u32_e32 v27, vcc, v6, v27, vcc
	global_load_dword v6, v[26:27], off
	s_or_b64 s[28:29], s[28:29], exec
	s_or_b64 s[30:31], s[30:31], exec
	s_waitcnt vmcnt(0)
	v_subrev_u32_e32 v6, s71, v6
	v_cmp_ne_u32_e32 vcc, v6, v8
	s_and_saveexec_b64 s[74:75], vcc
	s_cbranch_execz .LBB23_77
; %bb.79:                               ;   in Loop: Header=BB23_78 Depth=4
	v_add_u32_e32 v22, 1, v22
	v_cmp_ge_i32_e32 vcc, v22, v41
	s_andn2_b64 s[30:31], s[30:31], exec
	s_and_b64 s[76:77], vcc, exec
	s_andn2_b64 s[28:29], s[28:29], exec
	s_or_b64 s[30:31], s[30:31], s[76:77]
	s_branch .LBB23_77
.LBB23_80:                              ;   in Loop: Header=BB23_12 Depth=3
	s_or_b64 exec, exec, s[60:61]
	s_and_saveexec_b64 s[28:29], s[62:63]
	s_xor_b64 s[28:29], exec, s[28:29]
	s_cbranch_execz .LBB23_82
; %bb.81:                               ;   in Loop: Header=BB23_12 Depth=3
	v_lshlrev_b64 v[20:21], 3, v[24:25]
	v_mov_b32_e32 v6, s43
	v_add_co_u32_e32 v20, vcc, s42, v20
	v_addc_co_u32_e32 v21, vcc, v6, v21, vcc
	global_load_dwordx2 v[20:21], v[20:21], off
	s_waitcnt vmcnt(0)
	v_add_f64 v[16:17], v[16:17], v[20:21]
.LBB23_82:                              ;   in Loop: Header=BB23_12 Depth=3
	s_or_b64 exec, exec, s[28:29]
	s_or_b64 exec, exec, s[72:73]
	v_cmp_eq_u32_e32 vcc, v8, v14
	s_and_saveexec_b64 s[28:29], vcc
	s_cbranch_execnz .LBB23_64
	s_branch .LBB23_65
.LBB23_83:                              ;   in Loop: Header=BB23_3 Depth=1
	s_and_b64 vcc, exec, s[34:35]
	s_cbranch_vccz .LBB23_103
; %bb.84:                               ;   in Loop: Header=BB23_3 Depth=1
	v_mov_b32_dpp v8, v4 row_shr:1 row_mask:0xf bank_mask:0xf
	v_mov_b32_dpp v9, v5 row_shr:1 row_mask:0xf bank_mask:0xf
	v_cmp_lt_f64_e32 vcc, v[4:5], v[8:9]
	v_cndmask_b32_e32 v5, v5, v9, vcc
	v_cndmask_b32_e32 v4, v4, v8, vcc
	s_nop 0
	v_mov_b32_dpp v9, v5 row_shr:2 row_mask:0xf bank_mask:0xf
	v_mov_b32_dpp v8, v4 row_shr:2 row_mask:0xf bank_mask:0xf
	s_mov_b64 s[22:23], exec
	v_readlane_b32 s2, v48, 18
	v_readlane_b32 s3, v48, 19
	s_and_b64 s[2:3], s[22:23], s[2:3]
	s_mov_b64 exec, s[2:3]
	s_cbranch_execz .LBB23_86
; %bb.85:                               ;   in Loop: Header=BB23_3 Depth=1
	v_cmp_lt_f64_e32 vcc, v[4:5], v[8:9]
	v_cndmask_b32_e32 v5, v5, v9, vcc
	v_cndmask_b32_e32 v4, v4, v8, vcc
	ds_write_b64 v34, v[4:5]
.LBB23_86:                              ;   in Loop: Header=BB23_3 Depth=1
	s_or_b64 exec, exec, s[22:23]
	s_waitcnt lgkmcnt(0)
	s_barrier
	s_and_saveexec_b64 s[22:23], s[4:5]
	s_cbranch_execz .LBB23_88
; %bb.87:                               ;   in Loop: Header=BB23_3 Depth=1
	ds_read2st64_b64 v[8:11], v32 offset1:2
	s_waitcnt lgkmcnt(0)
	v_cmp_lt_f64_e32 vcc, v[8:9], v[10:11]
	v_cndmask_b32_e32 v5, v9, v11, vcc
	v_cndmask_b32_e32 v4, v8, v10, vcc
	ds_write_b64 v32, v[4:5]
.LBB23_88:                              ;   in Loop: Header=BB23_3 Depth=1
	s_or_b64 exec, exec, s[22:23]
	s_waitcnt lgkmcnt(0)
	s_barrier
	s_and_saveexec_b64 s[22:23], s[6:7]
	s_cbranch_execz .LBB23_90
; %bb.89:                               ;   in Loop: Header=BB23_3 Depth=1
	ds_read2st64_b64 v[8:11], v32 offset1:1
	s_waitcnt lgkmcnt(0)
	v_cmp_lt_f64_e32 vcc, v[8:9], v[10:11]
	v_cndmask_b32_e32 v5, v9, v11, vcc
	v_cndmask_b32_e32 v4, v8, v10, vcc
	ds_write_b64 v32, v[4:5]
.LBB23_90:                              ;   in Loop: Header=BB23_3 Depth=1
	s_or_b64 exec, exec, s[22:23]
	s_waitcnt lgkmcnt(0)
	s_barrier
	s_and_saveexec_b64 s[22:23], s[8:9]
	s_cbranch_execz .LBB23_92
; %bb.91:                               ;   in Loop: Header=BB23_3 Depth=1
	ds_read2_b64 v[8:11], v32 offset1:32
	s_waitcnt lgkmcnt(0)
	v_cmp_lt_f64_e32 vcc, v[8:9], v[10:11]
	v_cndmask_b32_e32 v5, v9, v11, vcc
	v_cndmask_b32_e32 v4, v8, v10, vcc
	ds_write_b64 v32, v[4:5]
.LBB23_92:                              ;   in Loop: Header=BB23_3 Depth=1
	s_or_b64 exec, exec, s[22:23]
	s_waitcnt lgkmcnt(0)
	s_barrier
	s_and_saveexec_b64 s[22:23], s[10:11]
	s_cbranch_execz .LBB23_94
; %bb.93:                               ;   in Loop: Header=BB23_3 Depth=1
	ds_read2_b64 v[8:11], v32 offset1:16
	s_waitcnt lgkmcnt(0)
	v_cmp_lt_f64_e32 vcc, v[8:9], v[10:11]
	v_cndmask_b32_e32 v5, v9, v11, vcc
	v_cndmask_b32_e32 v4, v8, v10, vcc
	ds_write_b64 v32, v[4:5]
.LBB23_94:                              ;   in Loop: Header=BB23_3 Depth=1
	;; [unrolled: 13-line block ×4, first 2 shown]
	s_or_b64 exec, exec, s[22:23]
	s_waitcnt lgkmcnt(0)
	s_barrier
	s_and_saveexec_b64 s[22:23], s[16:17]
	s_cbranch_execz .LBB23_100
; %bb.99:                               ;   in Loop: Header=BB23_3 Depth=1
	ds_read2_b64 v[8:11], v32 offset1:2
	s_waitcnt lgkmcnt(0)
	v_cmp_lt_f64_e32 vcc, v[8:9], v[10:11]
	v_cndmask_b32_e32 v5, v9, v11, vcc
	v_cndmask_b32_e32 v4, v8, v10, vcc
	ds_write_b64 v32, v[4:5]
.LBB23_100:                             ;   in Loop: Header=BB23_3 Depth=1
	s_or_b64 exec, exec, s[22:23]
	s_waitcnt lgkmcnt(0)
	s_barrier
	s_and_saveexec_b64 s[22:23], s[18:19]
	s_cbranch_execz .LBB23_102
; %bb.101:                              ;   in Loop: Header=BB23_3 Depth=1
	ds_read_b128 v[8:11], v7
	s_waitcnt lgkmcnt(0)
	v_cmp_lt_f64_e32 vcc, v[8:9], v[10:11]
	v_cndmask_b32_e32 v5, v9, v11, vcc
	v_cndmask_b32_e32 v4, v8, v10, vcc
	ds_write_b64 v7, v[4:5]
.LBB23_102:                             ;   in Loop: Header=BB23_3 Depth=1
	s_or_b64 exec, exec, s[22:23]
	v_readlane_b32 s2, v48, 12
	v_readlane_b32 s3, v48, 13
	s_waitcnt lgkmcnt(0)
	s_barrier
	ds_read_b64 v[4:5], v7
	s_load_dwordx2 s[2:3], s[2:3], 0x0
	s_waitcnt lgkmcnt(0)
	v_div_scale_f64 v[8:9], s[22:23], s[2:3], s[2:3], v[4:5]
	v_rcp_f64_e32 v[10:11], v[8:9]
	v_div_scale_f64 v[12:13], vcc, v[4:5], s[2:3], v[4:5]
	v_fma_f64 v[14:15], -v[8:9], v[10:11], 1.0
	v_fmac_f64_e32 v[10:11], v[10:11], v[14:15]
	v_fma_f64 v[14:15], -v[8:9], v[10:11], 1.0
	v_fmac_f64_e32 v[10:11], v[10:11], v[14:15]
	v_mul_f64 v[14:15], v[12:13], v[10:11]
	v_fma_f64 v[8:9], -v[8:9], v[14:15], v[12:13]
	v_div_fmas_f64 v[8:9], v[8:9], v[10:11], v[14:15]
	v_div_fixup_f64 v[4:5], v[8:9], s[2:3], v[4:5]
.LBB23_103:                             ;   in Loop: Header=BB23_3 Depth=1
	s_andn2_b64 vcc, exec, s[26:27]
	s_cbranch_vccnz .LBB23_123
; %bb.104:                              ;   in Loop: Header=BB23_3 Depth=1
	v_mov_b32_dpp v8, v2 row_shr:1 row_mask:0xf bank_mask:0xf
	v_mov_b32_dpp v9, v3 row_shr:1 row_mask:0xf bank_mask:0xf
	v_cmp_lt_f64_e32 vcc, v[2:3], v[8:9]
	v_cndmask_b32_e32 v3, v3, v9, vcc
	v_cndmask_b32_e32 v2, v2, v8, vcc
	s_nop 0
	v_mov_b32_dpp v9, v3 row_shr:2 row_mask:0xf bank_mask:0xf
	v_mov_b32_dpp v8, v2 row_shr:2 row_mask:0xf bank_mask:0xf
	s_mov_b64 s[22:23], exec
	v_readlane_b32 s2, v48, 18
	v_readlane_b32 s3, v48, 19
	s_and_b64 s[2:3], s[22:23], s[2:3]
	s_mov_b64 exec, s[2:3]
	s_cbranch_execz .LBB23_106
; %bb.105:                              ;   in Loop: Header=BB23_3 Depth=1
	v_cmp_lt_f64_e32 vcc, v[2:3], v[8:9]
	v_cndmask_b32_e32 v3, v3, v9, vcc
	v_cndmask_b32_e32 v2, v2, v8, vcc
	ds_write_b64 v34, v[2:3]
.LBB23_106:                             ;   in Loop: Header=BB23_3 Depth=1
	s_or_b64 exec, exec, s[22:23]
	s_waitcnt lgkmcnt(0)
	s_barrier
	s_and_saveexec_b64 s[22:23], s[4:5]
	s_cbranch_execz .LBB23_108
; %bb.107:                              ;   in Loop: Header=BB23_3 Depth=1
	ds_read2st64_b64 v[8:11], v32 offset1:2
	s_waitcnt lgkmcnt(0)
	v_cmp_lt_f64_e32 vcc, v[8:9], v[10:11]
	v_cndmask_b32_e32 v3, v9, v11, vcc
	v_cndmask_b32_e32 v2, v8, v10, vcc
	ds_write_b64 v32, v[2:3]
.LBB23_108:                             ;   in Loop: Header=BB23_3 Depth=1
	s_or_b64 exec, exec, s[22:23]
	s_waitcnt lgkmcnt(0)
	s_barrier
	s_and_saveexec_b64 s[22:23], s[6:7]
	s_cbranch_execz .LBB23_110
; %bb.109:                              ;   in Loop: Header=BB23_3 Depth=1
	ds_read2st64_b64 v[8:11], v32 offset1:1
	s_waitcnt lgkmcnt(0)
	v_cmp_lt_f64_e32 vcc, v[8:9], v[10:11]
	v_cndmask_b32_e32 v3, v9, v11, vcc
	v_cndmask_b32_e32 v2, v8, v10, vcc
	ds_write_b64 v32, v[2:3]
.LBB23_110:                             ;   in Loop: Header=BB23_3 Depth=1
	s_or_b64 exec, exec, s[22:23]
	s_waitcnt lgkmcnt(0)
	s_barrier
	s_and_saveexec_b64 s[22:23], s[8:9]
	s_cbranch_execz .LBB23_112
; %bb.111:                              ;   in Loop: Header=BB23_3 Depth=1
	ds_read2_b64 v[8:11], v32 offset1:32
	s_waitcnt lgkmcnt(0)
	v_cmp_lt_f64_e32 vcc, v[8:9], v[10:11]
	v_cndmask_b32_e32 v3, v9, v11, vcc
	v_cndmask_b32_e32 v2, v8, v10, vcc
	ds_write_b64 v32, v[2:3]
.LBB23_112:                             ;   in Loop: Header=BB23_3 Depth=1
	s_or_b64 exec, exec, s[22:23]
	s_waitcnt lgkmcnt(0)
	s_barrier
	s_and_saveexec_b64 s[22:23], s[10:11]
	s_cbranch_execz .LBB23_114
; %bb.113:                              ;   in Loop: Header=BB23_3 Depth=1
	ds_read2_b64 v[8:11], v32 offset1:16
	s_waitcnt lgkmcnt(0)
	v_cmp_lt_f64_e32 vcc, v[8:9], v[10:11]
	v_cndmask_b32_e32 v3, v9, v11, vcc
	v_cndmask_b32_e32 v2, v8, v10, vcc
	ds_write_b64 v32, v[2:3]
.LBB23_114:                             ;   in Loop: Header=BB23_3 Depth=1
	;; [unrolled: 13-line block ×5, first 2 shown]
	s_or_b64 exec, exec, s[22:23]
	s_waitcnt lgkmcnt(0)
	s_barrier
	s_and_saveexec_b64 s[22:23], s[18:19]
	s_cbranch_execz .LBB23_122
; %bb.121:                              ;   in Loop: Header=BB23_3 Depth=1
	ds_read_b128 v[8:11], v7
	s_waitcnt lgkmcnt(0)
	v_cmp_lt_f64_e32 vcc, v[8:9], v[10:11]
	v_cndmask_b32_e32 v3, v9, v11, vcc
	v_cndmask_b32_e32 v2, v8, v10, vcc
	ds_write_b64 v7, v[2:3]
.LBB23_122:                             ;   in Loop: Header=BB23_3 Depth=1
	s_or_b64 exec, exec, s[22:23]
	v_readlane_b32 s2, v48, 12
	v_readlane_b32 s3, v48, 13
	s_waitcnt lgkmcnt(0)
	s_barrier
	ds_read_b64 v[2:3], v7
	s_load_dwordx2 s[2:3], s[2:3], 0x0
	s_waitcnt lgkmcnt(0)
	v_div_scale_f64 v[8:9], s[22:23], s[2:3], s[2:3], v[2:3]
	v_rcp_f64_e32 v[10:11], v[8:9]
	v_div_scale_f64 v[12:13], vcc, v[2:3], s[2:3], v[2:3]
	v_fma_f64 v[14:15], -v[8:9], v[10:11], 1.0
	v_fmac_f64_e32 v[10:11], v[10:11], v[14:15]
	v_fma_f64 v[14:15], -v[8:9], v[10:11], 1.0
	v_fmac_f64_e32 v[10:11], v[10:11], v[14:15]
	v_mul_f64 v[14:15], v[12:13], v[10:11]
	v_fma_f64 v[8:9], -v[8:9], v[14:15], v[12:13]
	v_div_fmas_f64 v[8:9], v[8:9], v[10:11], v[14:15]
	v_div_fixup_f64 v[2:3], v[8:9], s[2:3], v[2:3]
.LBB23_123:                             ;   in Loop: Header=BB23_3 Depth=1
	s_mov_b64 s[22:23], exec
	v_readlane_b32 s2, v48, 16
	v_readlane_b32 s3, v48, 17
	s_and_b64 s[2:3], s[22:23], s[2:3]
	s_mov_b64 exec, s[2:3]
	s_cbranch_execz .LBB23_135
; %bb.124:                              ;   in Loop: Header=BB23_3 Depth=1
	s_mov_b64 s[24:25], 0
	v_mov_b32_e32 v8, v31
	s_branch .LBB23_126
.LBB23_125:                             ;   in Loop: Header=BB23_126 Depth=2
	s_or_b64 exec, exec, s[86:87]
	v_add_u32_e32 v8, 0x100, v8
	v_cmp_le_u32_e32 vcc, s0, v8
	s_or_b64 s[24:25], vcc, s[24:25]
	s_andn2_b64 exec, exec, s[24:25]
	s_cbranch_execz .LBB23_135
.LBB23_126:                             ;   Parent Loop BB23_3 Depth=1
                                        ; =>  This Loop Header: Depth=2
                                        ;       Child Loop BB23_129 Depth 3
                                        ;       Child Loop BB23_132 Depth 3
	v_cmp_gt_i32_e32 vcc, s33, v8
	s_and_saveexec_b64 s[86:87], vcc
	s_cbranch_execz .LBB23_125
; %bb.127:                              ;   in Loop: Header=BB23_126 Depth=2
	v_ashrrev_i32_e32 v9, 31, v8
	v_lshlrev_b64 v[10:11], 2, v[8:9]
	v_mov_b32_e32 v6, s45
	v_add_co_u32_e32 v12, vcc, s44, v10
	v_addc_co_u32_e32 v13, vcc, v6, v11, vcc
	global_load_dword v6, v[12:13], off
	v_mov_b32_e32 v13, s47
	v_add_co_u32_e32 v12, vcc, s46, v10
	v_addc_co_u32_e32 v13, vcc, v13, v11, vcc
	global_load_dword v13, v[12:13], off
	s_waitcnt vmcnt(1)
	v_add_u32_e32 v12, v35, v6
	s_waitcnt vmcnt(0)
	v_subrev_u32_e32 v6, s85, v13
	v_cmp_lt_i32_e32 vcc, v12, v6
	s_and_saveexec_b64 s[28:29], vcc
	s_cbranch_execz .LBB23_130
; %bb.128:                              ;   in Loop: Header=BB23_126 Depth=2
	v_ashrrev_i32_e32 v13, 31, v12
	v_lshlrev_b64 v[16:17], 3, v[12:13]
	v_mov_b32_e32 v13, s79
	v_add_co_u32_e32 v14, vcc, s78, v16
	v_addc_co_u32_e32 v15, vcc, v13, v17, vcc
	v_mov_b32_e32 v13, s51
	v_add_co_u32_e32 v16, vcc, s50, v16
	v_addc_co_u32_e32 v17, vcc, v13, v17, vcc
	s_mov_b64 s[30:31], 0
.LBB23_129:                             ;   Parent Loop BB23_3 Depth=1
                                        ;     Parent Loop BB23_126 Depth=2
                                        ; =>    This Inner Loop Header: Depth=3
	global_load_dwordx2 v[18:19], v[14:15], off
	v_add_co_u32_e32 v14, vcc, 32, v14
	v_add_u32_e32 v12, 4, v12
	v_addc_co_u32_e32 v15, vcc, 0, v15, vcc
	v_cmp_ge_i32_e32 vcc, v12, v6
	s_or_b64 s[30:31], vcc, s[30:31]
	s_waitcnt vmcnt(0)
	global_store_dwordx2 v[16:17], v[18:19], off
	v_add_co_u32_e32 v16, vcc, 32, v16
	v_addc_co_u32_e32 v17, vcc, 0, v17, vcc
	s_andn2_b64 exec, exec, s[30:31]
	s_cbranch_execnz .LBB23_129
.LBB23_130:                             ;   in Loop: Header=BB23_126 Depth=2
	s_or_b64 exec, exec, s[28:29]
	v_mov_b32_e32 v6, s37
	v_add_co_u32_e32 v12, vcc, s36, v10
	v_addc_co_u32_e32 v13, vcc, v6, v11, vcc
	global_load_dword v6, v[12:13], off
	v_mov_b32_e32 v12, s39
	v_add_co_u32_e32 v10, vcc, s38, v10
	v_addc_co_u32_e32 v11, vcc, v12, v11, vcc
	global_load_dword v11, v[10:11], off
	s_waitcnt vmcnt(1)
	v_add_u32_e32 v10, v36, v6
	s_waitcnt vmcnt(0)
	v_subrev_u32_e32 v6, s71, v11
	v_cmp_lt_i32_e32 vcc, v10, v6
	s_and_saveexec_b64 s[28:29], vcc
	s_cbranch_execz .LBB23_133
; %bb.131:                              ;   in Loop: Header=BB23_126 Depth=2
	v_ashrrev_i32_e32 v11, 31, v10
	v_lshlrev_b64 v[14:15], 3, v[10:11]
	v_mov_b32_e32 v11, s81
	v_add_co_u32_e32 v12, vcc, s80, v14
	v_addc_co_u32_e32 v13, vcc, v11, v15, vcc
	v_mov_b32_e32 v11, s43
	v_add_co_u32_e32 v14, vcc, s42, v14
	v_addc_co_u32_e32 v15, vcc, v11, v15, vcc
	s_mov_b64 s[30:31], 0
.LBB23_132:                             ;   Parent Loop BB23_3 Depth=1
                                        ;     Parent Loop BB23_126 Depth=2
                                        ; =>    This Inner Loop Header: Depth=3
	global_load_dwordx2 v[16:17], v[12:13], off
	v_add_co_u32_e32 v12, vcc, 32, v12
	v_add_u32_e32 v10, 4, v10
	v_addc_co_u32_e32 v13, vcc, 0, v13, vcc
	v_cmp_ge_i32_e32 vcc, v10, v6
	s_or_b64 s[30:31], vcc, s[30:31]
	s_waitcnt vmcnt(0)
	global_store_dwordx2 v[14:15], v[16:17], off
	v_add_co_u32_e32 v14, vcc, 32, v14
	v_addc_co_u32_e32 v15, vcc, 0, v15, vcc
	s_andn2_b64 exec, exec, s[30:31]
	s_cbranch_execnz .LBB23_132
.LBB23_133:                             ;   in Loop: Header=BB23_126 Depth=2
	s_or_b64 exec, exec, s[28:29]
	s_and_b64 exec, exec, s[20:21]
	s_cbranch_execz .LBB23_125
; %bb.134:                              ;   in Loop: Header=BB23_126 Depth=2
	v_lshlrev_b64 v[10:11], 3, v[8:9]
	v_mov_b32_e32 v6, s67
	v_add_co_u32_e32 v12, vcc, s66, v10
	v_addc_co_u32_e32 v13, vcc, v6, v11, vcc
	global_load_dwordx2 v[12:13], v[12:13], off
	v_mov_b32_e32 v6, s65
	v_add_co_u32_e32 v10, vcc, s64, v10
	v_addc_co_u32_e32 v11, vcc, v6, v11, vcc
	s_waitcnt vmcnt(0)
	global_store_dwordx2 v[10:11], v[12:13], off
	s_branch .LBB23_125
.LBB23_135:                             ;   in Loop: Header=BB23_3 Depth=1
	s_or_b64 exec, exec, s[22:23]
	s_mov_b64 s[24:25], -1
	s_mov_b64 s[22:23], -1
	s_and_b64 vcc, exec, s[68:69]
	s_cbranch_vccz .LBB23_145
; %bb.136:                              ;   in Loop: Header=BB23_3 Depth=1
	v_readlane_b32 s2, v48, 20
	v_readlane_b32 s3, v48, 21
	s_and_b64 vcc, exec, s[2:3]
                                        ; implicit-def: $sgpr28_sgpr29
	s_cbranch_vccz .LBB23_142
; %bb.137:                              ;   in Loop: Header=BB23_3 Depth=1
	v_readlane_b32 s2, v48, 14
	v_readlane_b32 s3, v48, 15
	s_and_b64 vcc, exec, s[2:3]
                                        ; implicit-def: $sgpr28_sgpr29
	s_cbranch_vccz .LBB23_139
; %bb.138:                              ;   in Loop: Header=BB23_3 Depth=1
	v_readlane_b32 s28, v48, 0
	v_readlane_b32 s30, v48, 2
	;; [unrolled: 1-line block ×4, first 2 shown]
	v_cmp_ge_f64_e32 vcc, s[30:31], v[2:3]
	s_mov_b64 s[22:23], 0
	s_and_b64 s[28:29], vcc, exec
.LBB23_139:                             ;   in Loop: Header=BB23_3 Depth=1
	s_andn2_b64 vcc, exec, s[22:23]
	s_cbranch_vccnz .LBB23_141
; %bb.140:                              ;   in Loop: Header=BB23_3 Depth=1
	v_readlane_b32 s60, v48, 0
	v_readlane_b32 s62, v48, 2
	;; [unrolled: 1-line block ×3, first 2 shown]
	v_cmp_ge_f64_e32 vcc, s[62:63], v[4:5]
	s_andn2_b64 s[2:3], s[28:29], exec
	s_and_b64 s[22:23], vcc, exec
	s_or_b64 s[28:29], s[2:3], s[22:23]
	v_readlane_b32 s61, v48, 1
.LBB23_141:                             ;   in Loop: Header=BB23_3 Depth=1
	s_mov_b64 s[22:23], 0
.LBB23_142:                             ;   in Loop: Header=BB23_3 Depth=1
	s_andn2_b64 vcc, exec, s[22:23]
	s_cbranch_vccnz .LBB23_144
; %bb.143:                              ;   in Loop: Header=BB23_3 Depth=1
	v_readlane_b32 s60, v48, 0
	v_readlane_b32 s62, v48, 2
	;; [unrolled: 1-line block ×3, first 2 shown]
	v_cmp_ge_f64_e32 vcc, s[62:63], v[4:5]
	v_cmp_ge_f64_e64 s[22:23], s[62:63], v[2:3]
	s_and_b64 s[2:3], vcc, s[22:23]
	s_andn2_b64 s[22:23], s[28:29], exec
	s_and_b64 s[2:3], s[2:3], exec
	s_or_b64 s[28:29], s[22:23], s[2:3]
	v_readlane_b32 s61, v48, 1
.LBB23_144:                             ;   in Loop: Header=BB23_3 Depth=1
	s_xor_b64 s[22:23], s[28:29], -1
.LBB23_145:                             ;   in Loop: Header=BB23_3 Depth=1
	v_mov_b32_e32 v6, s70
	s_and_saveexec_b64 s[28:29], s[22:23]
	s_cbranch_execz .LBB23_2
; %bb.146:                              ;   in Loop: Header=BB23_3 Depth=1
	v_readlane_b32 s2, v48, 4
	s_add_i32 s70, s70, 1
	v_readlane_b32 s3, v48, 5
	s_cmp_eq_u32 s70, s3
	s_mov_b32 s23, s3
	s_cselect_b64 s[2:3], -1, 0
	v_mov_b32_e32 v6, s23
	s_orn2_b64 s[24:25], s[2:3], exec
	s_branch .LBB23_2
.LBB23_147:
	s_or_b64 exec, exec, s[82:83]
	v_readlane_b32 s20, v48, 8
	v_readlane_b32 s21, v48, 9
	;; [unrolled: 1-line block ×4, first 2 shown]
.LBB23_148:
	v_readlane_b32 s0, v48, 6
	v_readlane_b32 s1, v48, 7
	s_or_b64 exec, exec, s[0:1]
	s_andn2_b64 vcc, exec, s[68:69]
	s_cbranch_vccnz .LBB23_171
; %bb.149:
	v_mov_b32_dpp v7, v6 row_shr:1 row_mask:0xf bank_mask:0xf
	v_max_i32_e32 v6, v6, v7
	v_cmp_eq_u32_e32 vcc, 3, v30
	s_nop 0
	v_mov_b32_dpp v7, v6 row_shr:2 row_mask:0xf bank_mask:0xf
	s_and_saveexec_b64 s[0:1], vcc
	s_cbranch_execz .LBB23_151
; %bb.150:
	v_lshlrev_b32_e32 v1, 2, v1
	v_max_i32_e32 v6, v6, v7
	ds_write_b32 v1, v6 offset:2048
.LBB23_151:
	s_or_b64 exec, exec, s[0:1]
	s_movk_i32 s0, 0x80
	v_cmp_gt_u32_e32 vcc, s0, v0
	v_lshlrev_b32_e32 v1, 2, v0
	s_waitcnt lgkmcnt(0)
	s_barrier
	s_and_saveexec_b64 s[0:1], vcc
	s_cbranch_execz .LBB23_153
; %bb.152:
	ds_read2st64_b32 v[6:7], v1 offset0:8 offset1:10
	s_waitcnt lgkmcnt(0)
	v_max_i32_e32 v6, v6, v7
	ds_write_b32 v1, v6 offset:2048
.LBB23_153:
	s_or_b64 exec, exec, s[0:1]
	v_cmp_gt_u32_e32 vcc, 64, v0
	s_waitcnt lgkmcnt(0)
	s_barrier
	s_and_saveexec_b64 s[0:1], vcc
	s_cbranch_execz .LBB23_155
; %bb.154:
	ds_read2st64_b32 v[6:7], v1 offset0:8 offset1:9
	s_waitcnt lgkmcnt(0)
	v_max_i32_e32 v6, v6, v7
	ds_write_b32 v1, v6 offset:2048
.LBB23_155:
	s_or_b64 exec, exec, s[0:1]
	v_cmp_gt_u32_e32 vcc, 32, v0
	s_waitcnt lgkmcnt(0)
	s_barrier
	s_and_saveexec_b64 s[0:1], vcc
	s_cbranch_execz .LBB23_157
; %bb.156:
	v_add_u32_e32 v6, 0x800, v1
	ds_read2_b32 v[6:7], v6 offset1:32
	s_waitcnt lgkmcnt(0)
	v_max_i32_e32 v6, v6, v7
	ds_write_b32 v1, v6 offset:2048
.LBB23_157:
	s_or_b64 exec, exec, s[0:1]
	v_cmp_gt_u32_e32 vcc, 16, v0
	s_waitcnt lgkmcnt(0)
	s_barrier
	s_and_saveexec_b64 s[0:1], vcc
	s_cbranch_execz .LBB23_159
; %bb.158:
	v_add_u32_e32 v6, 0x800, v1
	ds_read2_b32 v[6:7], v6 offset1:16
	s_waitcnt lgkmcnt(0)
	v_max_i32_e32 v6, v6, v7
	ds_write_b32 v1, v6 offset:2048
.LBB23_159:
	;; [unrolled: 13-line block ×5, first 2 shown]
	s_or_b64 exec, exec, s[0:1]
	v_cmp_eq_u32_e32 vcc, 0, v0
	s_waitcnt lgkmcnt(0)
	s_barrier
	s_and_saveexec_b64 s[0:1], vcc
	s_cbranch_execz .LBB23_167
; %bb.166:
	v_mov_b32_e32 v1, 0
	ds_read_b64 v[6:7], v1 offset:2048
	s_waitcnt lgkmcnt(0)
	v_max_i32_e32 v6, v6, v7
	ds_write_b32 v1, v6 offset:2048
.LBB23_167:
	s_or_b64 exec, exec, s[0:1]
	s_waitcnt lgkmcnt(0)
	s_barrier
	s_and_saveexec_b64 s[0:1], vcc
	s_cbranch_execz .LBB23_170
; %bb.168:
	v_mbcnt_lo_u32_b32 v1, exec_lo, 0
	v_mbcnt_hi_u32_b32 v1, exec_hi, v1
	v_cmp_eq_u32_e32 vcc, 0, v1
	s_and_b64 exec, exec, vcc
	s_cbranch_execz .LBB23_170
; %bb.169:
	v_mov_b32_e32 v1, 0
	ds_read_b32 v6, v1 offset:2048
	v_readlane_b32 s4, v48, 0
	v_readlane_b32 s5, v48, 1
	;; [unrolled: 1-line block ×4, first 2 shown]
	s_waitcnt lgkmcnt(0)
	v_add_u32_e32 v6, 1, v6
	s_nop 0
	global_atomic_smax v1, v6, s[4:5]
.LBB23_170:
	s_or_b64 exec, exec, s[0:1]
.LBB23_171:
	v_cmp_eq_u32_e32 vcc, 0, v0
	s_mov_b32 s0, 0
	s_and_b64 s[2:3], vcc, s[34:35]
	s_and_saveexec_b64 s[4:5], s[2:3]
	s_cbranch_execz .LBB23_176
; %bb.172:
	v_mov_b32_e32 v0, 0
	global_load_dwordx2 v[6:7], v0, s[20:21] glc
	s_brev_b32 s1, 1
	s_mov_b64 s[6:7], 0
                                        ; implicit-def: $sgpr8_sgpr9
                                        ; implicit-def: $sgpr10_sgpr11
	s_waitcnt vmcnt(0)
	v_cmp_eq_u64_e64 s[12:13], s[0:1], v[6:7]
	v_cmp_eq_f64_e64 s[0:1], 0, v[4:5]
	s_branch .LBB23_174
.LBB23_173:                             ;   in Loop: Header=BB23_174 Depth=1
	s_or_b64 exec, exec, s[14:15]
	s_and_b64 s[2:3], exec, s[8:9]
	s_or_b64 s[6:7], s[2:3], s[6:7]
	s_andn2_b64 s[2:3], s[12:13], exec
	s_and_b64 s[12:13], s[10:11], exec
	s_or_b64 s[12:13], s[2:3], s[12:13]
	s_andn2_b64 exec, exec, s[6:7]
	s_cbranch_execz .LBB23_176
.LBB23_174:                             ; =>This Inner Loop Header: Depth=1
	v_cmp_lt_f64_e64 s[2:3], v[6:7], v[4:5]
	s_and_b64 s[14:15], s[0:1], s[12:13]
	s_or_b64 s[2:3], s[2:3], s[14:15]
	s_andn2_b64 s[10:11], s[10:11], exec
	s_or_b64 s[8:9], s[8:9], exec
	s_and_saveexec_b64 s[14:15], s[2:3]
	s_cbranch_execz .LBB23_173
; %bb.175:                              ;   in Loop: Header=BB23_174 Depth=1
	global_atomic_cmpswap_x2 v[8:9], v0, v[4:7], s[20:21] glc
	s_andn2_b64 s[8:9], s[8:9], exec
	s_andn2_b64 s[10:11], s[10:11], exec
                                        ; implicit-def: $sgpr12_sgpr13
	s_waitcnt vmcnt(0)
	v_cmp_eq_u64_e64 s[2:3], v[8:9], v[6:7]
	v_cndmask_b32_e64 v7, v9, v7, s[2:3]
	v_cndmask_b32_e64 v6, v8, v6, s[2:3]
	s_and_b64 s[2:3], s[2:3], exec
	v_cmp_class_f64_e64 s[16:17], v[6:7], 32
	s_or_b64 s[8:9], s[8:9], s[2:3]
	s_and_b64 s[2:3], s[16:17], exec
	s_or_b64 s[10:11], s[10:11], s[2:3]
	v_pk_mov_b32 v[6:7], v[8:9], v[8:9] op_sel:[0,1]
	s_branch .LBB23_173
.LBB23_176:
	s_or_b64 exec, exec, s[4:5]
	s_and_b64 s[0:1], vcc, s[26:27]
	s_and_saveexec_b64 s[2:3], s[0:1]
	s_cbranch_execz .LBB23_181
; %bb.177:
	v_mov_b32_e32 v0, 0
	global_load_dwordx2 v[4:5], v0, s[22:23] glc
	s_mov_b32 s0, 0
	s_brev_b32 s1, 1
	s_mov_b64 s[2:3], 0
	v_cmp_eq_f64_e32 vcc, 0, v[2:3]
                                        ; implicit-def: $sgpr4_sgpr5
                                        ; implicit-def: $sgpr6_sgpr7
	s_waitcnt vmcnt(0)
	v_cmp_eq_u64_e64 s[8:9], s[0:1], v[4:5]
	s_branch .LBB23_179
.LBB23_178:                             ;   in Loop: Header=BB23_179 Depth=1
	s_or_b64 exec, exec, s[10:11]
	s_and_b64 s[0:1], exec, s[4:5]
	s_or_b64 s[2:3], s[0:1], s[2:3]
	s_andn2_b64 s[0:1], s[8:9], exec
	s_and_b64 s[8:9], s[6:7], exec
	s_or_b64 s[8:9], s[0:1], s[8:9]
	s_andn2_b64 exec, exec, s[2:3]
	s_cbranch_execz .LBB23_181
.LBB23_179:                             ; =>This Inner Loop Header: Depth=1
	v_cmp_lt_f64_e64 s[0:1], v[4:5], v[2:3]
	s_and_b64 s[10:11], vcc, s[8:9]
	s_or_b64 s[0:1], s[0:1], s[10:11]
	s_andn2_b64 s[6:7], s[6:7], exec
	s_or_b64 s[4:5], s[4:5], exec
	s_and_saveexec_b64 s[10:11], s[0:1]
	s_cbranch_execz .LBB23_178
; %bb.180:                              ;   in Loop: Header=BB23_179 Depth=1
	global_atomic_cmpswap_x2 v[6:7], v0, v[2:5], s[22:23] glc
	s_andn2_b64 s[4:5], s[4:5], exec
	s_andn2_b64 s[6:7], s[6:7], exec
                                        ; implicit-def: $sgpr8_sgpr9
	s_waitcnt vmcnt(0)
	v_cmp_eq_u64_e64 s[0:1], v[6:7], v[4:5]
	v_cndmask_b32_e64 v5, v7, v5, s[0:1]
	v_cndmask_b32_e64 v4, v6, v4, s[0:1]
	s_and_b64 s[0:1], s[0:1], exec
	v_cmp_class_f64_e64 s[12:13], v[4:5], 32
	s_or_b64 s[4:5], s[4:5], s[0:1]
	s_and_b64 s[0:1], s[12:13], exec
	s_or_b64 s[6:7], s[6:7], s[0:1]
	v_pk_mov_b32 v[4:5], v[6:7], v[6:7] op_sel:[0,1]
	s_branch .LBB23_178
.LBB23_181:
	s_endpgm
	.section	.rodata,"a",@progbits
	.p2align	6, 0x0
	.amdhsa_kernel _ZN9rocsparseL6kernelILi1024ELi4EdiiEEvbbbT3_PS1_NS_15floating_traitsIT1_E6data_tES1_T2_PKS7_S9_PKS1_PKS4_21rocsparse_index_base_S9_S9_SB_PS4_SF_SE_S9_S9_SB_SF_SF_SE_SF_SF_PS6_SG_PKS6_
		.amdhsa_group_segment_fixed_size 3072
		.amdhsa_private_segment_fixed_size 0
		.amdhsa_kernarg_size 208
		.amdhsa_user_sgpr_count 6
		.amdhsa_user_sgpr_private_segment_buffer 1
		.amdhsa_user_sgpr_dispatch_ptr 0
		.amdhsa_user_sgpr_queue_ptr 0
		.amdhsa_user_sgpr_kernarg_segment_ptr 1
		.amdhsa_user_sgpr_dispatch_id 0
		.amdhsa_user_sgpr_flat_scratch_init 0
		.amdhsa_user_sgpr_kernarg_preload_length 0
		.amdhsa_user_sgpr_kernarg_preload_offset 0
		.amdhsa_user_sgpr_private_segment_size 0
		.amdhsa_uses_dynamic_stack 0
		.amdhsa_system_sgpr_private_segment_wavefront_offset 0
		.amdhsa_system_sgpr_workgroup_id_x 1
		.amdhsa_system_sgpr_workgroup_id_y 0
		.amdhsa_system_sgpr_workgroup_id_z 0
		.amdhsa_system_sgpr_workgroup_info 0
		.amdhsa_system_vgpr_workitem_id 0
		.amdhsa_next_free_vgpr 49
		.amdhsa_next_free_sgpr 96
		.amdhsa_accum_offset 52
		.amdhsa_reserve_vcc 1
		.amdhsa_reserve_flat_scratch 0
		.amdhsa_float_round_mode_32 0
		.amdhsa_float_round_mode_16_64 0
		.amdhsa_float_denorm_mode_32 3
		.amdhsa_float_denorm_mode_16_64 3
		.amdhsa_dx10_clamp 1
		.amdhsa_ieee_mode 1
		.amdhsa_fp16_overflow 0
		.amdhsa_tg_split 0
		.amdhsa_exception_fp_ieee_invalid_op 0
		.amdhsa_exception_fp_denorm_src 0
		.amdhsa_exception_fp_ieee_div_zero 0
		.amdhsa_exception_fp_ieee_overflow 0
		.amdhsa_exception_fp_ieee_underflow 0
		.amdhsa_exception_fp_ieee_inexact 0
		.amdhsa_exception_int_div_zero 0
	.end_amdhsa_kernel
	.section	.text._ZN9rocsparseL6kernelILi1024ELi4EdiiEEvbbbT3_PS1_NS_15floating_traitsIT1_E6data_tES1_T2_PKS7_S9_PKS1_PKS4_21rocsparse_index_base_S9_S9_SB_PS4_SF_SE_S9_S9_SB_SF_SF_SE_SF_SF_PS6_SG_PKS6_,"axG",@progbits,_ZN9rocsparseL6kernelILi1024ELi4EdiiEEvbbbT3_PS1_NS_15floating_traitsIT1_E6data_tES1_T2_PKS7_S9_PKS1_PKS4_21rocsparse_index_base_S9_S9_SB_PS4_SF_SE_S9_S9_SB_SF_SF_SE_SF_SF_PS6_SG_PKS6_,comdat
.Lfunc_end23:
	.size	_ZN9rocsparseL6kernelILi1024ELi4EdiiEEvbbbT3_PS1_NS_15floating_traitsIT1_E6data_tES1_T2_PKS7_S9_PKS1_PKS4_21rocsparse_index_base_S9_S9_SB_PS4_SF_SE_S9_S9_SB_SF_SF_SE_SF_SF_PS6_SG_PKS6_, .Lfunc_end23-_ZN9rocsparseL6kernelILi1024ELi4EdiiEEvbbbT3_PS1_NS_15floating_traitsIT1_E6data_tES1_T2_PKS7_S9_PKS1_PKS4_21rocsparse_index_base_S9_S9_SB_PS4_SF_SE_S9_S9_SB_SF_SF_SE_SF_SF_PS6_SG_PKS6_
                                        ; -- End function
	.section	.AMDGPU.csdata,"",@progbits
; Kernel info:
; codeLenInByte = 6104
; NumSgprs: 100
; NumVgprs: 49
; NumAgprs: 0
; TotalNumVgprs: 49
; ScratchSize: 0
; MemoryBound: 1
; FloatMode: 240
; IeeeMode: 1
; LDSByteSize: 3072 bytes/workgroup (compile time only)
; SGPRBlocks: 12
; VGPRBlocks: 6
; NumSGPRsForWavesPerEU: 100
; NumVGPRsForWavesPerEU: 49
; AccumOffset: 52
; Occupancy: 8
; WaveLimiterHint : 1
; COMPUTE_PGM_RSRC2:SCRATCH_EN: 0
; COMPUTE_PGM_RSRC2:USER_SGPR: 6
; COMPUTE_PGM_RSRC2:TRAP_HANDLER: 0
; COMPUTE_PGM_RSRC2:TGID_X_EN: 1
; COMPUTE_PGM_RSRC2:TGID_Y_EN: 0
; COMPUTE_PGM_RSRC2:TGID_Z_EN: 0
; COMPUTE_PGM_RSRC2:TIDIG_COMP_CNT: 0
; COMPUTE_PGM_RSRC3_GFX90A:ACCUM_OFFSET: 12
; COMPUTE_PGM_RSRC3_GFX90A:TG_SPLIT: 0
	.section	.text._ZN9rocsparseL6kernelILi1024ELi8EdiiEEvbbbT3_PS1_NS_15floating_traitsIT1_E6data_tES1_T2_PKS7_S9_PKS1_PKS4_21rocsparse_index_base_S9_S9_SB_PS4_SF_SE_S9_S9_SB_SF_SF_SE_SF_SF_PS6_SG_PKS6_,"axG",@progbits,_ZN9rocsparseL6kernelILi1024ELi8EdiiEEvbbbT3_PS1_NS_15floating_traitsIT1_E6data_tES1_T2_PKS7_S9_PKS1_PKS4_21rocsparse_index_base_S9_S9_SB_PS4_SF_SE_S9_S9_SB_SF_SF_SE_SF_SF_PS6_SG_PKS6_,comdat
	.globl	_ZN9rocsparseL6kernelILi1024ELi8EdiiEEvbbbT3_PS1_NS_15floating_traitsIT1_E6data_tES1_T2_PKS7_S9_PKS1_PKS4_21rocsparse_index_base_S9_S9_SB_PS4_SF_SE_S9_S9_SB_SF_SF_SE_SF_SF_PS6_SG_PKS6_ ; -- Begin function _ZN9rocsparseL6kernelILi1024ELi8EdiiEEvbbbT3_PS1_NS_15floating_traitsIT1_E6data_tES1_T2_PKS7_S9_PKS1_PKS4_21rocsparse_index_base_S9_S9_SB_PS4_SF_SE_S9_S9_SB_SF_SF_SE_SF_SF_PS6_SG_PKS6_
	.p2align	8
	.type	_ZN9rocsparseL6kernelILi1024ELi8EdiiEEvbbbT3_PS1_NS_15floating_traitsIT1_E6data_tES1_T2_PKS7_S9_PKS1_PKS4_21rocsparse_index_base_S9_S9_SB_PS4_SF_SE_S9_S9_SB_SF_SF_SE_SF_SF_PS6_SG_PKS6_,@function
_ZN9rocsparseL6kernelILi1024ELi8EdiiEEvbbbT3_PS1_NS_15floating_traitsIT1_E6data_tES1_T2_PKS7_S9_PKS1_PKS4_21rocsparse_index_base_S9_S9_SB_PS4_SF_SE_S9_S9_SB_SF_SF_SE_SF_SF_PS6_SG_PKS6_: ; @_ZN9rocsparseL6kernelILi1024ELi8EdiiEEvbbbT3_PS1_NS_15floating_traitsIT1_E6data_tES1_T2_PKS7_S9_PKS1_PKS4_21rocsparse_index_base_S9_S9_SB_PS4_SF_SE_S9_S9_SB_SF_SF_SE_SF_SF_PS6_SG_PKS6_
; %bb.0:
	s_load_dword s0, s[4:5], 0x0
	s_load_dwordx2 s[2:3], s[4:5], 0x0
	s_load_dwordx4 s[20:23], s[4:5], 0xb8
	s_load_dwordx4 s[8:11], s[4:5], 0x8
                                        ; implicit-def: $vgpr48 : SGPR spill to VGPR lane
	s_load_dword s33, s[4:5], 0x18
	s_waitcnt lgkmcnt(0)
	s_bitcmp1_b32 s0, 0
	s_cselect_b64 s[66:67], -1, 0
	s_bitcmp1_b32 s0, 8
	v_writelane_b32 v48, s8, 0
	v_writelane_b32 v48, s9, 1
	;; [unrolled: 1-line block ×3, first 2 shown]
	s_cselect_b64 s[64:65], -1, 0
	s_bitcmp1_b32 s2, 16
	v_writelane_b32 v48, s11, 3
	s_cselect_b64 s[34:35], -1, 0
	v_lshrrev_b32_e32 v1, 3, v0
	s_lshl_b32 s83, s6, 10
	s_mov_b32 s1, s3
	v_or_b32_e32 v31, s83, v1
	v_mov_b32_e32 v6, 0
	v_writelane_b32 v48, s0, 4
	s_cmp_gt_i32 s3, 0
	v_pk_mov_b32 v[2:3], 0, 0
	v_and_b32_e32 v30, 7, v0
	v_lshlrev_b32_e32 v32, 3, v0
	s_mov_b32 s68, 0
	v_mov_b32_e32 v7, v6
	v_cmp_gt_i32_e32 vcc, s33, v31
	v_writelane_b32 v48, s1, 5
	s_cselect_b64 s[0:1], -1, 0
	v_pk_mov_b32 v[4:5], v[2:3], v[2:3] op_sel:[0,1]
	ds_write_b64 v32, v[6:7]
	s_waitcnt lgkmcnt(0)
	s_barrier
	s_and_b64 s[0:1], s[0:1], vcc
	s_mov_b64 s[2:3], exec
	v_writelane_b32 v48, s2, 6
	s_and_b64 s[0:1], s[2:3], s[0:1]
	v_writelane_b32 v48, s3, 7
	s_mov_b64 exec, s[0:1]
	s_cbranch_execz .LBB24_144
; %bb.1:
	s_load_dwordx2 s[0:1], s[4:5], 0xc8
	v_writelane_b32 v48, s20, 8
	v_writelane_b32 v48, s21, 9
	;; [unrolled: 1-line block ×4, first 2 shown]
	s_waitcnt lgkmcnt(0)
	v_writelane_b32 v48, s0, 12
	v_writelane_b32 v48, s1, 13
	s_load_dwordx4 s[60:63], s[4:5], 0xa8
	s_load_dwordx8 s[24:31], s[4:5], 0x78
	s_load_dwordx8 s[36:43], s[4:5], 0x48
	;; [unrolled: 1-line block ×3, first 2 shown]
	s_xor_b64 s[0:1], s[64:65], -1
	v_writelane_b32 v48, s0, 14
	s_load_dword s72, s[4:5], 0x40
	s_load_dwordx2 s[76:77], s[4:5], 0x68
	s_load_dword s73, s[4:5], 0x70
	s_load_dwordx2 s[78:79], s[4:5], 0x98
	s_load_dword s82, s[4:5], 0xa0
	s_addk_i32 s83, 0x400
	v_writelane_b32 v48, s1, 15
	v_cmp_gt_u32_e64 s[0:1], s83, v31
	v_writelane_b32 v48, s0, 16
	v_writelane_b32 v48, s1, 17
	s_and_b64 s[0:1], s[64:65], s[34:35]
	s_xor_b64 s[0:1], s[0:1], -1
	v_pk_mov_b32 v[4:5], 0, 0
	s_waitcnt lgkmcnt(0)
	v_subrev_u32_e32 v33, s72, v30
	v_cmp_eq_u32_e64 s[2:3], 7, v30
	v_lshlrev_b32_e32 v34, 3, v1
	v_cmp_gt_u32_e64 s[4:5], 64, v0
	v_cmp_gt_u32_e64 s[6:7], 32, v0
	;; [unrolled: 1-line block ×6, first 2 shown]
	v_cmp_eq_u32_e64 s[16:17], 0, v0
	v_subrev_u32_e32 v35, s73, v30
	v_subrev_u32_e32 v36, s82, v30
	v_cmp_eq_u32_e64 s[18:19], 0, v30
	v_writelane_b32 v48, s0, 18
	s_mov_b64 s[80:81], 0
	s_movk_i32 s69, 0x1f8
	v_mov_b32_e32 v7, 0
	v_pk_mov_b32 v[2:3], v[4:5], v[4:5] op_sel:[0,1]
	v_writelane_b32 v48, s1, 19
	s_branch .LBB24_3
.LBB24_2:                               ;   in Loop: Header=BB24_3 Depth=1
	s_or_b64 exec, exec, s[52:53]
	s_and_b64 s[0:1], exec, s[22:23]
	s_or_b64 s[80:81], s[0:1], s[80:81]
	s_andn2_b64 exec, exec, s[80:81]
	s_cbranch_execz .LBB24_143
.LBB24_3:                               ; =>This Loop Header: Depth=1
                                        ;     Child Loop BB24_7 Depth 2
                                        ;       Child Loop BB24_12 Depth 3
                                        ;         Child Loop BB24_16 Depth 4
                                        ;         Child Loop BB24_37 Depth 4
	;; [unrolled: 1-line block ×5, first 2 shown]
                                        ;     Child Loop BB24_122 Depth 2
                                        ;       Child Loop BB24_125 Depth 3
                                        ;       Child Loop BB24_128 Depth 3
	s_mov_b32 s0, 0
	v_cndmask_b32_e64 v5, v5, 0, s[64:65]
	v_cndmask_b32_e64 v4, v4, 0, s[64:65]
	;; [unrolled: 1-line block ×4, first 2 shown]
	s_branch .LBB24_7
.LBB24_4:                               ;   in Loop: Header=BB24_7 Depth=2
	s_or_b64 exec, exec, s[88:89]
.LBB24_5:                               ;   in Loop: Header=BB24_7 Depth=2
	s_or_b64 exec, exec, s[86:87]
.LBB24_6:                               ;   in Loop: Header=BB24_7 Depth=2
	s_or_b64 exec, exec, s[84:85]
	s_add_i32 s0, s0, 1
	s_cmp_eq_u32 s0, 8
	s_cbranch_scc1 .LBB24_83
.LBB24_7:                               ;   Parent Loop BB24_3 Depth=1
                                        ; =>  This Loop Header: Depth=2
                                        ;       Child Loop BB24_12 Depth 3
                                        ;         Child Loop BB24_16 Depth 4
                                        ;         Child Loop BB24_37 Depth 4
	;; [unrolled: 1-line block ×5, first 2 shown]
	v_lshl_add_u32 v8, s0, 7, v31
	v_cmp_gt_i32_e32 vcc, s33, v8
	s_and_saveexec_b64 s[84:85], vcc
	s_cbranch_execz .LBB24_6
; %bb.8:                                ;   in Loop: Header=BB24_7 Depth=2
	v_ashrrev_i32_e32 v9, 31, v8
	v_lshlrev_b64 v[12:13], 2, v[8:9]
	v_mov_b32_e32 v6, s45
	v_add_co_u32_e32 v10, vcc, s44, v12
	v_addc_co_u32_e32 v11, vcc, v6, v13, vcc
	global_load_dword v6, v[10:11], off
	v_mov_b32_e32 v9, s47
	v_add_co_u32_e32 v10, vcc, s46, v12
	v_addc_co_u32_e32 v11, vcc, v9, v13, vcc
	global_load_dword v9, v[10:11], off
	s_waitcnt vmcnt(1)
	v_add_u32_e32 v10, v33, v6
	s_waitcnt vmcnt(0)
	v_subrev_u32_e32 v9, s72, v9
	v_cmp_lt_i32_e32 vcc, v10, v9
	s_and_saveexec_b64 s[86:87], vcc
	s_cbranch_execz .LBB24_5
; %bb.9:                                ;   in Loop: Header=BB24_7 Depth=2
	v_mov_b32_e32 v6, s39
	v_add_co_u32_e32 v14, vcc, s38, v12
	v_addc_co_u32_e32 v15, vcc, v6, v13, vcc
	v_mov_b32_e32 v6, s37
	v_add_co_u32_e32 v12, vcc, s36, v12
	v_addc_co_u32_e32 v13, vcc, v6, v13, vcc
	global_load_dword v6, v[12:13], off
	global_load_dword v11, v[14:15], off
	v_mov_b32_e32 v18, s41
	v_mov_b32_e32 v19, s43
	s_mov_b64 s[88:89], 0
	s_waitcnt vmcnt(1)
	v_subrev_u32_e32 v12, s73, v6
	v_ashrrev_i32_e32 v13, 31, v12
	v_lshlrev_b64 v[14:15], 2, v[12:13]
	v_lshlrev_b64 v[16:17], 3, v[12:13]
	v_add_co_u32_e32 v13, vcc, s40, v14
	v_addc_co_u32_e32 v38, vcc, v18, v15, vcc
	s_waitcnt vmcnt(0)
	v_sub_u32_e32 v37, v11, v6
	v_add_co_u32_e32 v39, vcc, s42, v16
	v_cmp_lt_i32_e64 s[20:21], 0, v37
	v_addc_co_u32_e32 v40, vcc, v19, v17, vcc
	s_branch .LBB24_12
.LBB24_10:                              ;   in Loop: Header=BB24_12 Depth=3
	s_or_b64 exec, exec, s[52:53]
.LBB24_11:                              ;   in Loop: Header=BB24_12 Depth=3
	s_or_b64 exec, exec, s[22:23]
	v_add_u32_e32 v10, 8, v10
	v_cmp_ge_i32_e32 vcc, v10, v9
	s_or_b64 s[88:89], vcc, s[88:89]
	s_andn2_b64 exec, exec, s[88:89]
	s_cbranch_execz .LBB24_4
.LBB24_12:                              ;   Parent Loop BB24_3 Depth=1
                                        ;     Parent Loop BB24_7 Depth=2
                                        ; =>    This Loop Header: Depth=3
                                        ;         Child Loop BB24_16 Depth 4
                                        ;         Child Loop BB24_37 Depth 4
	;; [unrolled: 1-line block ×5, first 2 shown]
	v_ashrrev_i32_e32 v11, 31, v10
	v_lshlrev_b64 v[14:15], 2, v[10:11]
	v_mov_b32_e32 v6, s49
	v_add_co_u32_e32 v14, vcc, s48, v14
	v_addc_co_u32_e32 v15, vcc, v6, v15, vcc
	global_load_dword v6, v[14:15], off
	v_mov_b32_e32 v19, s25
	v_mov_b32_e32 v20, s27
	;; [unrolled: 1-line block ×3, first 2 shown]
	s_waitcnt vmcnt(0)
	v_subrev_u32_e32 v14, s72, v6
	v_ashrrev_i32_e32 v15, 31, v14
	v_lshlrev_b64 v[16:17], 2, v[14:15]
	v_add_co_u32_e32 v18, vcc, s24, v16
	v_addc_co_u32_e32 v19, vcc, v19, v17, vcc
	v_add_co_u32_e32 v16, vcc, s26, v16
	v_addc_co_u32_e32 v17, vcc, v20, v17, vcc
	global_load_dword v6, v[18:19], off
	s_nop 0
	global_load_dword v18, v[16:17], off
	v_pk_mov_b32 v[16:17], 0, 0
	s_waitcnt vmcnt(1)
	v_subrev_u32_e32 v20, s82, v6
	s_waitcnt vmcnt(0)
	v_sub_u32_e32 v41, v18, v6
	v_mov_b32_e32 v6, 0
	s_and_saveexec_b64 s[22:23], s[20:21]
	s_cbranch_execz .LBB24_20
; %bb.13:                               ;   in Loop: Header=BB24_12 Depth=3
	v_ashrrev_i32_e32 v21, 31, v20
	v_lshlrev_b64 v[16:17], 2, v[20:21]
	v_mov_b32_e32 v6, s29
	v_add_co_u32_e32 v18, vcc, s28, v16
	v_addc_co_u32_e32 v19, vcc, v6, v17, vcc
	v_lshlrev_b64 v[16:17], 3, v[20:21]
	v_mov_b32_e32 v6, s31
	v_add_co_u32_e32 v21, vcc, s30, v16
	v_addc_co_u32_e32 v24, vcc, v6, v17, vcc
	v_mov_b32_e32 v6, 0
	s_mov_b64 s[70:71], 0
	v_pk_mov_b32 v[16:17], 0, 0
	v_mov_b32_e32 v22, v6
                                        ; implicit-def: $sgpr90_sgpr91
	s_branch .LBB24_16
.LBB24_14:                              ;   in Loop: Header=BB24_16 Depth=4
	s_or_b64 exec, exec, s[52:53]
	v_cmp_le_i32_e32 vcc, v25, v26
	v_addc_co_u32_e32 v6, vcc, 0, v6, vcc
	v_cmp_ge_i32_e32 vcc, v25, v26
	v_addc_co_u32_e32 v22, vcc, 0, v22, vcc
	v_cmp_ge_i32_e32 vcc, v6, v37
	s_andn2_b64 s[52:53], s[90:91], exec
	s_and_b64 s[54:55], vcc, exec
	s_or_b64 s[90:91], s[52:53], s[54:55]
.LBB24_15:                              ;   in Loop: Header=BB24_16 Depth=4
	s_or_b64 exec, exec, s[56:57]
	s_and_b64 s[52:53], exec, s[90:91]
	s_or_b64 s[70:71], s[52:53], s[70:71]
	s_andn2_b64 exec, exec, s[70:71]
	s_cbranch_execz .LBB24_19
.LBB24_16:                              ;   Parent Loop BB24_3 Depth=1
                                        ;     Parent Loop BB24_7 Depth=2
                                        ;       Parent Loop BB24_12 Depth=3
                                        ; =>      This Inner Loop Header: Depth=4
	v_cmp_lt_i32_e32 vcc, v22, v41
	s_or_b64 s[90:91], s[90:91], exec
	s_and_saveexec_b64 s[56:57], vcc
	s_cbranch_execz .LBB24_15
; %bb.17:                               ;   in Loop: Header=BB24_16 Depth=4
	v_lshlrev_b64 v[26:27], 2, v[6:7]
	v_add_co_u32_e32 v26, vcc, v13, v26
	v_addc_co_u32_e32 v27, vcc, v38, v27, vcc
	v_mov_b32_e32 v23, v7
	global_load_dword v25, v[26:27], off
	v_lshlrev_b64 v[26:27], 2, v[22:23]
	v_add_co_u32_e32 v26, vcc, v18, v26
	v_addc_co_u32_e32 v27, vcc, v19, v27, vcc
	global_load_dword v26, v[26:27], off
	s_waitcnt vmcnt(1)
	v_subrev_u32_e32 v25, s73, v25
	s_waitcnt vmcnt(0)
	v_subrev_u32_e32 v26, s82, v26
	v_cmp_eq_u32_e32 vcc, v25, v26
	s_and_saveexec_b64 s[52:53], vcc
	s_cbranch_execz .LBB24_14
; %bb.18:                               ;   in Loop: Header=BB24_16 Depth=4
	v_lshlrev_b64 v[28:29], 3, v[6:7]
	v_add_co_u32_e32 v28, vcc, v39, v28
	v_addc_co_u32_e32 v29, vcc, v40, v29, vcc
	v_lshlrev_b64 v[42:43], 3, v[22:23]
	v_add_co_u32_e32 v42, vcc, v21, v42
	v_addc_co_u32_e32 v43, vcc, v24, v43, vcc
	global_load_dwordx2 v[28:29], v[28:29], off
	s_nop 0
	global_load_dwordx2 v[42:43], v[42:43], off
	s_waitcnt vmcnt(0)
	v_fmac_f64_e32 v[16:17], v[28:29], v[42:43]
	s_branch .LBB24_14
.LBB24_19:                              ;   in Loop: Header=BB24_12 Depth=3
	s_or_b64 exec, exec, s[70:71]
.LBB24_20:                              ;   in Loop: Header=BB24_12 Depth=3
	s_or_b64 exec, exec, s[22:23]
	v_lshlrev_b64 v[18:19], 3, v[10:11]
	v_mov_b32_e32 v11, s51
	v_add_co_u32_e32 v18, vcc, s50, v18
	v_addc_co_u32_e32 v19, vcc, v11, v19, vcc
	global_load_dwordx2 v[18:19], v[18:19], off
	v_cmp_le_i32_e64 s[22:23], v8, v14
	v_cmp_gt_i32_e32 vcc, v8, v14
	s_waitcnt vmcnt(0)
	v_add_f64 v[24:25], v[18:19], -v[16:17]
	s_and_saveexec_b64 s[52:53], vcc
	s_cbranch_execnz .LBB24_23
; %bb.21:                               ;   in Loop: Header=BB24_12 Depth=3
	s_or_b64 exec, exec, s[52:53]
	v_cmp_class_f64_e64 s[90:91], v[24:25], s69
	s_and_saveexec_b64 s[92:93], s[90:91]
	s_cbranch_execnz .LBB24_26
.LBB24_22:                              ;   in Loop: Header=BB24_12 Depth=3
	s_or_b64 exec, exec, s[92:93]
	s_and_b64 s[52:53], s[90:91], s[34:35]
	s_and_saveexec_b64 s[22:23], s[52:53]
	s_cbranch_execz .LBB24_11
	s_branch .LBB24_61
.LBB24_23:                              ;   in Loop: Header=BB24_12 Depth=3
	v_lshlrev_b64 v[26:27], 3, v[14:15]
	v_mov_b32_e32 v11, s61
	v_add_co_u32_e32 v26, vcc, s60, v26
	v_addc_co_u32_e32 v27, vcc, v11, v27, vcc
	global_load_dwordx2 v[26:27], v[26:27], off
	v_pk_mov_b32 v[28:29], 0, 0
	s_waitcnt vmcnt(0)
	v_cmp_lg_f64_e32 vcc, 0, v[26:27]
	s_and_saveexec_b64 s[54:55], vcc
; %bb.24:                               ;   in Loop: Header=BB24_12 Depth=3
	v_div_scale_f64 v[28:29], s[56:57], v[26:27], v[26:27], v[24:25]
	v_rcp_f64_e32 v[42:43], v[28:29]
	v_div_scale_f64 v[44:45], vcc, v[24:25], v[26:27], v[24:25]
	v_fma_f64 v[46:47], -v[28:29], v[42:43], 1.0
	v_fmac_f64_e32 v[42:43], v[42:43], v[46:47]
	v_fma_f64 v[46:47], -v[28:29], v[42:43], 1.0
	v_fmac_f64_e32 v[42:43], v[42:43], v[46:47]
	v_mul_f64 v[46:47], v[44:45], v[42:43]
	v_fma_f64 v[28:29], -v[28:29], v[46:47], v[44:45]
	v_div_fmas_f64 v[28:29], v[28:29], v[42:43], v[46:47]
	v_div_fixup_f64 v[28:29], v[28:29], v[26:27], v[24:25]
; %bb.25:                               ;   in Loop: Header=BB24_12 Depth=3
	s_or_b64 exec, exec, s[54:55]
	v_pk_mov_b32 v[24:25], v[28:29], v[28:29] op_sel:[0,1]
	s_or_b64 exec, exec, s[52:53]
	v_cmp_class_f64_e64 s[90:91], v[24:25], s69
	s_and_saveexec_b64 s[92:93], s[90:91]
	s_cbranch_execz .LBB24_22
.LBB24_26:                              ;   in Loop: Header=BB24_12 Depth=3
	s_and_saveexec_b64 s[52:53], s[22:23]
	s_xor_b64 s[22:23], exec, s[52:53]
	s_cbranch_execz .LBB24_47
; %bb.27:                               ;   in Loop: Header=BB24_12 Depth=3
	v_cmp_ge_i32_e32 vcc, v8, v14
	s_and_saveexec_b64 s[52:53], vcc
	s_xor_b64 s[52:53], exec, s[52:53]
	s_cbranch_execz .LBB24_33
; %bb.28:                               ;   in Loop: Header=BB24_12 Depth=3
	v_lshlrev_b64 v[26:27], 3, v[14:15]
	v_mov_b32_e32 v11, s63
	v_add_co_u32_e32 v28, vcc, s62, v26
	v_addc_co_u32_e32 v29, vcc, v11, v27, vcc
	s_andn2_b64 vcc, exec, s[64:65]
	global_store_dwordx2 v[28:29], v[24:25], off
	s_cbranch_vccnz .LBB24_32
; %bb.29:                               ;   in Loop: Header=BB24_12 Depth=3
	v_mov_b32_e32 v11, s61
	v_add_co_u32_e32 v26, vcc, s60, v26
	v_addc_co_u32_e32 v27, vcc, v11, v27, vcc
	global_load_dwordx2 v[26:27], v[26:27], off
	s_waitcnt vmcnt(0)
	v_add_f64 v[24:25], v[26:27], -v[24:25]
	v_cmp_class_f64_e64 s[56:57], v[24:25], s69
	s_and_saveexec_b64 s[54:55], s[56:57]
; %bb.30:                               ;   in Loop: Header=BB24_12 Depth=3
	v_and_b32_e32 v11, 0x7fffffff, v25
	v_cmp_lt_f64_e64 vcc, v[4:5], |v[24:25]|
	v_cndmask_b32_e32 v5, v5, v11, vcc
	v_cndmask_b32_e32 v4, v4, v24, vcc
; %bb.31:                               ;   in Loop: Header=BB24_12 Depth=3
	s_or_b64 exec, exec, s[54:55]
.LBB24_32:                              ;   in Loop: Header=BB24_12 Depth=3
                                        ; implicit-def: $vgpr24_vgpr25
.LBB24_33:                              ;   in Loop: Header=BB24_12 Depth=3
	s_andn2_saveexec_b64 s[94:95], s[52:53]
	s_cbranch_execz .LBB24_46
; %bb.34:                               ;   in Loop: Header=BB24_12 Depth=3
	v_cmp_lt_i32_e32 vcc, v22, v41
	s_and_saveexec_b64 s[70:71], vcc
	s_cbranch_execz .LBB24_45
; %bb.35:                               ;   in Loop: Header=BB24_12 Depth=3
	s_mov_b64 s[74:75], 0
	v_mov_b32_e32 v11, v22
                                        ; implicit-def: $sgpr56_sgpr57
                                        ; implicit-def: $sgpr52_sgpr53
                                        ; implicit-def: $sgpr58_sgpr59
	s_branch .LBB24_37
.LBB24_36:                              ;   in Loop: Header=BB24_37 Depth=4
	s_or_b64 exec, exec, s[54:55]
	s_and_b64 s[54:55], exec, s[52:53]
	s_or_b64 s[74:75], s[54:55], s[74:75]
	s_andn2_b64 s[54:55], s[56:57], exec
	s_and_b64 s[56:57], s[58:59], exec
	s_or_b64 s[56:57], s[54:55], s[56:57]
	s_andn2_b64 exec, exec, s[74:75]
	s_cbranch_execz .LBB24_39
.LBB24_37:                              ;   Parent Loop BB24_3 Depth=1
                                        ;     Parent Loop BB24_7 Depth=2
                                        ;       Parent Loop BB24_12 Depth=3
                                        ; =>      This Inner Loop Header: Depth=4
	v_add_u32_e32 v26, v20, v11
	v_ashrrev_i32_e32 v27, 31, v26
	v_lshlrev_b64 v[28:29], 2, v[26:27]
	v_mov_b32_e32 v21, s29
	v_add_co_u32_e32 v28, vcc, s28, v28
	v_addc_co_u32_e32 v29, vcc, v21, v29, vcc
	global_load_dword v21, v[28:29], off
	s_or_b64 s[58:59], s[58:59], exec
	s_or_b64 s[52:53], s[52:53], exec
	s_waitcnt vmcnt(0)
	v_subrev_u32_e32 v21, s82, v21
	v_cmp_ne_u32_e32 vcc, v21, v8
	s_and_saveexec_b64 s[54:55], vcc
	s_cbranch_execz .LBB24_36
; %bb.38:                               ;   in Loop: Header=BB24_37 Depth=4
	v_add_u32_e32 v11, 1, v11
	v_cmp_ge_i32_e32 vcc, v11, v41
	s_andn2_b64 s[52:53], s[52:53], exec
	s_and_b64 vcc, vcc, exec
	s_andn2_b64 s[58:59], s[58:59], exec
	s_or_b64 s[52:53], s[52:53], vcc
	s_branch .LBB24_36
.LBB24_39:                              ;   in Loop: Header=BB24_12 Depth=3
	s_or_b64 exec, exec, s[74:75]
	s_and_saveexec_b64 s[52:53], s[56:57]
	s_xor_b64 s[52:53], exec, s[52:53]
	s_cbranch_execz .LBB24_44
; %bb.40:                               ;   in Loop: Header=BB24_12 Depth=3
	v_lshlrev_b64 v[26:27], 3, v[26:27]
	v_mov_b32_e32 v11, s79
	v_add_co_u32_e32 v28, vcc, s78, v26
	v_addc_co_u32_e32 v29, vcc, v11, v27, vcc
	s_andn2_b64 vcc, exec, s[64:65]
	global_store_dwordx2 v[28:29], v[24:25], off
	s_cbranch_vccnz .LBB24_44
; %bb.41:                               ;   in Loop: Header=BB24_12 Depth=3
	v_mov_b32_e32 v11, s31
	v_add_co_u32_e32 v26, vcc, s30, v26
	v_addc_co_u32_e32 v27, vcc, v11, v27, vcc
	global_load_dwordx2 v[26:27], v[26:27], off
	s_waitcnt vmcnt(0)
	v_add_f64 v[24:25], v[26:27], -v[24:25]
	v_cmp_class_f64_e64 s[56:57], v[24:25], s69
	s_and_saveexec_b64 s[54:55], s[56:57]
; %bb.42:                               ;   in Loop: Header=BB24_12 Depth=3
	v_and_b32_e32 v11, 0x7fffffff, v25
	v_cmp_lt_f64_e64 vcc, v[4:5], |v[24:25]|
	v_cndmask_b32_e32 v5, v5, v11, vcc
	v_cndmask_b32_e32 v4, v4, v24, vcc
; %bb.43:                               ;   in Loop: Header=BB24_12 Depth=3
	s_or_b64 exec, exec, s[54:55]
.LBB24_44:                              ;   in Loop: Header=BB24_12 Depth=3
	s_or_b64 exec, exec, s[52:53]
.LBB24_45:                              ;   in Loop: Header=BB24_12 Depth=3
	s_or_b64 exec, exec, s[70:71]
.LBB24_46:                              ;   in Loop: Header=BB24_12 Depth=3
	s_or_b64 exec, exec, s[94:95]
                                        ; implicit-def: $vgpr24_vgpr25
.LBB24_47:                              ;   in Loop: Header=BB24_12 Depth=3
	s_andn2_saveexec_b64 s[22:23], s[22:23]
	s_cbranch_execz .LBB24_60
; %bb.48:                               ;   in Loop: Header=BB24_12 Depth=3
	v_cmp_lt_i32_e32 vcc, v6, v37
	s_and_saveexec_b64 s[94:95], vcc
	s_cbranch_execz .LBB24_59
; %bb.49:                               ;   in Loop: Header=BB24_12 Depth=3
	s_mov_b64 s[70:71], 0
	v_mov_b32_e32 v11, v6
                                        ; implicit-def: $sgpr56_sgpr57
                                        ; implicit-def: $sgpr52_sgpr53
                                        ; implicit-def: $sgpr58_sgpr59
	s_branch .LBB24_51
.LBB24_50:                              ;   in Loop: Header=BB24_51 Depth=4
	s_or_b64 exec, exec, s[54:55]
	s_and_b64 s[54:55], exec, s[52:53]
	s_or_b64 s[70:71], s[54:55], s[70:71]
	s_andn2_b64 s[54:55], s[56:57], exec
	s_and_b64 s[56:57], s[58:59], exec
	s_or_b64 s[56:57], s[54:55], s[56:57]
	s_andn2_b64 exec, exec, s[70:71]
	s_cbranch_execz .LBB24_53
.LBB24_51:                              ;   Parent Loop BB24_3 Depth=1
                                        ;     Parent Loop BB24_7 Depth=2
                                        ;       Parent Loop BB24_12 Depth=3
                                        ; =>      This Inner Loop Header: Depth=4
	v_add_u32_e32 v26, v12, v11
	v_ashrrev_i32_e32 v27, 31, v26
	v_lshlrev_b64 v[28:29], 2, v[26:27]
	v_mov_b32_e32 v21, s41
	v_add_co_u32_e32 v28, vcc, s40, v28
	v_addc_co_u32_e32 v29, vcc, v21, v29, vcc
	global_load_dword v21, v[28:29], off
	s_or_b64 s[58:59], s[58:59], exec
	s_or_b64 s[52:53], s[52:53], exec
	s_waitcnt vmcnt(0)
	v_subrev_u32_e32 v21, s73, v21
	v_cmp_ne_u32_e32 vcc, v21, v14
	s_and_saveexec_b64 s[54:55], vcc
	s_cbranch_execz .LBB24_50
; %bb.52:                               ;   in Loop: Header=BB24_51 Depth=4
	v_add_u32_e32 v11, 1, v11
	v_cmp_ge_i32_e32 vcc, v11, v37
	s_andn2_b64 s[52:53], s[52:53], exec
	s_and_b64 s[74:75], vcc, exec
	s_andn2_b64 s[58:59], s[58:59], exec
	s_or_b64 s[52:53], s[52:53], s[74:75]
	s_branch .LBB24_50
.LBB24_53:                              ;   in Loop: Header=BB24_12 Depth=3
	s_or_b64 exec, exec, s[70:71]
	s_and_saveexec_b64 s[52:53], s[56:57]
	s_xor_b64 s[52:53], exec, s[52:53]
	s_cbranch_execz .LBB24_58
; %bb.54:                               ;   in Loop: Header=BB24_12 Depth=3
	v_lshlrev_b64 v[26:27], 3, v[26:27]
	v_mov_b32_e32 v11, s77
	v_add_co_u32_e32 v28, vcc, s76, v26
	v_addc_co_u32_e32 v29, vcc, v11, v27, vcc
	s_andn2_b64 vcc, exec, s[64:65]
	global_store_dwordx2 v[28:29], v[24:25], off
	s_cbranch_vccnz .LBB24_58
; %bb.55:                               ;   in Loop: Header=BB24_12 Depth=3
	v_mov_b32_e32 v11, s43
	v_add_co_u32_e32 v26, vcc, s42, v26
	v_addc_co_u32_e32 v27, vcc, v11, v27, vcc
	global_load_dwordx2 v[26:27], v[26:27], off
	s_waitcnt vmcnt(0)
	v_add_f64 v[24:25], v[26:27], -v[24:25]
	v_cmp_class_f64_e64 s[56:57], v[24:25], s69
	s_and_saveexec_b64 s[54:55], s[56:57]
; %bb.56:                               ;   in Loop: Header=BB24_12 Depth=3
	v_and_b32_e32 v11, 0x7fffffff, v25
	v_cmp_lt_f64_e64 vcc, v[4:5], |v[24:25]|
	v_cndmask_b32_e32 v5, v5, v11, vcc
	v_cndmask_b32_e32 v4, v4, v24, vcc
; %bb.57:                               ;   in Loop: Header=BB24_12 Depth=3
	s_or_b64 exec, exec, s[54:55]
.LBB24_58:                              ;   in Loop: Header=BB24_12 Depth=3
	s_or_b64 exec, exec, s[52:53]
.LBB24_59:                              ;   in Loop: Header=BB24_12 Depth=3
	s_or_b64 exec, exec, s[94:95]
.LBB24_60:                              ;   in Loop: Header=BB24_12 Depth=3
	s_or_b64 exec, exec, s[22:23]
	s_or_b64 exec, exec, s[92:93]
	s_and_b64 s[52:53], s[90:91], s[34:35]
	s_and_saveexec_b64 s[22:23], s[52:53]
	s_cbranch_execz .LBB24_11
.LBB24_61:                              ;   in Loop: Header=BB24_12 Depth=3
	v_cmp_ge_i32_e32 vcc, v22, v41
	s_and_saveexec_b64 s[52:53], vcc
	s_xor_b64 s[70:71], exec, s[52:53]
	s_cbranch_execnz .LBB24_67
; %bb.62:                               ;   in Loop: Header=BB24_12 Depth=3
	s_andn2_saveexec_b64 s[70:71], s[70:71]
	s_cbranch_execnz .LBB24_76
.LBB24_63:                              ;   in Loop: Header=BB24_12 Depth=3
	s_or_b64 exec, exec, s[70:71]
	v_cmp_eq_u32_e32 vcc, v8, v14
	s_and_saveexec_b64 s[52:53], vcc
	s_cbranch_execz .LBB24_65
.LBB24_64:                              ;   in Loop: Header=BB24_12 Depth=3
	v_lshlrev_b64 v[14:15], 3, v[14:15]
	v_mov_b32_e32 v6, s61
	v_add_co_u32_e32 v14, vcc, s60, v14
	v_addc_co_u32_e32 v15, vcc, v6, v15, vcc
	global_load_dwordx2 v[14:15], v[14:15], off
	s_waitcnt vmcnt(0)
	v_add_f64 v[16:17], v[16:17], v[14:15]
.LBB24_65:                              ;   in Loop: Header=BB24_12 Depth=3
	s_or_b64 exec, exec, s[52:53]
	v_add_f64 v[14:15], v[18:19], -v[16:17]
	v_cmp_class_f64_e64 s[54:55], v[14:15], s69
	s_and_saveexec_b64 s[52:53], s[54:55]
	s_cbranch_execz .LBB24_10
; %bb.66:                               ;   in Loop: Header=BB24_12 Depth=3
	v_and_b32_e32 v6, 0x7fffffff, v15
	v_cmp_lt_f64_e64 vcc, v[2:3], |v[14:15]|
	v_cndmask_b32_e32 v3, v3, v6, vcc
	v_cndmask_b32_e32 v2, v2, v14, vcc
	s_branch .LBB24_10
.LBB24_67:                              ;   in Loop: Header=BB24_12 Depth=3
	v_cmp_lt_i32_e32 vcc, v6, v37
	s_and_saveexec_b64 s[90:91], vcc
	s_cbranch_execz .LBB24_75
; %bb.68:                               ;   in Loop: Header=BB24_12 Depth=3
	s_mov_b64 s[74:75], 0
                                        ; implicit-def: $sgpr56_sgpr57
                                        ; implicit-def: $sgpr52_sgpr53
                                        ; implicit-def: $sgpr58_sgpr59
	s_branch .LBB24_70
.LBB24_69:                              ;   in Loop: Header=BB24_70 Depth=4
	s_or_b64 exec, exec, s[54:55]
	s_and_b64 s[54:55], exec, s[52:53]
	s_or_b64 s[74:75], s[54:55], s[74:75]
	s_andn2_b64 s[54:55], s[56:57], exec
	s_and_b64 s[56:57], s[58:59], exec
	s_or_b64 s[56:57], s[54:55], s[56:57]
	s_andn2_b64 exec, exec, s[74:75]
	s_cbranch_execz .LBB24_72
.LBB24_70:                              ;   Parent Loop BB24_3 Depth=1
                                        ;     Parent Loop BB24_7 Depth=2
                                        ;       Parent Loop BB24_12 Depth=3
                                        ; =>      This Inner Loop Header: Depth=4
	v_add_u32_e32 v20, v12, v6
	v_ashrrev_i32_e32 v21, 31, v20
	v_lshlrev_b64 v[22:23], 2, v[20:21]
	v_mov_b32_e32 v11, s41
	v_add_co_u32_e32 v22, vcc, s40, v22
	v_addc_co_u32_e32 v23, vcc, v11, v23, vcc
	global_load_dword v11, v[22:23], off
	s_or_b64 s[58:59], s[58:59], exec
	s_or_b64 s[52:53], s[52:53], exec
	s_waitcnt vmcnt(0)
	v_subrev_u32_e32 v11, s73, v11
	v_cmp_ne_u32_e32 vcc, v11, v14
	s_and_saveexec_b64 s[54:55], vcc
	s_cbranch_execz .LBB24_69
; %bb.71:                               ;   in Loop: Header=BB24_70 Depth=4
	v_add_u32_e32 v6, 1, v6
	v_cmp_ge_i32_e32 vcc, v6, v37
	s_andn2_b64 s[52:53], s[52:53], exec
	s_and_b64 s[92:93], vcc, exec
	s_andn2_b64 s[58:59], s[58:59], exec
	s_or_b64 s[52:53], s[52:53], s[92:93]
	s_branch .LBB24_69
.LBB24_72:                              ;   in Loop: Header=BB24_12 Depth=3
	s_or_b64 exec, exec, s[74:75]
	s_and_saveexec_b64 s[52:53], s[56:57]
	s_xor_b64 s[52:53], exec, s[52:53]
	s_cbranch_execz .LBB24_74
; %bb.73:                               ;   in Loop: Header=BB24_12 Depth=3
	v_lshlrev_b64 v[20:21], 3, v[20:21]
	v_mov_b32_e32 v6, s43
	v_add_co_u32_e32 v20, vcc, s42, v20
	v_addc_co_u32_e32 v21, vcc, v6, v21, vcc
	v_lshlrev_b64 v[22:23], 3, v[14:15]
	v_mov_b32_e32 v6, s61
	v_add_co_u32_e32 v22, vcc, s60, v22
	v_addc_co_u32_e32 v23, vcc, v6, v23, vcc
	global_load_dwordx2 v[20:21], v[20:21], off
	s_nop 0
	global_load_dwordx2 v[22:23], v[22:23], off
	s_waitcnt vmcnt(0)
	v_fmac_f64_e32 v[16:17], v[20:21], v[22:23]
.LBB24_74:                              ;   in Loop: Header=BB24_12 Depth=3
	s_or_b64 exec, exec, s[52:53]
.LBB24_75:                              ;   in Loop: Header=BB24_12 Depth=3
	s_or_b64 exec, exec, s[90:91]
                                        ; implicit-def: $vgpr22
                                        ; implicit-def: $vgpr20
                                        ; implicit-def: $vgpr41
	s_andn2_saveexec_b64 s[70:71], s[70:71]
	s_cbranch_execz .LBB24_63
.LBB24_76:                              ;   in Loop: Header=BB24_12 Depth=3
	s_mov_b64 s[74:75], 0
                                        ; implicit-def: $sgpr56_sgpr57
                                        ; implicit-def: $sgpr52_sgpr53
                                        ; implicit-def: $sgpr58_sgpr59
	s_branch .LBB24_78
.LBB24_77:                              ;   in Loop: Header=BB24_78 Depth=4
	s_or_b64 exec, exec, s[54:55]
	s_and_b64 s[54:55], exec, s[52:53]
	s_or_b64 s[74:75], s[54:55], s[74:75]
	s_andn2_b64 s[54:55], s[56:57], exec
	s_and_b64 s[56:57], s[58:59], exec
	s_or_b64 s[56:57], s[54:55], s[56:57]
	s_andn2_b64 exec, exec, s[74:75]
	s_cbranch_execz .LBB24_80
.LBB24_78:                              ;   Parent Loop BB24_3 Depth=1
                                        ;     Parent Loop BB24_7 Depth=2
                                        ;       Parent Loop BB24_12 Depth=3
                                        ; =>      This Inner Loop Header: Depth=4
	v_add_u32_e32 v24, v20, v22
	v_ashrrev_i32_e32 v25, 31, v24
	v_lshlrev_b64 v[26:27], 2, v[24:25]
	v_mov_b32_e32 v6, s29
	v_add_co_u32_e32 v26, vcc, s28, v26
	v_addc_co_u32_e32 v27, vcc, v6, v27, vcc
	global_load_dword v6, v[26:27], off
	s_or_b64 s[58:59], s[58:59], exec
	s_or_b64 s[52:53], s[52:53], exec
	s_waitcnt vmcnt(0)
	v_subrev_u32_e32 v6, s82, v6
	v_cmp_ne_u32_e32 vcc, v6, v8
	s_and_saveexec_b64 s[54:55], vcc
	s_cbranch_execz .LBB24_77
; %bb.79:                               ;   in Loop: Header=BB24_78 Depth=4
	v_add_u32_e32 v22, 1, v22
	v_cmp_ge_i32_e32 vcc, v22, v41
	s_andn2_b64 s[52:53], s[52:53], exec
	s_and_b64 s[90:91], vcc, exec
	s_andn2_b64 s[58:59], s[58:59], exec
	s_or_b64 s[52:53], s[52:53], s[90:91]
	s_branch .LBB24_77
.LBB24_80:                              ;   in Loop: Header=BB24_12 Depth=3
	s_or_b64 exec, exec, s[74:75]
	s_and_saveexec_b64 s[52:53], s[56:57]
	s_xor_b64 s[52:53], exec, s[52:53]
	s_cbranch_execz .LBB24_82
; %bb.81:                               ;   in Loop: Header=BB24_12 Depth=3
	v_lshlrev_b64 v[20:21], 3, v[24:25]
	v_mov_b32_e32 v6, s31
	v_add_co_u32_e32 v20, vcc, s30, v20
	v_addc_co_u32_e32 v21, vcc, v6, v21, vcc
	global_load_dwordx2 v[20:21], v[20:21], off
	s_waitcnt vmcnt(0)
	v_add_f64 v[16:17], v[16:17], v[20:21]
.LBB24_82:                              ;   in Loop: Header=BB24_12 Depth=3
	s_or_b64 exec, exec, s[52:53]
	s_or_b64 exec, exec, s[70:71]
	v_cmp_eq_u32_e32 vcc, v8, v14
	s_and_saveexec_b64 s[52:53], vcc
	s_cbranch_execnz .LBB24_64
	s_branch .LBB24_65
.LBB24_83:                              ;   in Loop: Header=BB24_3 Depth=1
	s_and_b64 vcc, exec, s[64:65]
	s_cbranch_vccz .LBB24_101
; %bb.84:                               ;   in Loop: Header=BB24_3 Depth=1
	v_mov_b32_dpp v8, v4 row_shr:1 row_mask:0xf bank_mask:0xf
	v_mov_b32_dpp v9, v5 row_shr:1 row_mask:0xf bank_mask:0xf
	v_cmp_lt_f64_e32 vcc, v[4:5], v[8:9]
	v_cndmask_b32_e32 v5, v5, v9, vcc
	v_cndmask_b32_e32 v4, v4, v8, vcc
	s_nop 0
	v_mov_b32_dpp v9, v5 row_shr:2 row_mask:0xf bank_mask:0xf
	v_mov_b32_dpp v8, v4 row_shr:2 row_mask:0xf bank_mask:0xf
	v_cmp_lt_f64_e32 vcc, v[4:5], v[8:9]
	v_cndmask_b32_e32 v5, v5, v9, vcc
	v_cndmask_b32_e32 v4, v4, v8, vcc
	s_nop 0
	v_mov_b32_dpp v9, v5 row_shr:4 row_mask:0xf bank_mask:0xe
	v_mov_b32_dpp v8, v4 row_shr:4 row_mask:0xf bank_mask:0xe
	s_and_saveexec_b64 s[20:21], s[2:3]
	s_cbranch_execz .LBB24_86
; %bb.85:                               ;   in Loop: Header=BB24_3 Depth=1
	v_cmp_lt_f64_e32 vcc, v[4:5], v[8:9]
	v_cndmask_b32_e32 v5, v5, v9, vcc
	v_cndmask_b32_e32 v4, v4, v8, vcc
	ds_write_b64 v34, v[4:5]
.LBB24_86:                              ;   in Loop: Header=BB24_3 Depth=1
	s_or_b64 exec, exec, s[20:21]
	s_waitcnt lgkmcnt(0)
	s_barrier
	s_and_saveexec_b64 s[20:21], s[4:5]
	s_cbranch_execz .LBB24_88
; %bb.87:                               ;   in Loop: Header=BB24_3 Depth=1
	ds_read2st64_b64 v[8:11], v32 offset1:1
	s_waitcnt lgkmcnt(0)
	v_cmp_lt_f64_e32 vcc, v[8:9], v[10:11]
	v_cndmask_b32_e32 v5, v9, v11, vcc
	v_cndmask_b32_e32 v4, v8, v10, vcc
	ds_write_b64 v32, v[4:5]
.LBB24_88:                              ;   in Loop: Header=BB24_3 Depth=1
	s_or_b64 exec, exec, s[20:21]
	s_waitcnt lgkmcnt(0)
	s_barrier
	s_and_saveexec_b64 s[20:21], s[6:7]
	s_cbranch_execz .LBB24_90
; %bb.89:                               ;   in Loop: Header=BB24_3 Depth=1
	ds_read2_b64 v[8:11], v32 offset1:32
	s_waitcnt lgkmcnt(0)
	v_cmp_lt_f64_e32 vcc, v[8:9], v[10:11]
	v_cndmask_b32_e32 v5, v9, v11, vcc
	v_cndmask_b32_e32 v4, v8, v10, vcc
	ds_write_b64 v32, v[4:5]
.LBB24_90:                              ;   in Loop: Header=BB24_3 Depth=1
	s_or_b64 exec, exec, s[20:21]
	s_waitcnt lgkmcnt(0)
	s_barrier
	s_and_saveexec_b64 s[20:21], s[8:9]
	s_cbranch_execz .LBB24_92
; %bb.91:                               ;   in Loop: Header=BB24_3 Depth=1
	ds_read2_b64 v[8:11], v32 offset1:16
	s_waitcnt lgkmcnt(0)
	v_cmp_lt_f64_e32 vcc, v[8:9], v[10:11]
	v_cndmask_b32_e32 v5, v9, v11, vcc
	v_cndmask_b32_e32 v4, v8, v10, vcc
	ds_write_b64 v32, v[4:5]
.LBB24_92:                              ;   in Loop: Header=BB24_3 Depth=1
	;; [unrolled: 13-line block ×5, first 2 shown]
	s_or_b64 exec, exec, s[20:21]
	s_waitcnt lgkmcnt(0)
	s_barrier
	s_and_saveexec_b64 s[20:21], s[16:17]
	s_cbranch_execz .LBB24_100
; %bb.99:                               ;   in Loop: Header=BB24_3 Depth=1
	ds_read_b128 v[8:11], v7
	s_waitcnt lgkmcnt(0)
	v_cmp_lt_f64_e32 vcc, v[8:9], v[10:11]
	v_cndmask_b32_e32 v5, v9, v11, vcc
	v_cndmask_b32_e32 v4, v8, v10, vcc
	ds_write_b64 v7, v[4:5]
.LBB24_100:                             ;   in Loop: Header=BB24_3 Depth=1
	s_or_b64 exec, exec, s[20:21]
	v_readlane_b32 s0, v48, 12
	v_readlane_b32 s1, v48, 13
	s_waitcnt lgkmcnt(0)
	s_barrier
	ds_read_b64 v[4:5], v7
	s_load_dwordx2 s[0:1], s[0:1], 0x0
	s_waitcnt lgkmcnt(0)
	v_div_scale_f64 v[8:9], s[20:21], s[0:1], s[0:1], v[4:5]
	v_rcp_f64_e32 v[10:11], v[8:9]
	v_div_scale_f64 v[12:13], vcc, v[4:5], s[0:1], v[4:5]
	v_fma_f64 v[14:15], -v[8:9], v[10:11], 1.0
	v_fmac_f64_e32 v[10:11], v[10:11], v[14:15]
	v_fma_f64 v[14:15], -v[8:9], v[10:11], 1.0
	v_fmac_f64_e32 v[10:11], v[10:11], v[14:15]
	v_mul_f64 v[14:15], v[12:13], v[10:11]
	v_fma_f64 v[8:9], -v[8:9], v[14:15], v[12:13]
	v_div_fmas_f64 v[8:9], v[8:9], v[10:11], v[14:15]
	v_div_fixup_f64 v[4:5], v[8:9], s[0:1], v[4:5]
.LBB24_101:                             ;   in Loop: Header=BB24_3 Depth=1
	s_andn2_b64 vcc, exec, s[34:35]
	s_cbranch_vccnz .LBB24_119
; %bb.102:                              ;   in Loop: Header=BB24_3 Depth=1
	v_mov_b32_dpp v8, v2 row_shr:1 row_mask:0xf bank_mask:0xf
	v_mov_b32_dpp v9, v3 row_shr:1 row_mask:0xf bank_mask:0xf
	v_cmp_lt_f64_e32 vcc, v[2:3], v[8:9]
	v_cndmask_b32_e32 v3, v3, v9, vcc
	v_cndmask_b32_e32 v2, v2, v8, vcc
	s_nop 0
	v_mov_b32_dpp v9, v3 row_shr:2 row_mask:0xf bank_mask:0xf
	v_mov_b32_dpp v8, v2 row_shr:2 row_mask:0xf bank_mask:0xf
	v_cmp_lt_f64_e32 vcc, v[2:3], v[8:9]
	v_cndmask_b32_e32 v3, v3, v9, vcc
	v_cndmask_b32_e32 v2, v2, v8, vcc
	s_nop 0
	v_mov_b32_dpp v9, v3 row_shr:4 row_mask:0xf bank_mask:0xe
	v_mov_b32_dpp v8, v2 row_shr:4 row_mask:0xf bank_mask:0xe
	s_and_saveexec_b64 s[20:21], s[2:3]
	s_cbranch_execz .LBB24_104
; %bb.103:                              ;   in Loop: Header=BB24_3 Depth=1
	v_cmp_lt_f64_e32 vcc, v[2:3], v[8:9]
	v_cndmask_b32_e32 v3, v3, v9, vcc
	v_cndmask_b32_e32 v2, v2, v8, vcc
	ds_write_b64 v34, v[2:3]
.LBB24_104:                             ;   in Loop: Header=BB24_3 Depth=1
	s_or_b64 exec, exec, s[20:21]
	s_waitcnt lgkmcnt(0)
	s_barrier
	s_and_saveexec_b64 s[20:21], s[4:5]
	s_cbranch_execz .LBB24_106
; %bb.105:                              ;   in Loop: Header=BB24_3 Depth=1
	ds_read2st64_b64 v[8:11], v32 offset1:1
	s_waitcnt lgkmcnt(0)
	v_cmp_lt_f64_e32 vcc, v[8:9], v[10:11]
	v_cndmask_b32_e32 v3, v9, v11, vcc
	v_cndmask_b32_e32 v2, v8, v10, vcc
	ds_write_b64 v32, v[2:3]
.LBB24_106:                             ;   in Loop: Header=BB24_3 Depth=1
	s_or_b64 exec, exec, s[20:21]
	s_waitcnt lgkmcnt(0)
	s_barrier
	s_and_saveexec_b64 s[20:21], s[6:7]
	s_cbranch_execz .LBB24_108
; %bb.107:                              ;   in Loop: Header=BB24_3 Depth=1
	ds_read2_b64 v[8:11], v32 offset1:32
	s_waitcnt lgkmcnt(0)
	v_cmp_lt_f64_e32 vcc, v[8:9], v[10:11]
	v_cndmask_b32_e32 v3, v9, v11, vcc
	v_cndmask_b32_e32 v2, v8, v10, vcc
	ds_write_b64 v32, v[2:3]
.LBB24_108:                             ;   in Loop: Header=BB24_3 Depth=1
	s_or_b64 exec, exec, s[20:21]
	s_waitcnt lgkmcnt(0)
	s_barrier
	s_and_saveexec_b64 s[20:21], s[8:9]
	s_cbranch_execz .LBB24_110
; %bb.109:                              ;   in Loop: Header=BB24_3 Depth=1
	ds_read2_b64 v[8:11], v32 offset1:16
	s_waitcnt lgkmcnt(0)
	v_cmp_lt_f64_e32 vcc, v[8:9], v[10:11]
	v_cndmask_b32_e32 v3, v9, v11, vcc
	v_cndmask_b32_e32 v2, v8, v10, vcc
	ds_write_b64 v32, v[2:3]
.LBB24_110:                             ;   in Loop: Header=BB24_3 Depth=1
	s_or_b64 exec, exec, s[20:21]
	s_waitcnt lgkmcnt(0)
	s_barrier
	s_and_saveexec_b64 s[20:21], s[10:11]
	s_cbranch_execz .LBB24_112
; %bb.111:                              ;   in Loop: Header=BB24_3 Depth=1
	ds_read2_b64 v[8:11], v32 offset1:8
	s_waitcnt lgkmcnt(0)
	v_cmp_lt_f64_e32 vcc, v[8:9], v[10:11]
	v_cndmask_b32_e32 v3, v9, v11, vcc
	v_cndmask_b32_e32 v2, v8, v10, vcc
	ds_write_b64 v32, v[2:3]
.LBB24_112:                             ;   in Loop: Header=BB24_3 Depth=1
	s_or_b64 exec, exec, s[20:21]
	s_waitcnt lgkmcnt(0)
	s_barrier
	s_and_saveexec_b64 s[20:21], s[12:13]
	s_cbranch_execz .LBB24_114
; %bb.113:                              ;   in Loop: Header=BB24_3 Depth=1
	ds_read2_b64 v[8:11], v32 offset1:4
	s_waitcnt lgkmcnt(0)
	v_cmp_lt_f64_e32 vcc, v[8:9], v[10:11]
	v_cndmask_b32_e32 v3, v9, v11, vcc
	v_cndmask_b32_e32 v2, v8, v10, vcc
	ds_write_b64 v32, v[2:3]
.LBB24_114:                             ;   in Loop: Header=BB24_3 Depth=1
	s_or_b64 exec, exec, s[20:21]
	s_waitcnt lgkmcnt(0)
	s_barrier
	s_and_saveexec_b64 s[20:21], s[14:15]
	s_cbranch_execz .LBB24_116
; %bb.115:                              ;   in Loop: Header=BB24_3 Depth=1
	ds_read2_b64 v[8:11], v32 offset1:2
	s_waitcnt lgkmcnt(0)
	v_cmp_lt_f64_e32 vcc, v[8:9], v[10:11]
	v_cndmask_b32_e32 v3, v9, v11, vcc
	v_cndmask_b32_e32 v2, v8, v10, vcc
	ds_write_b64 v32, v[2:3]
.LBB24_116:                             ;   in Loop: Header=BB24_3 Depth=1
	s_or_b64 exec, exec, s[20:21]
	s_waitcnt lgkmcnt(0)
	s_barrier
	s_and_saveexec_b64 s[20:21], s[16:17]
	s_cbranch_execz .LBB24_118
; %bb.117:                              ;   in Loop: Header=BB24_3 Depth=1
	ds_read_b128 v[8:11], v7
	s_waitcnt lgkmcnt(0)
	v_cmp_lt_f64_e32 vcc, v[8:9], v[10:11]
	v_cndmask_b32_e32 v3, v9, v11, vcc
	v_cndmask_b32_e32 v2, v8, v10, vcc
	ds_write_b64 v7, v[2:3]
.LBB24_118:                             ;   in Loop: Header=BB24_3 Depth=1
	s_or_b64 exec, exec, s[20:21]
	v_readlane_b32 s0, v48, 12
	v_readlane_b32 s1, v48, 13
	s_waitcnt lgkmcnt(0)
	s_barrier
	ds_read_b64 v[2:3], v7
	s_load_dwordx2 s[0:1], s[0:1], 0x0
	s_waitcnt lgkmcnt(0)
	v_div_scale_f64 v[8:9], s[20:21], s[0:1], s[0:1], v[2:3]
	v_rcp_f64_e32 v[10:11], v[8:9]
	v_div_scale_f64 v[12:13], vcc, v[2:3], s[0:1], v[2:3]
	v_fma_f64 v[14:15], -v[8:9], v[10:11], 1.0
	v_fmac_f64_e32 v[10:11], v[10:11], v[14:15]
	v_fma_f64 v[14:15], -v[8:9], v[10:11], 1.0
	v_fmac_f64_e32 v[10:11], v[10:11], v[14:15]
	v_mul_f64 v[14:15], v[12:13], v[10:11]
	v_fma_f64 v[8:9], -v[8:9], v[14:15], v[12:13]
	v_div_fmas_f64 v[8:9], v[8:9], v[10:11], v[14:15]
	v_div_fixup_f64 v[2:3], v[8:9], s[0:1], v[2:3]
.LBB24_119:                             ;   in Loop: Header=BB24_3 Depth=1
	s_mov_b64 s[20:21], exec
	v_readlane_b32 s0, v48, 16
	v_readlane_b32 s1, v48, 17
	s_and_b64 s[0:1], s[20:21], s[0:1]
	s_mov_b64 exec, s[0:1]
	s_cbranch_execz .LBB24_131
; %bb.120:                              ;   in Loop: Header=BB24_3 Depth=1
	s_mov_b64 s[22:23], 0
	v_mov_b32_e32 v8, v31
	s_branch .LBB24_122
.LBB24_121:                             ;   in Loop: Header=BB24_122 Depth=2
	s_or_b64 exec, exec, s[84:85]
	v_add_u32_e32 v8, 0x80, v8
	v_cmp_le_u32_e32 vcc, s83, v8
	s_or_b64 s[22:23], vcc, s[22:23]
	s_andn2_b64 exec, exec, s[22:23]
	s_cbranch_execz .LBB24_131
.LBB24_122:                             ;   Parent Loop BB24_3 Depth=1
                                        ; =>  This Loop Header: Depth=2
                                        ;       Child Loop BB24_125 Depth 3
                                        ;       Child Loop BB24_128 Depth 3
	v_cmp_gt_i32_e32 vcc, s33, v8
	s_and_saveexec_b64 s[84:85], vcc
	s_cbranch_execz .LBB24_121
; %bb.123:                              ;   in Loop: Header=BB24_122 Depth=2
	v_ashrrev_i32_e32 v9, 31, v8
	v_lshlrev_b64 v[10:11], 2, v[8:9]
	v_mov_b32_e32 v6, s37
	v_add_co_u32_e32 v12, vcc, s36, v10
	v_addc_co_u32_e32 v13, vcc, v6, v11, vcc
	global_load_dword v6, v[12:13], off
	v_mov_b32_e32 v13, s39
	v_add_co_u32_e32 v12, vcc, s38, v10
	v_addc_co_u32_e32 v13, vcc, v13, v11, vcc
	global_load_dword v13, v[12:13], off
	s_waitcnt vmcnt(1)
	v_add_u32_e32 v12, v35, v6
	s_waitcnt vmcnt(0)
	v_subrev_u32_e32 v6, s73, v13
	v_cmp_lt_i32_e32 vcc, v12, v6
	s_and_saveexec_b64 s[52:53], vcc
	s_cbranch_execz .LBB24_126
; %bb.124:                              ;   in Loop: Header=BB24_122 Depth=2
	v_ashrrev_i32_e32 v13, 31, v12
	v_lshlrev_b64 v[16:17], 3, v[12:13]
	v_mov_b32_e32 v13, s77
	v_add_co_u32_e32 v14, vcc, s76, v16
	v_addc_co_u32_e32 v15, vcc, v13, v17, vcc
	v_mov_b32_e32 v13, s43
	v_add_co_u32_e32 v16, vcc, s42, v16
	v_addc_co_u32_e32 v17, vcc, v13, v17, vcc
	s_mov_b64 s[54:55], 0
.LBB24_125:                             ;   Parent Loop BB24_3 Depth=1
                                        ;     Parent Loop BB24_122 Depth=2
                                        ; =>    This Inner Loop Header: Depth=3
	global_load_dwordx2 v[18:19], v[14:15], off
	v_add_co_u32_e32 v14, vcc, 64, v14
	v_add_u32_e32 v12, 8, v12
	v_addc_co_u32_e32 v15, vcc, 0, v15, vcc
	v_cmp_ge_i32_e32 vcc, v12, v6
	s_or_b64 s[54:55], vcc, s[54:55]
	s_waitcnt vmcnt(0)
	global_store_dwordx2 v[16:17], v[18:19], off
	v_add_co_u32_e32 v16, vcc, 64, v16
	v_addc_co_u32_e32 v17, vcc, 0, v17, vcc
	s_andn2_b64 exec, exec, s[54:55]
	s_cbranch_execnz .LBB24_125
.LBB24_126:                             ;   in Loop: Header=BB24_122 Depth=2
	s_or_b64 exec, exec, s[52:53]
	v_mov_b32_e32 v6, s25
	v_add_co_u32_e32 v12, vcc, s24, v10
	v_addc_co_u32_e32 v13, vcc, v6, v11, vcc
	global_load_dword v6, v[12:13], off
	v_mov_b32_e32 v12, s27
	v_add_co_u32_e32 v10, vcc, s26, v10
	v_addc_co_u32_e32 v11, vcc, v12, v11, vcc
	global_load_dword v11, v[10:11], off
	s_waitcnt vmcnt(1)
	v_add_u32_e32 v10, v36, v6
	s_waitcnt vmcnt(0)
	v_subrev_u32_e32 v6, s82, v11
	v_cmp_lt_i32_e32 vcc, v10, v6
	s_and_saveexec_b64 s[52:53], vcc
	s_cbranch_execz .LBB24_129
; %bb.127:                              ;   in Loop: Header=BB24_122 Depth=2
	v_ashrrev_i32_e32 v11, 31, v10
	v_lshlrev_b64 v[14:15], 3, v[10:11]
	v_mov_b32_e32 v11, s79
	v_add_co_u32_e32 v12, vcc, s78, v14
	v_addc_co_u32_e32 v13, vcc, v11, v15, vcc
	v_mov_b32_e32 v11, s31
	v_add_co_u32_e32 v14, vcc, s30, v14
	v_addc_co_u32_e32 v15, vcc, v11, v15, vcc
	s_mov_b64 s[54:55], 0
.LBB24_128:                             ;   Parent Loop BB24_3 Depth=1
                                        ;     Parent Loop BB24_122 Depth=2
                                        ; =>    This Inner Loop Header: Depth=3
	global_load_dwordx2 v[16:17], v[12:13], off
	v_add_co_u32_e32 v12, vcc, 64, v12
	v_add_u32_e32 v10, 8, v10
	v_addc_co_u32_e32 v13, vcc, 0, v13, vcc
	v_cmp_ge_i32_e32 vcc, v10, v6
	s_or_b64 s[54:55], vcc, s[54:55]
	s_waitcnt vmcnt(0)
	global_store_dwordx2 v[14:15], v[16:17], off
	v_add_co_u32_e32 v14, vcc, 64, v14
	v_addc_co_u32_e32 v15, vcc, 0, v15, vcc
	s_andn2_b64 exec, exec, s[54:55]
	s_cbranch_execnz .LBB24_128
.LBB24_129:                             ;   in Loop: Header=BB24_122 Depth=2
	s_or_b64 exec, exec, s[52:53]
	s_and_b64 exec, exec, s[18:19]
	s_cbranch_execz .LBB24_121
; %bb.130:                              ;   in Loop: Header=BB24_122 Depth=2
	v_lshlrev_b64 v[10:11], 3, v[8:9]
	v_mov_b32_e32 v6, s63
	v_add_co_u32_e32 v12, vcc, s62, v10
	v_addc_co_u32_e32 v13, vcc, v6, v11, vcc
	global_load_dwordx2 v[12:13], v[12:13], off
	v_mov_b32_e32 v6, s61
	v_add_co_u32_e32 v10, vcc, s60, v10
	v_addc_co_u32_e32 v11, vcc, v6, v11, vcc
	s_waitcnt vmcnt(0)
	global_store_dwordx2 v[10:11], v[12:13], off
	s_branch .LBB24_121
.LBB24_131:                             ;   in Loop: Header=BB24_3 Depth=1
	s_or_b64 exec, exec, s[20:21]
	s_mov_b64 s[22:23], -1
	s_mov_b64 s[20:21], -1
	s_and_b64 vcc, exec, s[66:67]
	s_cbranch_vccz .LBB24_141
; %bb.132:                              ;   in Loop: Header=BB24_3 Depth=1
	v_readlane_b32 s0, v48, 18
	v_readlane_b32 s1, v48, 19
	s_and_b64 vcc, exec, s[0:1]
                                        ; implicit-def: $sgpr52_sgpr53
	s_cbranch_vccz .LBB24_138
; %bb.133:                              ;   in Loop: Header=BB24_3 Depth=1
	v_readlane_b32 s0, v48, 14
	v_readlane_b32 s1, v48, 15
	s_and_b64 vcc, exec, s[0:1]
                                        ; implicit-def: $sgpr52_sgpr53
	s_cbranch_vccz .LBB24_135
; %bb.134:                              ;   in Loop: Header=BB24_3 Depth=1
	v_readlane_b32 s52, v48, 0
	v_readlane_b32 s54, v48, 2
	;; [unrolled: 1-line block ×4, first 2 shown]
	v_cmp_ge_f64_e32 vcc, s[54:55], v[2:3]
	s_mov_b64 s[20:21], 0
	s_and_b64 s[52:53], vcc, exec
.LBB24_135:                             ;   in Loop: Header=BB24_3 Depth=1
	s_andn2_b64 vcc, exec, s[20:21]
	s_cbranch_vccnz .LBB24_137
; %bb.136:                              ;   in Loop: Header=BB24_3 Depth=1
	v_readlane_b32 s56, v48, 0
	v_readlane_b32 s58, v48, 2
	;; [unrolled: 1-line block ×3, first 2 shown]
	v_cmp_ge_f64_e32 vcc, s[58:59], v[4:5]
	s_andn2_b64 s[0:1], s[52:53], exec
	s_and_b64 s[20:21], vcc, exec
	s_or_b64 s[52:53], s[0:1], s[20:21]
	v_readlane_b32 s57, v48, 1
.LBB24_137:                             ;   in Loop: Header=BB24_3 Depth=1
	s_mov_b64 s[20:21], 0
.LBB24_138:                             ;   in Loop: Header=BB24_3 Depth=1
	s_andn2_b64 vcc, exec, s[20:21]
	s_cbranch_vccnz .LBB24_140
; %bb.139:                              ;   in Loop: Header=BB24_3 Depth=1
	v_readlane_b32 s56, v48, 0
	v_readlane_b32 s58, v48, 2
	;; [unrolled: 1-line block ×3, first 2 shown]
	v_cmp_ge_f64_e32 vcc, s[58:59], v[4:5]
	v_cmp_ge_f64_e64 s[20:21], s[58:59], v[2:3]
	s_and_b64 s[0:1], vcc, s[20:21]
	s_andn2_b64 s[20:21], s[52:53], exec
	s_and_b64 s[0:1], s[0:1], exec
	s_or_b64 s[52:53], s[20:21], s[0:1]
	v_readlane_b32 s57, v48, 1
.LBB24_140:                             ;   in Loop: Header=BB24_3 Depth=1
	s_xor_b64 s[20:21], s[52:53], -1
.LBB24_141:                             ;   in Loop: Header=BB24_3 Depth=1
	v_mov_b32_e32 v6, s68
	s_and_saveexec_b64 s[52:53], s[20:21]
	s_cbranch_execz .LBB24_2
; %bb.142:                              ;   in Loop: Header=BB24_3 Depth=1
	v_readlane_b32 s0, v48, 4
	s_add_i32 s68, s68, 1
	v_readlane_b32 s1, v48, 5
	s_cmp_eq_u32 s68, s1
	s_mov_b32 s21, s1
	s_cselect_b64 s[0:1], -1, 0
	v_mov_b32_e32 v6, s21
	s_orn2_b64 s[22:23], s[0:1], exec
	s_branch .LBB24_2
.LBB24_143:
	s_or_b64 exec, exec, s[80:81]
	v_readlane_b32 s20, v48, 8
	v_readlane_b32 s21, v48, 9
	v_readlane_b32 s22, v48, 10
	v_readlane_b32 s23, v48, 11
.LBB24_144:
	v_readlane_b32 s0, v48, 6
	v_readlane_b32 s1, v48, 7
	s_or_b64 exec, exec, s[0:1]
	s_andn2_b64 vcc, exec, s[66:67]
	s_cbranch_vccnz .LBB24_165
; %bb.145:
	v_mov_b32_dpp v7, v6 row_shr:1 row_mask:0xf bank_mask:0xf
	v_max_i32_e32 v6, v6, v7
	v_cmp_eq_u32_e32 vcc, 7, v30
	s_nop 0
	v_mov_b32_dpp v7, v6 row_shr:2 row_mask:0xf bank_mask:0xf
	v_max_i32_e32 v6, v6, v7
	s_nop 1
	v_mov_b32_dpp v7, v6 row_shr:4 row_mask:0xf bank_mask:0xe
	s_and_saveexec_b64 s[0:1], vcc
	s_cbranch_execz .LBB24_147
; %bb.146:
	v_lshlrev_b32_e32 v1, 2, v1
	v_max_i32_e32 v6, v6, v7
	ds_write_b32 v1, v6 offset:1024
.LBB24_147:
	s_or_b64 exec, exec, s[0:1]
	v_cmp_gt_u32_e32 vcc, 64, v0
	v_lshlrev_b32_e32 v1, 2, v0
	s_waitcnt lgkmcnt(0)
	s_barrier
	s_and_saveexec_b64 s[0:1], vcc
	s_cbranch_execz .LBB24_149
; %bb.148:
	ds_read2st64_b32 v[6:7], v1 offset0:4 offset1:5
	s_waitcnt lgkmcnt(0)
	v_max_i32_e32 v6, v6, v7
	ds_write_b32 v1, v6 offset:1024
.LBB24_149:
	s_or_b64 exec, exec, s[0:1]
	v_cmp_gt_u32_e32 vcc, 32, v0
	s_waitcnt lgkmcnt(0)
	s_barrier
	s_and_saveexec_b64 s[0:1], vcc
	s_cbranch_execz .LBB24_151
; %bb.150:
	v_add_u32_e32 v6, 0x400, v1
	ds_read2_b32 v[6:7], v6 offset1:32
	s_waitcnt lgkmcnt(0)
	v_max_i32_e32 v6, v6, v7
	ds_write_b32 v1, v6 offset:1024
.LBB24_151:
	s_or_b64 exec, exec, s[0:1]
	v_cmp_gt_u32_e32 vcc, 16, v0
	s_waitcnt lgkmcnt(0)
	s_barrier
	s_and_saveexec_b64 s[0:1], vcc
	s_cbranch_execz .LBB24_153
; %bb.152:
	v_add_u32_e32 v6, 0x400, v1
	ds_read2_b32 v[6:7], v6 offset1:16
	s_waitcnt lgkmcnt(0)
	v_max_i32_e32 v6, v6, v7
	ds_write_b32 v1, v6 offset:1024
.LBB24_153:
	;; [unrolled: 13-line block ×5, first 2 shown]
	s_or_b64 exec, exec, s[0:1]
	v_cmp_eq_u32_e32 vcc, 0, v0
	s_waitcnt lgkmcnt(0)
	s_barrier
	s_and_saveexec_b64 s[0:1], vcc
	s_cbranch_execz .LBB24_161
; %bb.160:
	v_mov_b32_e32 v1, 0
	ds_read_b64 v[6:7], v1 offset:1024
	s_waitcnt lgkmcnt(0)
	v_max_i32_e32 v6, v6, v7
	ds_write_b32 v1, v6 offset:1024
.LBB24_161:
	s_or_b64 exec, exec, s[0:1]
	s_waitcnt lgkmcnt(0)
	s_barrier
	s_and_saveexec_b64 s[0:1], vcc
	s_cbranch_execz .LBB24_164
; %bb.162:
	v_mbcnt_lo_u32_b32 v1, exec_lo, 0
	v_mbcnt_hi_u32_b32 v1, exec_hi, v1
	v_cmp_eq_u32_e32 vcc, 0, v1
	s_and_b64 exec, exec, vcc
	s_cbranch_execz .LBB24_164
; %bb.163:
	v_mov_b32_e32 v1, 0
	ds_read_b32 v6, v1 offset:1024
	v_readlane_b32 s4, v48, 0
	v_readlane_b32 s5, v48, 1
	;; [unrolled: 1-line block ×4, first 2 shown]
	s_waitcnt lgkmcnt(0)
	v_add_u32_e32 v6, 1, v6
	s_nop 0
	global_atomic_smax v1, v6, s[4:5]
.LBB24_164:
	s_or_b64 exec, exec, s[0:1]
.LBB24_165:
	v_cmp_eq_u32_e32 vcc, 0, v0
	s_mov_b32 s0, 0
	s_and_b64 s[2:3], vcc, s[64:65]
	s_and_saveexec_b64 s[4:5], s[2:3]
	s_cbranch_execz .LBB24_170
; %bb.166:
	v_mov_b32_e32 v0, 0
	global_load_dwordx2 v[6:7], v0, s[20:21] glc
	s_brev_b32 s1, 1
	s_mov_b64 s[6:7], 0
                                        ; implicit-def: $sgpr8_sgpr9
                                        ; implicit-def: $sgpr10_sgpr11
	s_waitcnt vmcnt(0)
	v_cmp_eq_u64_e64 s[12:13], s[0:1], v[6:7]
	v_cmp_eq_f64_e64 s[0:1], 0, v[4:5]
	s_branch .LBB24_168
.LBB24_167:                             ;   in Loop: Header=BB24_168 Depth=1
	s_or_b64 exec, exec, s[14:15]
	s_and_b64 s[2:3], exec, s[8:9]
	s_or_b64 s[6:7], s[2:3], s[6:7]
	s_andn2_b64 s[2:3], s[12:13], exec
	s_and_b64 s[12:13], s[10:11], exec
	s_or_b64 s[12:13], s[2:3], s[12:13]
	s_andn2_b64 exec, exec, s[6:7]
	s_cbranch_execz .LBB24_170
.LBB24_168:                             ; =>This Inner Loop Header: Depth=1
	v_cmp_lt_f64_e64 s[2:3], v[6:7], v[4:5]
	s_and_b64 s[14:15], s[0:1], s[12:13]
	s_or_b64 s[2:3], s[2:3], s[14:15]
	s_andn2_b64 s[10:11], s[10:11], exec
	s_or_b64 s[8:9], s[8:9], exec
	s_and_saveexec_b64 s[14:15], s[2:3]
	s_cbranch_execz .LBB24_167
; %bb.169:                              ;   in Loop: Header=BB24_168 Depth=1
	global_atomic_cmpswap_x2 v[8:9], v0, v[4:7], s[20:21] glc
	s_andn2_b64 s[8:9], s[8:9], exec
	s_andn2_b64 s[10:11], s[10:11], exec
                                        ; implicit-def: $sgpr12_sgpr13
	s_waitcnt vmcnt(0)
	v_cmp_eq_u64_e64 s[2:3], v[8:9], v[6:7]
	v_cndmask_b32_e64 v7, v9, v7, s[2:3]
	v_cndmask_b32_e64 v6, v8, v6, s[2:3]
	s_and_b64 s[2:3], s[2:3], exec
	v_cmp_class_f64_e64 s[16:17], v[6:7], 32
	s_or_b64 s[8:9], s[8:9], s[2:3]
	s_and_b64 s[2:3], s[16:17], exec
	s_or_b64 s[10:11], s[10:11], s[2:3]
	v_pk_mov_b32 v[6:7], v[8:9], v[8:9] op_sel:[0,1]
	s_branch .LBB24_167
.LBB24_170:
	s_or_b64 exec, exec, s[4:5]
	s_and_b64 s[0:1], vcc, s[34:35]
	s_and_saveexec_b64 s[2:3], s[0:1]
	s_cbranch_execz .LBB24_175
; %bb.171:
	v_mov_b32_e32 v0, 0
	global_load_dwordx2 v[4:5], v0, s[22:23] glc
	s_mov_b32 s0, 0
	s_brev_b32 s1, 1
	s_mov_b64 s[2:3], 0
	v_cmp_eq_f64_e32 vcc, 0, v[2:3]
                                        ; implicit-def: $sgpr4_sgpr5
                                        ; implicit-def: $sgpr6_sgpr7
	s_waitcnt vmcnt(0)
	v_cmp_eq_u64_e64 s[8:9], s[0:1], v[4:5]
	s_branch .LBB24_173
.LBB24_172:                             ;   in Loop: Header=BB24_173 Depth=1
	s_or_b64 exec, exec, s[10:11]
	s_and_b64 s[0:1], exec, s[4:5]
	s_or_b64 s[2:3], s[0:1], s[2:3]
	s_andn2_b64 s[0:1], s[8:9], exec
	s_and_b64 s[8:9], s[6:7], exec
	s_or_b64 s[8:9], s[0:1], s[8:9]
	s_andn2_b64 exec, exec, s[2:3]
	s_cbranch_execz .LBB24_175
.LBB24_173:                             ; =>This Inner Loop Header: Depth=1
	v_cmp_lt_f64_e64 s[0:1], v[4:5], v[2:3]
	s_and_b64 s[10:11], vcc, s[8:9]
	s_or_b64 s[0:1], s[0:1], s[10:11]
	s_andn2_b64 s[6:7], s[6:7], exec
	s_or_b64 s[4:5], s[4:5], exec
	s_and_saveexec_b64 s[10:11], s[0:1]
	s_cbranch_execz .LBB24_172
; %bb.174:                              ;   in Loop: Header=BB24_173 Depth=1
	global_atomic_cmpswap_x2 v[6:7], v0, v[2:5], s[22:23] glc
	s_andn2_b64 s[4:5], s[4:5], exec
	s_andn2_b64 s[6:7], s[6:7], exec
                                        ; implicit-def: $sgpr8_sgpr9
	s_waitcnt vmcnt(0)
	v_cmp_eq_u64_e64 s[0:1], v[6:7], v[4:5]
	v_cndmask_b32_e64 v5, v7, v5, s[0:1]
	v_cndmask_b32_e64 v4, v6, v4, s[0:1]
	s_and_b64 s[0:1], s[0:1], exec
	v_cmp_class_f64_e64 s[12:13], v[4:5], 32
	s_or_b64 s[4:5], s[4:5], s[0:1]
	s_and_b64 s[0:1], s[12:13], exec
	s_or_b64 s[6:7], s[6:7], s[0:1]
	v_pk_mov_b32 v[4:5], v[6:7], v[6:7] op_sel:[0,1]
	s_branch .LBB24_172
.LBB24_175:
	s_endpgm
	.section	.rodata,"a",@progbits
	.p2align	6, 0x0
	.amdhsa_kernel _ZN9rocsparseL6kernelILi1024ELi8EdiiEEvbbbT3_PS1_NS_15floating_traitsIT1_E6data_tES1_T2_PKS7_S9_PKS1_PKS4_21rocsparse_index_base_S9_S9_SB_PS4_SF_SE_S9_S9_SB_SF_SF_SE_SF_SF_PS6_SG_PKS6_
		.amdhsa_group_segment_fixed_size 1536
		.amdhsa_private_segment_fixed_size 0
		.amdhsa_kernarg_size 208
		.amdhsa_user_sgpr_count 6
		.amdhsa_user_sgpr_private_segment_buffer 1
		.amdhsa_user_sgpr_dispatch_ptr 0
		.amdhsa_user_sgpr_queue_ptr 0
		.amdhsa_user_sgpr_kernarg_segment_ptr 1
		.amdhsa_user_sgpr_dispatch_id 0
		.amdhsa_user_sgpr_flat_scratch_init 0
		.amdhsa_user_sgpr_kernarg_preload_length 0
		.amdhsa_user_sgpr_kernarg_preload_offset 0
		.amdhsa_user_sgpr_private_segment_size 0
		.amdhsa_uses_dynamic_stack 0
		.amdhsa_system_sgpr_private_segment_wavefront_offset 0
		.amdhsa_system_sgpr_workgroup_id_x 1
		.amdhsa_system_sgpr_workgroup_id_y 0
		.amdhsa_system_sgpr_workgroup_id_z 0
		.amdhsa_system_sgpr_workgroup_info 0
		.amdhsa_system_vgpr_workitem_id 0
		.amdhsa_next_free_vgpr 49
		.amdhsa_next_free_sgpr 96
		.amdhsa_accum_offset 52
		.amdhsa_reserve_vcc 1
		.amdhsa_reserve_flat_scratch 0
		.amdhsa_float_round_mode_32 0
		.amdhsa_float_round_mode_16_64 0
		.amdhsa_float_denorm_mode_32 3
		.amdhsa_float_denorm_mode_16_64 3
		.amdhsa_dx10_clamp 1
		.amdhsa_ieee_mode 1
		.amdhsa_fp16_overflow 0
		.amdhsa_tg_split 0
		.amdhsa_exception_fp_ieee_invalid_op 0
		.amdhsa_exception_fp_denorm_src 0
		.amdhsa_exception_fp_ieee_div_zero 0
		.amdhsa_exception_fp_ieee_overflow 0
		.amdhsa_exception_fp_ieee_underflow 0
		.amdhsa_exception_fp_ieee_inexact 0
		.amdhsa_exception_int_div_zero 0
	.end_amdhsa_kernel
	.section	.text._ZN9rocsparseL6kernelILi1024ELi8EdiiEEvbbbT3_PS1_NS_15floating_traitsIT1_E6data_tES1_T2_PKS7_S9_PKS1_PKS4_21rocsparse_index_base_S9_S9_SB_PS4_SF_SE_S9_S9_SB_SF_SF_SE_SF_SF_PS6_SG_PKS6_,"axG",@progbits,_ZN9rocsparseL6kernelILi1024ELi8EdiiEEvbbbT3_PS1_NS_15floating_traitsIT1_E6data_tES1_T2_PKS7_S9_PKS1_PKS4_21rocsparse_index_base_S9_S9_SB_PS4_SF_SE_S9_S9_SB_SF_SF_SE_SF_SF_PS6_SG_PKS6_,comdat
.Lfunc_end24:
	.size	_ZN9rocsparseL6kernelILi1024ELi8EdiiEEvbbbT3_PS1_NS_15floating_traitsIT1_E6data_tES1_T2_PKS7_S9_PKS1_PKS4_21rocsparse_index_base_S9_S9_SB_PS4_SF_SE_S9_S9_SB_SF_SF_SE_SF_SF_PS6_SG_PKS6_, .Lfunc_end24-_ZN9rocsparseL6kernelILi1024ELi8EdiiEEvbbbT3_PS1_NS_15floating_traitsIT1_E6data_tES1_T2_PKS7_S9_PKS1_PKS4_21rocsparse_index_base_S9_S9_SB_PS4_SF_SE_S9_S9_SB_SF_SF_SE_SF_SF_PS6_SG_PKS6_
                                        ; -- End function
	.section	.AMDGPU.csdata,"",@progbits
; Kernel info:
; codeLenInByte = 5952
; NumSgprs: 100
; NumVgprs: 49
; NumAgprs: 0
; TotalNumVgprs: 49
; ScratchSize: 0
; MemoryBound: 1
; FloatMode: 240
; IeeeMode: 1
; LDSByteSize: 1536 bytes/workgroup (compile time only)
; SGPRBlocks: 12
; VGPRBlocks: 6
; NumSGPRsForWavesPerEU: 100
; NumVGPRsForWavesPerEU: 49
; AccumOffset: 52
; Occupancy: 8
; WaveLimiterHint : 1
; COMPUTE_PGM_RSRC2:SCRATCH_EN: 0
; COMPUTE_PGM_RSRC2:USER_SGPR: 6
; COMPUTE_PGM_RSRC2:TRAP_HANDLER: 0
; COMPUTE_PGM_RSRC2:TGID_X_EN: 1
; COMPUTE_PGM_RSRC2:TGID_Y_EN: 0
; COMPUTE_PGM_RSRC2:TGID_Z_EN: 0
; COMPUTE_PGM_RSRC2:TIDIG_COMP_CNT: 0
; COMPUTE_PGM_RSRC3_GFX90A:ACCUM_OFFSET: 12
; COMPUTE_PGM_RSRC3_GFX90A:TG_SPLIT: 0
	.section	.text._ZN9rocsparseL6kernelILi1024ELi16EdiiEEvbbbT3_PS1_NS_15floating_traitsIT1_E6data_tES1_T2_PKS7_S9_PKS1_PKS4_21rocsparse_index_base_S9_S9_SB_PS4_SF_SE_S9_S9_SB_SF_SF_SE_SF_SF_PS6_SG_PKS6_,"axG",@progbits,_ZN9rocsparseL6kernelILi1024ELi16EdiiEEvbbbT3_PS1_NS_15floating_traitsIT1_E6data_tES1_T2_PKS7_S9_PKS1_PKS4_21rocsparse_index_base_S9_S9_SB_PS4_SF_SE_S9_S9_SB_SF_SF_SE_SF_SF_PS6_SG_PKS6_,comdat
	.globl	_ZN9rocsparseL6kernelILi1024ELi16EdiiEEvbbbT3_PS1_NS_15floating_traitsIT1_E6data_tES1_T2_PKS7_S9_PKS1_PKS4_21rocsparse_index_base_S9_S9_SB_PS4_SF_SE_S9_S9_SB_SF_SF_SE_SF_SF_PS6_SG_PKS6_ ; -- Begin function _ZN9rocsparseL6kernelILi1024ELi16EdiiEEvbbbT3_PS1_NS_15floating_traitsIT1_E6data_tES1_T2_PKS7_S9_PKS1_PKS4_21rocsparse_index_base_S9_S9_SB_PS4_SF_SE_S9_S9_SB_SF_SF_SE_SF_SF_PS6_SG_PKS6_
	.p2align	8
	.type	_ZN9rocsparseL6kernelILi1024ELi16EdiiEEvbbbT3_PS1_NS_15floating_traitsIT1_E6data_tES1_T2_PKS7_S9_PKS1_PKS4_21rocsparse_index_base_S9_S9_SB_PS4_SF_SE_S9_S9_SB_SF_SF_SE_SF_SF_PS6_SG_PKS6_,@function
_ZN9rocsparseL6kernelILi1024ELi16EdiiEEvbbbT3_PS1_NS_15floating_traitsIT1_E6data_tES1_T2_PKS7_S9_PKS1_PKS4_21rocsparse_index_base_S9_S9_SB_PS4_SF_SE_S9_S9_SB_SF_SF_SE_SF_SF_PS6_SG_PKS6_: ; @_ZN9rocsparseL6kernelILi1024ELi16EdiiEEvbbbT3_PS1_NS_15floating_traitsIT1_E6data_tES1_T2_PKS7_S9_PKS1_PKS4_21rocsparse_index_base_S9_S9_SB_PS4_SF_SE_S9_S9_SB_SF_SF_SE_SF_SF_PS6_SG_PKS6_
; %bb.0:
	s_load_dword s0, s[4:5], 0x0
	s_load_dwordx2 s[66:67], s[4:5], 0x0
	s_load_dwordx4 s[24:27], s[4:5], 0xb8
	s_load_dwordx4 s[8:11], s[4:5], 0x8
	s_load_dword s33, s[4:5], 0x18
	s_waitcnt lgkmcnt(0)
	s_bitcmp1_b32 s0, 0
	s_cselect_b64 s[64:65], -1, 0
	s_bitcmp1_b32 s0, 8
                                        ; implicit-def: $vgpr48 : SGPR spill to VGPR lane
	s_cselect_b64 s[34:35], -1, 0
	s_bitcmp1_b32 s66, 16
	v_writelane_b32 v48, s8, 0
	s_cselect_b64 s[22:23], -1, 0
	v_lshrrev_b32_e32 v1, 4, v0
	s_lshl_b32 s71, s6, 10
	v_writelane_b32 v48, s9, 1
	v_or_b32_e32 v31, s71, v1
	v_mov_b32_e32 v6, 0
	s_cmp_gt_i32 s67, 0
	v_pk_mov_b32 v[2:3], 0, 0
	v_writelane_b32 v48, s10, 2
	v_and_b32_e32 v30, 15, v0
	v_lshlrev_b32_e32 v32, 3, v0
	s_mov_b32 s54, 0
	v_mov_b32_e32 v7, v6
	v_cmp_gt_i32_e32 vcc, s33, v31
	s_cselect_b64 s[0:1], -1, 0
	v_pk_mov_b32 v[4:5], v[2:3], v[2:3] op_sel:[0,1]
	v_writelane_b32 v48, s11, 3
	ds_write_b64 v32, v[6:7]
	s_waitcnt lgkmcnt(0)
	s_barrier
	s_and_b64 s[0:1], s[0:1], vcc
	s_mov_b64 s[2:3], exec
	v_writelane_b32 v48, s2, 4
	s_and_b64 s[0:1], s[2:3], s[0:1]
	v_writelane_b32 v48, s3, 5
	s_mov_b64 exec, s[0:1]
	s_cbranch_execz .LBB25_140
; %bb.1:
	v_writelane_b32 v48, s24, 6
	s_load_dwordx2 s[0:1], s[4:5], 0xc8
	v_writelane_b32 v48, s25, 7
	v_writelane_b32 v48, s26, 8
	;; [unrolled: 1-line block ×3, first 2 shown]
	s_load_dwordx4 s[60:63], s[4:5], 0xa8
	s_load_dwordx8 s[24:31], s[4:5], 0x78
	s_load_dwordx8 s[36:43], s[4:5], 0x48
	;; [unrolled: 1-line block ×3, first 2 shown]
	s_load_dword s55, s[4:5], 0x40
	s_load_dwordx2 s[74:75], s[4:5], 0x68
	s_load_dword s66, s[4:5], 0x70
	s_load_dwordx2 s[76:77], s[4:5], 0x98
	s_load_dword s70, s[4:5], 0xa0
	s_waitcnt lgkmcnt(0)
	v_writelane_b32 v48, s0, 10
	v_writelane_b32 v48, s1, 11
	s_xor_b64 s[0:1], s[34:35], -1
	v_writelane_b32 v48, s0, 12
	s_and_b64 s[18:19], s[34:35], s[22:23]
	v_writelane_b32 v48, s1, 13
	s_addk_i32 s71, 0x400
	s_xor_b64 s[18:19], s[18:19], -1
	v_pk_mov_b32 v[4:5], 0, 0
	v_subrev_u32_e32 v33, s55, v30
	v_cmp_gt_u32_e64 s[0:1], s71, v31
	v_cmp_eq_u32_e64 s[2:3], 15, v30
	v_lshlrev_b32_e32 v34, 3, v1
	v_cmp_gt_u32_e64 s[4:5], 32, v0
	v_cmp_gt_u32_e64 s[6:7], 16, v0
	;; [unrolled: 1-line block ×5, first 2 shown]
	v_cmp_eq_u32_e64 s[14:15], 0, v0
	v_subrev_u32_e32 v35, s66, v30
	v_subrev_u32_e32 v36, s70, v30
	v_cmp_eq_u32_e64 s[16:17], 0, v30
	v_writelane_b32 v48, s18, 14
	s_mov_b64 s[78:79], 0
	s_movk_i32 s80, 0x1f8
	v_mov_b32_e32 v7, 0
	v_pk_mov_b32 v[2:3], v[4:5], v[4:5] op_sel:[0,1]
	v_writelane_b32 v48, s19, 15
	s_branch .LBB25_3
.LBB25_2:                               ;   in Loop: Header=BB25_3 Depth=1
	s_or_b64 exec, exec, s[52:53]
	s_and_b64 s[18:19], exec, s[20:21]
	s_or_b64 s[78:79], s[18:19], s[78:79]
	s_andn2_b64 exec, exec, s[78:79]
	s_cbranch_execz .LBB25_139
.LBB25_3:                               ; =>This Loop Header: Depth=1
                                        ;     Child Loop BB25_7 Depth 2
                                        ;       Child Loop BB25_12 Depth 3
                                        ;         Child Loop BB25_16 Depth 4
                                        ;         Child Loop BB25_37 Depth 4
	;; [unrolled: 1-line block ×5, first 2 shown]
                                        ;     Child Loop BB25_118 Depth 2
                                        ;       Child Loop BB25_121 Depth 3
                                        ;       Child Loop BB25_124 Depth 3
	s_mov_b32 s81, 0
	v_cndmask_b32_e64 v5, v5, 0, s[34:35]
	v_cndmask_b32_e64 v4, v4, 0, s[34:35]
	;; [unrolled: 1-line block ×4, first 2 shown]
	s_branch .LBB25_7
.LBB25_4:                               ;   in Loop: Header=BB25_7 Depth=2
	s_or_b64 exec, exec, s[86:87]
.LBB25_5:                               ;   in Loop: Header=BB25_7 Depth=2
	s_or_b64 exec, exec, s[84:85]
.LBB25_6:                               ;   in Loop: Header=BB25_7 Depth=2
	s_or_b64 exec, exec, s[82:83]
	s_add_i32 s81, s81, 1
	s_cmp_eq_u32 s81, 16
	s_cbranch_scc1 .LBB25_83
.LBB25_7:                               ;   Parent Loop BB25_3 Depth=1
                                        ; =>  This Loop Header: Depth=2
                                        ;       Child Loop BB25_12 Depth 3
                                        ;         Child Loop BB25_16 Depth 4
                                        ;         Child Loop BB25_37 Depth 4
                                        ;         Child Loop BB25_51 Depth 4
                                        ;         Child Loop BB25_70 Depth 4
                                        ;         Child Loop BB25_78 Depth 4
	v_lshl_add_u32 v8, s81, 6, v31
	v_cmp_gt_i32_e32 vcc, s33, v8
	s_and_saveexec_b64 s[82:83], vcc
	s_cbranch_execz .LBB25_6
; %bb.8:                                ;   in Loop: Header=BB25_7 Depth=2
	v_ashrrev_i32_e32 v9, 31, v8
	v_lshlrev_b64 v[12:13], 2, v[8:9]
	v_mov_b32_e32 v6, s45
	v_add_co_u32_e32 v10, vcc, s44, v12
	v_addc_co_u32_e32 v11, vcc, v6, v13, vcc
	global_load_dword v6, v[10:11], off
	v_mov_b32_e32 v9, s47
	v_add_co_u32_e32 v10, vcc, s46, v12
	v_addc_co_u32_e32 v11, vcc, v9, v13, vcc
	global_load_dword v9, v[10:11], off
	s_waitcnt vmcnt(1)
	v_add_u32_e32 v10, v33, v6
	s_waitcnt vmcnt(0)
	v_subrev_u32_e32 v9, s55, v9
	v_cmp_lt_i32_e32 vcc, v10, v9
	s_and_saveexec_b64 s[84:85], vcc
	s_cbranch_execz .LBB25_5
; %bb.9:                                ;   in Loop: Header=BB25_7 Depth=2
	v_mov_b32_e32 v6, s39
	v_add_co_u32_e32 v14, vcc, s38, v12
	v_addc_co_u32_e32 v15, vcc, v6, v13, vcc
	v_mov_b32_e32 v6, s37
	v_add_co_u32_e32 v12, vcc, s36, v12
	v_addc_co_u32_e32 v13, vcc, v6, v13, vcc
	global_load_dword v6, v[12:13], off
	global_load_dword v11, v[14:15], off
	v_mov_b32_e32 v18, s41
	v_mov_b32_e32 v19, s43
	s_mov_b64 s[86:87], 0
	s_waitcnt vmcnt(1)
	v_subrev_u32_e32 v12, s66, v6
	v_ashrrev_i32_e32 v13, 31, v12
	v_lshlrev_b64 v[14:15], 2, v[12:13]
	v_lshlrev_b64 v[16:17], 3, v[12:13]
	v_add_co_u32_e32 v13, vcc, s40, v14
	v_addc_co_u32_e32 v38, vcc, v18, v15, vcc
	s_waitcnt vmcnt(0)
	v_sub_u32_e32 v37, v11, v6
	v_add_co_u32_e32 v39, vcc, s42, v16
	v_cmp_lt_i32_e64 s[18:19], 0, v37
	v_addc_co_u32_e32 v40, vcc, v19, v17, vcc
	s_branch .LBB25_12
.LBB25_10:                              ;   in Loop: Header=BB25_12 Depth=3
	s_or_b64 exec, exec, s[52:53]
.LBB25_11:                              ;   in Loop: Header=BB25_12 Depth=3
	s_or_b64 exec, exec, s[20:21]
	v_add_u32_e32 v10, 16, v10
	v_cmp_ge_i32_e32 vcc, v10, v9
	s_or_b64 s[86:87], vcc, s[86:87]
	s_andn2_b64 exec, exec, s[86:87]
	s_cbranch_execz .LBB25_4
.LBB25_12:                              ;   Parent Loop BB25_3 Depth=1
                                        ;     Parent Loop BB25_7 Depth=2
                                        ; =>    This Loop Header: Depth=3
                                        ;         Child Loop BB25_16 Depth 4
                                        ;         Child Loop BB25_37 Depth 4
	;; [unrolled: 1-line block ×5, first 2 shown]
	v_ashrrev_i32_e32 v11, 31, v10
	v_lshlrev_b64 v[14:15], 2, v[10:11]
	v_mov_b32_e32 v6, s49
	v_add_co_u32_e32 v14, vcc, s48, v14
	v_addc_co_u32_e32 v15, vcc, v6, v15, vcc
	global_load_dword v6, v[14:15], off
	v_mov_b32_e32 v19, s25
	v_mov_b32_e32 v20, s27
	;; [unrolled: 1-line block ×3, first 2 shown]
	s_waitcnt vmcnt(0)
	v_subrev_u32_e32 v14, s55, v6
	v_ashrrev_i32_e32 v15, 31, v14
	v_lshlrev_b64 v[16:17], 2, v[14:15]
	v_add_co_u32_e32 v18, vcc, s24, v16
	v_addc_co_u32_e32 v19, vcc, v19, v17, vcc
	v_add_co_u32_e32 v16, vcc, s26, v16
	v_addc_co_u32_e32 v17, vcc, v20, v17, vcc
	global_load_dword v6, v[18:19], off
	s_nop 0
	global_load_dword v18, v[16:17], off
	v_pk_mov_b32 v[16:17], 0, 0
	s_waitcnt vmcnt(1)
	v_subrev_u32_e32 v20, s70, v6
	s_waitcnt vmcnt(0)
	v_sub_u32_e32 v41, v18, v6
	v_mov_b32_e32 v6, 0
	s_and_saveexec_b64 s[20:21], s[18:19]
	s_cbranch_execz .LBB25_20
; %bb.13:                               ;   in Loop: Header=BB25_12 Depth=3
	v_ashrrev_i32_e32 v21, 31, v20
	v_lshlrev_b64 v[16:17], 2, v[20:21]
	v_mov_b32_e32 v6, s29
	v_add_co_u32_e32 v18, vcc, s28, v16
	v_addc_co_u32_e32 v19, vcc, v6, v17, vcc
	v_lshlrev_b64 v[16:17], 3, v[20:21]
	v_mov_b32_e32 v6, s31
	v_add_co_u32_e32 v21, vcc, s30, v16
	v_addc_co_u32_e32 v24, vcc, v6, v17, vcc
	v_mov_b32_e32 v6, 0
	s_mov_b64 s[88:89], 0
	v_pk_mov_b32 v[16:17], 0, 0
	v_mov_b32_e32 v22, v6
                                        ; implicit-def: $sgpr90_sgpr91
	s_branch .LBB25_16
.LBB25_14:                              ;   in Loop: Header=BB25_16 Depth=4
	s_or_b64 exec, exec, s[56:57]
	v_cmp_le_i32_e32 vcc, v25, v26
	v_addc_co_u32_e32 v6, vcc, 0, v6, vcc
	v_cmp_ge_i32_e32 vcc, v25, v26
	v_addc_co_u32_e32 v22, vcc, 0, v22, vcc
	v_cmp_ge_i32_e32 vcc, v6, v37
	s_andn2_b64 s[52:53], s[90:91], exec
	s_and_b64 s[56:57], vcc, exec
	s_or_b64 s[90:91], s[52:53], s[56:57]
.LBB25_15:                              ;   in Loop: Header=BB25_16 Depth=4
	s_or_b64 exec, exec, s[68:69]
	s_and_b64 s[52:53], exec, s[90:91]
	s_or_b64 s[88:89], s[52:53], s[88:89]
	s_andn2_b64 exec, exec, s[88:89]
	s_cbranch_execz .LBB25_19
.LBB25_16:                              ;   Parent Loop BB25_3 Depth=1
                                        ;     Parent Loop BB25_7 Depth=2
                                        ;       Parent Loop BB25_12 Depth=3
                                        ; =>      This Inner Loop Header: Depth=4
	v_cmp_lt_i32_e32 vcc, v22, v41
	s_or_b64 s[90:91], s[90:91], exec
	s_and_saveexec_b64 s[68:69], vcc
	s_cbranch_execz .LBB25_15
; %bb.17:                               ;   in Loop: Header=BB25_16 Depth=4
	v_lshlrev_b64 v[26:27], 2, v[6:7]
	v_add_co_u32_e32 v26, vcc, v13, v26
	v_addc_co_u32_e32 v27, vcc, v38, v27, vcc
	v_mov_b32_e32 v23, v7
	global_load_dword v25, v[26:27], off
	v_lshlrev_b64 v[26:27], 2, v[22:23]
	v_add_co_u32_e32 v26, vcc, v18, v26
	v_addc_co_u32_e32 v27, vcc, v19, v27, vcc
	global_load_dword v26, v[26:27], off
	s_waitcnt vmcnt(1)
	v_subrev_u32_e32 v25, s66, v25
	s_waitcnt vmcnt(0)
	v_subrev_u32_e32 v26, s70, v26
	v_cmp_eq_u32_e32 vcc, v25, v26
	s_and_saveexec_b64 s[56:57], vcc
	s_cbranch_execz .LBB25_14
; %bb.18:                               ;   in Loop: Header=BB25_16 Depth=4
	v_lshlrev_b64 v[28:29], 3, v[6:7]
	v_add_co_u32_e32 v28, vcc, v39, v28
	v_addc_co_u32_e32 v29, vcc, v40, v29, vcc
	v_lshlrev_b64 v[42:43], 3, v[22:23]
	v_add_co_u32_e32 v42, vcc, v21, v42
	v_addc_co_u32_e32 v43, vcc, v24, v43, vcc
	global_load_dwordx2 v[28:29], v[28:29], off
	s_nop 0
	global_load_dwordx2 v[42:43], v[42:43], off
	s_waitcnt vmcnt(0)
	v_fmac_f64_e32 v[16:17], v[28:29], v[42:43]
	s_branch .LBB25_14
.LBB25_19:                              ;   in Loop: Header=BB25_12 Depth=3
	s_or_b64 exec, exec, s[88:89]
.LBB25_20:                              ;   in Loop: Header=BB25_12 Depth=3
	s_or_b64 exec, exec, s[20:21]
	v_lshlrev_b64 v[18:19], 3, v[10:11]
	v_mov_b32_e32 v11, s51
	v_add_co_u32_e32 v18, vcc, s50, v18
	v_addc_co_u32_e32 v19, vcc, v11, v19, vcc
	global_load_dwordx2 v[18:19], v[18:19], off
	v_cmp_le_i32_e64 s[20:21], v8, v14
	v_cmp_gt_i32_e32 vcc, v8, v14
	s_waitcnt vmcnt(0)
	v_add_f64 v[24:25], v[18:19], -v[16:17]
	s_and_saveexec_b64 s[56:57], vcc
	s_cbranch_execnz .LBB25_23
; %bb.21:                               ;   in Loop: Header=BB25_12 Depth=3
	s_or_b64 exec, exec, s[56:57]
	v_cmp_class_f64_e64 s[88:89], v[24:25], s80
	s_and_saveexec_b64 s[90:91], s[88:89]
	s_cbranch_execnz .LBB25_26
.LBB25_22:                              ;   in Loop: Header=BB25_12 Depth=3
	s_or_b64 exec, exec, s[90:91]
	s_and_b64 s[52:53], s[88:89], s[22:23]
	s_and_saveexec_b64 s[20:21], s[52:53]
	s_cbranch_execz .LBB25_11
	s_branch .LBB25_61
.LBB25_23:                              ;   in Loop: Header=BB25_12 Depth=3
	v_lshlrev_b64 v[26:27], 3, v[14:15]
	v_mov_b32_e32 v11, s61
	v_add_co_u32_e32 v26, vcc, s60, v26
	v_addc_co_u32_e32 v27, vcc, v11, v27, vcc
	global_load_dwordx2 v[26:27], v[26:27], off
	v_pk_mov_b32 v[28:29], 0, 0
	s_waitcnt vmcnt(0)
	v_cmp_lg_f64_e32 vcc, 0, v[26:27]
	s_and_saveexec_b64 s[58:59], vcc
; %bb.24:                               ;   in Loop: Header=BB25_12 Depth=3
	v_div_scale_f64 v[28:29], s[52:53], v[26:27], v[26:27], v[24:25]
	v_rcp_f64_e32 v[42:43], v[28:29]
	v_div_scale_f64 v[44:45], vcc, v[24:25], v[26:27], v[24:25]
	v_fma_f64 v[46:47], -v[28:29], v[42:43], 1.0
	v_fmac_f64_e32 v[42:43], v[42:43], v[46:47]
	v_fma_f64 v[46:47], -v[28:29], v[42:43], 1.0
	v_fmac_f64_e32 v[42:43], v[42:43], v[46:47]
	v_mul_f64 v[46:47], v[44:45], v[42:43]
	v_fma_f64 v[28:29], -v[28:29], v[46:47], v[44:45]
	v_div_fmas_f64 v[28:29], v[28:29], v[42:43], v[46:47]
	v_div_fixup_f64 v[28:29], v[28:29], v[26:27], v[24:25]
; %bb.25:                               ;   in Loop: Header=BB25_12 Depth=3
	s_or_b64 exec, exec, s[58:59]
	v_pk_mov_b32 v[24:25], v[28:29], v[28:29] op_sel:[0,1]
	s_or_b64 exec, exec, s[56:57]
	v_cmp_class_f64_e64 s[88:89], v[24:25], s80
	s_and_saveexec_b64 s[90:91], s[88:89]
	s_cbranch_execz .LBB25_22
.LBB25_26:                              ;   in Loop: Header=BB25_12 Depth=3
	s_and_saveexec_b64 s[52:53], s[20:21]
	s_xor_b64 s[20:21], exec, s[52:53]
	s_cbranch_execz .LBB25_47
; %bb.27:                               ;   in Loop: Header=BB25_12 Depth=3
	v_cmp_ge_i32_e32 vcc, v8, v14
	s_and_saveexec_b64 s[52:53], vcc
	s_xor_b64 s[56:57], exec, s[52:53]
	s_cbranch_execz .LBB25_33
; %bb.28:                               ;   in Loop: Header=BB25_12 Depth=3
	v_lshlrev_b64 v[26:27], 3, v[14:15]
	v_mov_b32_e32 v11, s63
	v_add_co_u32_e32 v28, vcc, s62, v26
	v_addc_co_u32_e32 v29, vcc, v11, v27, vcc
	s_andn2_b64 vcc, exec, s[34:35]
	global_store_dwordx2 v[28:29], v[24:25], off
	s_cbranch_vccnz .LBB25_32
; %bb.29:                               ;   in Loop: Header=BB25_12 Depth=3
	v_mov_b32_e32 v11, s61
	v_add_co_u32_e32 v26, vcc, s60, v26
	v_addc_co_u32_e32 v27, vcc, v11, v27, vcc
	global_load_dwordx2 v[26:27], v[26:27], off
	s_waitcnt vmcnt(0)
	v_add_f64 v[24:25], v[26:27], -v[24:25]
	v_cmp_class_f64_e64 s[58:59], v[24:25], s80
	s_and_saveexec_b64 s[52:53], s[58:59]
; %bb.30:                               ;   in Loop: Header=BB25_12 Depth=3
	v_and_b32_e32 v11, 0x7fffffff, v25
	v_cmp_lt_f64_e64 vcc, v[4:5], |v[24:25]|
	v_cndmask_b32_e32 v5, v5, v11, vcc
	v_cndmask_b32_e32 v4, v4, v24, vcc
; %bb.31:                               ;   in Loop: Header=BB25_12 Depth=3
	s_or_b64 exec, exec, s[52:53]
.LBB25_32:                              ;   in Loop: Header=BB25_12 Depth=3
                                        ; implicit-def: $vgpr24_vgpr25
.LBB25_33:                              ;   in Loop: Header=BB25_12 Depth=3
	s_andn2_saveexec_b64 s[92:93], s[56:57]
	s_cbranch_execz .LBB25_46
; %bb.34:                               ;   in Loop: Header=BB25_12 Depth=3
	v_cmp_lt_i32_e32 vcc, v22, v41
	s_and_saveexec_b64 s[94:95], vcc
	s_cbranch_execz .LBB25_45
; %bb.35:                               ;   in Loop: Header=BB25_12 Depth=3
	s_mov_b64 s[68:69], 0
	v_mov_b32_e32 v11, v22
                                        ; implicit-def: $sgpr72_sgpr73
                                        ; implicit-def: $sgpr58_sgpr59
                                        ; implicit-def: $sgpr56_sgpr57
	s_branch .LBB25_37
.LBB25_36:                              ;   in Loop: Header=BB25_37 Depth=4
	s_or_b64 exec, exec, s[52:53]
	s_and_b64 s[52:53], exec, s[58:59]
	s_or_b64 s[68:69], s[52:53], s[68:69]
	s_andn2_b64 s[52:53], s[72:73], exec
	s_and_b64 s[72:73], s[56:57], exec
	s_or_b64 s[72:73], s[52:53], s[72:73]
	s_andn2_b64 exec, exec, s[68:69]
	s_cbranch_execz .LBB25_39
.LBB25_37:                              ;   Parent Loop BB25_3 Depth=1
                                        ;     Parent Loop BB25_7 Depth=2
                                        ;       Parent Loop BB25_12 Depth=3
                                        ; =>      This Inner Loop Header: Depth=4
	v_add_u32_e32 v26, v20, v11
	v_ashrrev_i32_e32 v27, 31, v26
	v_lshlrev_b64 v[28:29], 2, v[26:27]
	v_mov_b32_e32 v21, s29
	v_add_co_u32_e32 v28, vcc, s28, v28
	v_addc_co_u32_e32 v29, vcc, v21, v29, vcc
	global_load_dword v21, v[28:29], off
	s_or_b64 s[56:57], s[56:57], exec
	s_or_b64 s[58:59], s[58:59], exec
	s_waitcnt vmcnt(0)
	v_subrev_u32_e32 v21, s70, v21
	v_cmp_ne_u32_e32 vcc, v21, v8
	s_and_saveexec_b64 s[52:53], vcc
	s_cbranch_execz .LBB25_36
; %bb.38:                               ;   in Loop: Header=BB25_37 Depth=4
	v_add_u32_e32 v11, 1, v11
	v_cmp_ge_i32_e32 vcc, v11, v41
	s_andn2_b64 s[58:59], s[58:59], exec
	s_and_b64 vcc, vcc, exec
	s_andn2_b64 s[56:57], s[56:57], exec
	s_or_b64 s[58:59], s[58:59], vcc
	s_branch .LBB25_36
.LBB25_39:                              ;   in Loop: Header=BB25_12 Depth=3
	s_or_b64 exec, exec, s[68:69]
	s_and_saveexec_b64 s[52:53], s[72:73]
	s_xor_b64 s[56:57], exec, s[52:53]
	s_cbranch_execz .LBB25_44
; %bb.40:                               ;   in Loop: Header=BB25_12 Depth=3
	v_lshlrev_b64 v[26:27], 3, v[26:27]
	v_mov_b32_e32 v11, s77
	v_add_co_u32_e32 v28, vcc, s76, v26
	v_addc_co_u32_e32 v29, vcc, v11, v27, vcc
	s_andn2_b64 vcc, exec, s[34:35]
	global_store_dwordx2 v[28:29], v[24:25], off
	s_cbranch_vccnz .LBB25_44
; %bb.41:                               ;   in Loop: Header=BB25_12 Depth=3
	v_mov_b32_e32 v11, s31
	v_add_co_u32_e32 v26, vcc, s30, v26
	v_addc_co_u32_e32 v27, vcc, v11, v27, vcc
	global_load_dwordx2 v[26:27], v[26:27], off
	s_waitcnt vmcnt(0)
	v_add_f64 v[24:25], v[26:27], -v[24:25]
	v_cmp_class_f64_e64 s[58:59], v[24:25], s80
	s_and_saveexec_b64 s[52:53], s[58:59]
; %bb.42:                               ;   in Loop: Header=BB25_12 Depth=3
	v_and_b32_e32 v11, 0x7fffffff, v25
	v_cmp_lt_f64_e64 vcc, v[4:5], |v[24:25]|
	v_cndmask_b32_e32 v5, v5, v11, vcc
	v_cndmask_b32_e32 v4, v4, v24, vcc
; %bb.43:                               ;   in Loop: Header=BB25_12 Depth=3
	s_or_b64 exec, exec, s[52:53]
.LBB25_44:                              ;   in Loop: Header=BB25_12 Depth=3
	s_or_b64 exec, exec, s[56:57]
.LBB25_45:                              ;   in Loop: Header=BB25_12 Depth=3
	s_or_b64 exec, exec, s[94:95]
.LBB25_46:                              ;   in Loop: Header=BB25_12 Depth=3
	s_or_b64 exec, exec, s[92:93]
                                        ; implicit-def: $vgpr24_vgpr25
.LBB25_47:                              ;   in Loop: Header=BB25_12 Depth=3
	s_andn2_saveexec_b64 s[20:21], s[20:21]
	s_cbranch_execz .LBB25_60
; %bb.48:                               ;   in Loop: Header=BB25_12 Depth=3
	v_cmp_lt_i32_e32 vcc, v6, v37
	s_and_saveexec_b64 s[92:93], vcc
	s_cbranch_execz .LBB25_59
; %bb.49:                               ;   in Loop: Header=BB25_12 Depth=3
	s_mov_b64 s[94:95], 0
	v_mov_b32_e32 v11, v6
                                        ; implicit-def: $sgpr68_sgpr69
                                        ; implicit-def: $sgpr58_sgpr59
                                        ; implicit-def: $sgpr56_sgpr57
	s_branch .LBB25_51
.LBB25_50:                              ;   in Loop: Header=BB25_51 Depth=4
	s_or_b64 exec, exec, s[72:73]
	s_and_b64 s[52:53], exec, s[58:59]
	s_or_b64 s[94:95], s[52:53], s[94:95]
	s_andn2_b64 s[52:53], s[68:69], exec
	s_and_b64 s[68:69], s[56:57], exec
	s_or_b64 s[68:69], s[52:53], s[68:69]
	s_andn2_b64 exec, exec, s[94:95]
	s_cbranch_execz .LBB25_53
.LBB25_51:                              ;   Parent Loop BB25_3 Depth=1
                                        ;     Parent Loop BB25_7 Depth=2
                                        ;       Parent Loop BB25_12 Depth=3
                                        ; =>      This Inner Loop Header: Depth=4
	v_add_u32_e32 v26, v12, v11
	v_ashrrev_i32_e32 v27, 31, v26
	v_lshlrev_b64 v[28:29], 2, v[26:27]
	v_mov_b32_e32 v21, s41
	v_add_co_u32_e32 v28, vcc, s40, v28
	v_addc_co_u32_e32 v29, vcc, v21, v29, vcc
	global_load_dword v21, v[28:29], off
	s_or_b64 s[56:57], s[56:57], exec
	s_or_b64 s[58:59], s[58:59], exec
	s_waitcnt vmcnt(0)
	v_subrev_u32_e32 v21, s66, v21
	v_cmp_ne_u32_e32 vcc, v21, v14
	s_and_saveexec_b64 s[72:73], vcc
	s_cbranch_execz .LBB25_50
; %bb.52:                               ;   in Loop: Header=BB25_51 Depth=4
	v_add_u32_e32 v11, 1, v11
	v_cmp_ge_i32_e32 vcc, v11, v37
	s_andn2_b64 s[52:53], s[58:59], exec
	s_and_b64 s[58:59], vcc, exec
	s_andn2_b64 s[56:57], s[56:57], exec
	s_or_b64 s[58:59], s[52:53], s[58:59]
	s_branch .LBB25_50
.LBB25_53:                              ;   in Loop: Header=BB25_12 Depth=3
	s_or_b64 exec, exec, s[94:95]
	s_and_saveexec_b64 s[52:53], s[68:69]
	s_xor_b64 s[56:57], exec, s[52:53]
	s_cbranch_execz .LBB25_58
; %bb.54:                               ;   in Loop: Header=BB25_12 Depth=3
	v_lshlrev_b64 v[26:27], 3, v[26:27]
	v_mov_b32_e32 v11, s75
	v_add_co_u32_e32 v28, vcc, s74, v26
	v_addc_co_u32_e32 v29, vcc, v11, v27, vcc
	s_andn2_b64 vcc, exec, s[34:35]
	global_store_dwordx2 v[28:29], v[24:25], off
	s_cbranch_vccnz .LBB25_58
; %bb.55:                               ;   in Loop: Header=BB25_12 Depth=3
	v_mov_b32_e32 v11, s43
	v_add_co_u32_e32 v26, vcc, s42, v26
	v_addc_co_u32_e32 v27, vcc, v11, v27, vcc
	global_load_dwordx2 v[26:27], v[26:27], off
	s_waitcnt vmcnt(0)
	v_add_f64 v[24:25], v[26:27], -v[24:25]
	v_cmp_class_f64_e64 s[58:59], v[24:25], s80
	s_and_saveexec_b64 s[52:53], s[58:59]
; %bb.56:                               ;   in Loop: Header=BB25_12 Depth=3
	v_and_b32_e32 v11, 0x7fffffff, v25
	v_cmp_lt_f64_e64 vcc, v[4:5], |v[24:25]|
	v_cndmask_b32_e32 v5, v5, v11, vcc
	v_cndmask_b32_e32 v4, v4, v24, vcc
; %bb.57:                               ;   in Loop: Header=BB25_12 Depth=3
	s_or_b64 exec, exec, s[52:53]
.LBB25_58:                              ;   in Loop: Header=BB25_12 Depth=3
	s_or_b64 exec, exec, s[56:57]
.LBB25_59:                              ;   in Loop: Header=BB25_12 Depth=3
	s_or_b64 exec, exec, s[92:93]
.LBB25_60:                              ;   in Loop: Header=BB25_12 Depth=3
	s_or_b64 exec, exec, s[20:21]
	s_or_b64 exec, exec, s[90:91]
	s_and_b64 s[52:53], s[88:89], s[22:23]
	s_and_saveexec_b64 s[20:21], s[52:53]
	s_cbranch_execz .LBB25_11
.LBB25_61:                              ;   in Loop: Header=BB25_12 Depth=3
	v_cmp_ge_i32_e32 vcc, v22, v41
	s_and_saveexec_b64 s[52:53], vcc
	s_xor_b64 s[88:89], exec, s[52:53]
	s_cbranch_execnz .LBB25_67
; %bb.62:                               ;   in Loop: Header=BB25_12 Depth=3
	s_andn2_saveexec_b64 s[88:89], s[88:89]
	s_cbranch_execnz .LBB25_76
.LBB25_63:                              ;   in Loop: Header=BB25_12 Depth=3
	s_or_b64 exec, exec, s[88:89]
	v_cmp_eq_u32_e32 vcc, v8, v14
	s_and_saveexec_b64 s[52:53], vcc
	s_cbranch_execz .LBB25_65
.LBB25_64:                              ;   in Loop: Header=BB25_12 Depth=3
	v_lshlrev_b64 v[14:15], 3, v[14:15]
	v_mov_b32_e32 v6, s61
	v_add_co_u32_e32 v14, vcc, s60, v14
	v_addc_co_u32_e32 v15, vcc, v6, v15, vcc
	global_load_dwordx2 v[14:15], v[14:15], off
	s_waitcnt vmcnt(0)
	v_add_f64 v[16:17], v[16:17], v[14:15]
.LBB25_65:                              ;   in Loop: Header=BB25_12 Depth=3
	s_or_b64 exec, exec, s[52:53]
	v_add_f64 v[14:15], v[18:19], -v[16:17]
	v_cmp_class_f64_e64 s[56:57], v[14:15], s80
	s_and_saveexec_b64 s[52:53], s[56:57]
	s_cbranch_execz .LBB25_10
; %bb.66:                               ;   in Loop: Header=BB25_12 Depth=3
	v_and_b32_e32 v6, 0x7fffffff, v15
	v_cmp_lt_f64_e64 vcc, v[2:3], |v[14:15]|
	v_cndmask_b32_e32 v3, v3, v6, vcc
	v_cndmask_b32_e32 v2, v2, v14, vcc
	s_branch .LBB25_10
.LBB25_67:                              ;   in Loop: Header=BB25_12 Depth=3
	v_cmp_lt_i32_e32 vcc, v6, v37
	s_and_saveexec_b64 s[90:91], vcc
	s_cbranch_execz .LBB25_75
; %bb.68:                               ;   in Loop: Header=BB25_12 Depth=3
	s_mov_b64 s[68:69], 0
                                        ; implicit-def: $sgpr72_sgpr73
                                        ; implicit-def: $sgpr58_sgpr59
                                        ; implicit-def: $sgpr56_sgpr57
	s_branch .LBB25_70
.LBB25_69:                              ;   in Loop: Header=BB25_70 Depth=4
	s_or_b64 exec, exec, s[52:53]
	s_and_b64 s[52:53], exec, s[58:59]
	s_or_b64 s[68:69], s[52:53], s[68:69]
	s_andn2_b64 s[52:53], s[72:73], exec
	s_and_b64 s[72:73], s[56:57], exec
	s_or_b64 s[72:73], s[52:53], s[72:73]
	s_andn2_b64 exec, exec, s[68:69]
	s_cbranch_execz .LBB25_72
.LBB25_70:                              ;   Parent Loop BB25_3 Depth=1
                                        ;     Parent Loop BB25_7 Depth=2
                                        ;       Parent Loop BB25_12 Depth=3
                                        ; =>      This Inner Loop Header: Depth=4
	v_add_u32_e32 v20, v12, v6
	v_ashrrev_i32_e32 v21, 31, v20
	v_lshlrev_b64 v[22:23], 2, v[20:21]
	v_mov_b32_e32 v11, s41
	v_add_co_u32_e32 v22, vcc, s40, v22
	v_addc_co_u32_e32 v23, vcc, v11, v23, vcc
	global_load_dword v11, v[22:23], off
	s_or_b64 s[56:57], s[56:57], exec
	s_or_b64 s[58:59], s[58:59], exec
	s_waitcnt vmcnt(0)
	v_subrev_u32_e32 v11, s66, v11
	v_cmp_ne_u32_e32 vcc, v11, v14
	s_and_saveexec_b64 s[52:53], vcc
	s_cbranch_execz .LBB25_69
; %bb.71:                               ;   in Loop: Header=BB25_70 Depth=4
	v_add_u32_e32 v6, 1, v6
	v_cmp_ge_i32_e32 vcc, v6, v37
	s_andn2_b64 s[58:59], s[58:59], exec
	s_and_b64 s[92:93], vcc, exec
	s_andn2_b64 s[56:57], s[56:57], exec
	s_or_b64 s[58:59], s[58:59], s[92:93]
	s_branch .LBB25_69
.LBB25_72:                              ;   in Loop: Header=BB25_12 Depth=3
	s_or_b64 exec, exec, s[68:69]
	s_and_saveexec_b64 s[52:53], s[72:73]
	s_xor_b64 s[56:57], exec, s[52:53]
	s_cbranch_execz .LBB25_74
; %bb.73:                               ;   in Loop: Header=BB25_12 Depth=3
	v_lshlrev_b64 v[20:21], 3, v[20:21]
	v_mov_b32_e32 v6, s43
	v_add_co_u32_e32 v20, vcc, s42, v20
	v_addc_co_u32_e32 v21, vcc, v6, v21, vcc
	v_lshlrev_b64 v[22:23], 3, v[14:15]
	v_mov_b32_e32 v6, s61
	v_add_co_u32_e32 v22, vcc, s60, v22
	v_addc_co_u32_e32 v23, vcc, v6, v23, vcc
	global_load_dwordx2 v[20:21], v[20:21], off
	s_nop 0
	global_load_dwordx2 v[22:23], v[22:23], off
	s_waitcnt vmcnt(0)
	v_fmac_f64_e32 v[16:17], v[20:21], v[22:23]
.LBB25_74:                              ;   in Loop: Header=BB25_12 Depth=3
	s_or_b64 exec, exec, s[56:57]
.LBB25_75:                              ;   in Loop: Header=BB25_12 Depth=3
	s_or_b64 exec, exec, s[90:91]
                                        ; implicit-def: $vgpr22
                                        ; implicit-def: $vgpr20
                                        ; implicit-def: $vgpr41
	s_andn2_saveexec_b64 s[88:89], s[88:89]
	s_cbranch_execz .LBB25_63
.LBB25_76:                              ;   in Loop: Header=BB25_12 Depth=3
	s_mov_b64 s[68:69], 0
                                        ; implicit-def: $sgpr72_sgpr73
                                        ; implicit-def: $sgpr58_sgpr59
                                        ; implicit-def: $sgpr56_sgpr57
	s_branch .LBB25_78
.LBB25_77:                              ;   in Loop: Header=BB25_78 Depth=4
	s_or_b64 exec, exec, s[52:53]
	s_and_b64 s[52:53], exec, s[58:59]
	s_or_b64 s[68:69], s[52:53], s[68:69]
	s_andn2_b64 s[52:53], s[72:73], exec
	s_and_b64 s[72:73], s[56:57], exec
	s_or_b64 s[72:73], s[52:53], s[72:73]
	s_andn2_b64 exec, exec, s[68:69]
	s_cbranch_execz .LBB25_80
.LBB25_78:                              ;   Parent Loop BB25_3 Depth=1
                                        ;     Parent Loop BB25_7 Depth=2
                                        ;       Parent Loop BB25_12 Depth=3
                                        ; =>      This Inner Loop Header: Depth=4
	v_add_u32_e32 v24, v20, v22
	v_ashrrev_i32_e32 v25, 31, v24
	v_lshlrev_b64 v[26:27], 2, v[24:25]
	v_mov_b32_e32 v6, s29
	v_add_co_u32_e32 v26, vcc, s28, v26
	v_addc_co_u32_e32 v27, vcc, v6, v27, vcc
	global_load_dword v6, v[26:27], off
	s_or_b64 s[56:57], s[56:57], exec
	s_or_b64 s[58:59], s[58:59], exec
	s_waitcnt vmcnt(0)
	v_subrev_u32_e32 v6, s70, v6
	v_cmp_ne_u32_e32 vcc, v6, v8
	s_and_saveexec_b64 s[52:53], vcc
	s_cbranch_execz .LBB25_77
; %bb.79:                               ;   in Loop: Header=BB25_78 Depth=4
	v_add_u32_e32 v22, 1, v22
	v_cmp_ge_i32_e32 vcc, v22, v41
	s_andn2_b64 s[58:59], s[58:59], exec
	s_and_b64 s[90:91], vcc, exec
	s_andn2_b64 s[56:57], s[56:57], exec
	s_or_b64 s[58:59], s[58:59], s[90:91]
	s_branch .LBB25_77
.LBB25_80:                              ;   in Loop: Header=BB25_12 Depth=3
	s_or_b64 exec, exec, s[68:69]
	s_and_saveexec_b64 s[52:53], s[72:73]
	s_xor_b64 s[52:53], exec, s[52:53]
	s_cbranch_execz .LBB25_82
; %bb.81:                               ;   in Loop: Header=BB25_12 Depth=3
	v_lshlrev_b64 v[20:21], 3, v[24:25]
	v_mov_b32_e32 v6, s31
	v_add_co_u32_e32 v20, vcc, s30, v20
	v_addc_co_u32_e32 v21, vcc, v6, v21, vcc
	global_load_dwordx2 v[20:21], v[20:21], off
	s_waitcnt vmcnt(0)
	v_add_f64 v[16:17], v[16:17], v[20:21]
.LBB25_82:                              ;   in Loop: Header=BB25_12 Depth=3
	s_or_b64 exec, exec, s[52:53]
	s_or_b64 exec, exec, s[88:89]
	v_cmp_eq_u32_e32 vcc, v8, v14
	s_and_saveexec_b64 s[52:53], vcc
	s_cbranch_execnz .LBB25_64
	s_branch .LBB25_65
.LBB25_83:                              ;   in Loop: Header=BB25_3 Depth=1
	s_and_b64 vcc, exec, s[34:35]
	s_cbranch_vccnz .LBB25_86
; %bb.84:                               ;   in Loop: Header=BB25_3 Depth=1
	s_andn2_b64 vcc, exec, s[22:23]
	s_cbranch_vccz .LBB25_101
.LBB25_85:                              ;   in Loop: Header=BB25_3 Depth=1
	s_and_saveexec_b64 s[18:19], s[0:1]
	s_cbranch_execnz .LBB25_116
	s_branch .LBB25_127
.LBB25_86:                              ;   in Loop: Header=BB25_3 Depth=1
	v_mov_b32_dpp v8, v4 row_shr:1 row_mask:0xf bank_mask:0xf
	v_mov_b32_dpp v9, v5 row_shr:1 row_mask:0xf bank_mask:0xf
	v_cmp_lt_f64_e32 vcc, v[4:5], v[8:9]
	v_cndmask_b32_e32 v5, v5, v9, vcc
	v_cndmask_b32_e32 v4, v4, v8, vcc
	s_nop 0
	v_mov_b32_dpp v9, v5 row_shr:2 row_mask:0xf bank_mask:0xf
	v_mov_b32_dpp v8, v4 row_shr:2 row_mask:0xf bank_mask:0xf
	v_cmp_lt_f64_e32 vcc, v[4:5], v[8:9]
	v_cndmask_b32_e32 v5, v5, v9, vcc
	v_cndmask_b32_e32 v4, v4, v8, vcc
	s_nop 0
	;; [unrolled: 6-line block ×3, first 2 shown]
	v_mov_b32_dpp v9, v5 row_shr:8 row_mask:0xf bank_mask:0xc
	v_mov_b32_dpp v8, v4 row_shr:8 row_mask:0xf bank_mask:0xc
	s_and_saveexec_b64 s[18:19], s[2:3]
	s_cbranch_execz .LBB25_88
; %bb.87:                               ;   in Loop: Header=BB25_3 Depth=1
	v_cmp_lt_f64_e32 vcc, v[4:5], v[8:9]
	v_cndmask_b32_e32 v5, v5, v9, vcc
	v_cndmask_b32_e32 v4, v4, v8, vcc
	ds_write_b64 v34, v[4:5]
.LBB25_88:                              ;   in Loop: Header=BB25_3 Depth=1
	s_or_b64 exec, exec, s[18:19]
	s_waitcnt lgkmcnt(0)
	s_barrier
	s_and_saveexec_b64 s[18:19], s[4:5]
	s_cbranch_execz .LBB25_90
; %bb.89:                               ;   in Loop: Header=BB25_3 Depth=1
	ds_read2_b64 v[8:11], v32 offset1:32
	s_waitcnt lgkmcnt(0)
	v_cmp_lt_f64_e32 vcc, v[8:9], v[10:11]
	v_cndmask_b32_e32 v5, v9, v11, vcc
	v_cndmask_b32_e32 v4, v8, v10, vcc
	ds_write_b64 v32, v[4:5]
.LBB25_90:                              ;   in Loop: Header=BB25_3 Depth=1
	s_or_b64 exec, exec, s[18:19]
	s_waitcnt lgkmcnt(0)
	s_barrier
	s_and_saveexec_b64 s[18:19], s[6:7]
	s_cbranch_execz .LBB25_92
; %bb.91:                               ;   in Loop: Header=BB25_3 Depth=1
	ds_read2_b64 v[8:11], v32 offset1:16
	s_waitcnt lgkmcnt(0)
	v_cmp_lt_f64_e32 vcc, v[8:9], v[10:11]
	v_cndmask_b32_e32 v5, v9, v11, vcc
	v_cndmask_b32_e32 v4, v8, v10, vcc
	ds_write_b64 v32, v[4:5]
.LBB25_92:                              ;   in Loop: Header=BB25_3 Depth=1
	;; [unrolled: 13-line block ×5, first 2 shown]
	s_or_b64 exec, exec, s[18:19]
	s_waitcnt lgkmcnt(0)
	s_barrier
	s_and_saveexec_b64 s[18:19], s[14:15]
	s_cbranch_execz .LBB25_100
; %bb.99:                               ;   in Loop: Header=BB25_3 Depth=1
	ds_read_b128 v[8:11], v7
	s_waitcnt lgkmcnt(0)
	v_cmp_lt_f64_e32 vcc, v[8:9], v[10:11]
	v_cndmask_b32_e32 v5, v9, v11, vcc
	v_cndmask_b32_e32 v4, v8, v10, vcc
	ds_write_b64 v7, v[4:5]
.LBB25_100:                             ;   in Loop: Header=BB25_3 Depth=1
	s_or_b64 exec, exec, s[18:19]
	v_readlane_b32 s18, v48, 10
	v_readlane_b32 s19, v48, 11
	s_waitcnt lgkmcnt(0)
	s_barrier
	ds_read_b64 v[4:5], v7
	s_load_dwordx2 s[18:19], s[18:19], 0x0
	s_waitcnt lgkmcnt(0)
	v_div_scale_f64 v[8:9], s[20:21], s[18:19], s[18:19], v[4:5]
	v_rcp_f64_e32 v[10:11], v[8:9]
	v_div_scale_f64 v[12:13], vcc, v[4:5], s[18:19], v[4:5]
	v_fma_f64 v[14:15], -v[8:9], v[10:11], 1.0
	v_fmac_f64_e32 v[10:11], v[10:11], v[14:15]
	v_fma_f64 v[14:15], -v[8:9], v[10:11], 1.0
	v_fmac_f64_e32 v[10:11], v[10:11], v[14:15]
	v_mul_f64 v[14:15], v[12:13], v[10:11]
	v_fma_f64 v[8:9], -v[8:9], v[14:15], v[12:13]
	v_div_fmas_f64 v[8:9], v[8:9], v[10:11], v[14:15]
	v_div_fixup_f64 v[4:5], v[8:9], s[18:19], v[4:5]
	s_andn2_b64 vcc, exec, s[22:23]
	s_cbranch_vccnz .LBB25_85
.LBB25_101:                             ;   in Loop: Header=BB25_3 Depth=1
	v_mov_b32_dpp v8, v2 row_shr:1 row_mask:0xf bank_mask:0xf
	v_mov_b32_dpp v9, v3 row_shr:1 row_mask:0xf bank_mask:0xf
	v_cmp_lt_f64_e32 vcc, v[2:3], v[8:9]
	v_cndmask_b32_e32 v3, v3, v9, vcc
	v_cndmask_b32_e32 v2, v2, v8, vcc
	s_nop 0
	v_mov_b32_dpp v9, v3 row_shr:2 row_mask:0xf bank_mask:0xf
	v_mov_b32_dpp v8, v2 row_shr:2 row_mask:0xf bank_mask:0xf
	v_cmp_lt_f64_e32 vcc, v[2:3], v[8:9]
	v_cndmask_b32_e32 v3, v3, v9, vcc
	v_cndmask_b32_e32 v2, v2, v8, vcc
	s_nop 0
	;; [unrolled: 6-line block ×3, first 2 shown]
	v_mov_b32_dpp v9, v3 row_shr:8 row_mask:0xf bank_mask:0xc
	v_mov_b32_dpp v8, v2 row_shr:8 row_mask:0xf bank_mask:0xc
	s_and_saveexec_b64 s[18:19], s[2:3]
	s_cbranch_execz .LBB25_103
; %bb.102:                              ;   in Loop: Header=BB25_3 Depth=1
	v_cmp_lt_f64_e32 vcc, v[2:3], v[8:9]
	v_cndmask_b32_e32 v3, v3, v9, vcc
	v_cndmask_b32_e32 v2, v2, v8, vcc
	ds_write_b64 v34, v[2:3]
.LBB25_103:                             ;   in Loop: Header=BB25_3 Depth=1
	s_or_b64 exec, exec, s[18:19]
	s_waitcnt lgkmcnt(0)
	s_barrier
	s_and_saveexec_b64 s[18:19], s[4:5]
	s_cbranch_execz .LBB25_105
; %bb.104:                              ;   in Loop: Header=BB25_3 Depth=1
	ds_read2_b64 v[8:11], v32 offset1:32
	s_waitcnt lgkmcnt(0)
	v_cmp_lt_f64_e32 vcc, v[8:9], v[10:11]
	v_cndmask_b32_e32 v3, v9, v11, vcc
	v_cndmask_b32_e32 v2, v8, v10, vcc
	ds_write_b64 v32, v[2:3]
.LBB25_105:                             ;   in Loop: Header=BB25_3 Depth=1
	s_or_b64 exec, exec, s[18:19]
	s_waitcnt lgkmcnt(0)
	s_barrier
	s_and_saveexec_b64 s[18:19], s[6:7]
	s_cbranch_execz .LBB25_107
; %bb.106:                              ;   in Loop: Header=BB25_3 Depth=1
	ds_read2_b64 v[8:11], v32 offset1:16
	s_waitcnt lgkmcnt(0)
	v_cmp_lt_f64_e32 vcc, v[8:9], v[10:11]
	v_cndmask_b32_e32 v3, v9, v11, vcc
	v_cndmask_b32_e32 v2, v8, v10, vcc
	ds_write_b64 v32, v[2:3]
.LBB25_107:                             ;   in Loop: Header=BB25_3 Depth=1
	;; [unrolled: 13-line block ×5, first 2 shown]
	s_or_b64 exec, exec, s[18:19]
	s_waitcnt lgkmcnt(0)
	s_barrier
	s_and_saveexec_b64 s[18:19], s[14:15]
	s_cbranch_execz .LBB25_115
; %bb.114:                              ;   in Loop: Header=BB25_3 Depth=1
	ds_read_b128 v[8:11], v7
	s_waitcnt lgkmcnt(0)
	v_cmp_lt_f64_e32 vcc, v[8:9], v[10:11]
	v_cndmask_b32_e32 v3, v9, v11, vcc
	v_cndmask_b32_e32 v2, v8, v10, vcc
	ds_write_b64 v7, v[2:3]
.LBB25_115:                             ;   in Loop: Header=BB25_3 Depth=1
	s_or_b64 exec, exec, s[18:19]
	v_readlane_b32 s18, v48, 10
	v_readlane_b32 s19, v48, 11
	s_waitcnt lgkmcnt(0)
	s_barrier
	ds_read_b64 v[2:3], v7
	s_load_dwordx2 s[18:19], s[18:19], 0x0
	s_waitcnt lgkmcnt(0)
	v_div_scale_f64 v[8:9], s[20:21], s[18:19], s[18:19], v[2:3]
	v_rcp_f64_e32 v[10:11], v[8:9]
	v_div_scale_f64 v[12:13], vcc, v[2:3], s[18:19], v[2:3]
	v_fma_f64 v[14:15], -v[8:9], v[10:11], 1.0
	v_fmac_f64_e32 v[10:11], v[10:11], v[14:15]
	v_fma_f64 v[14:15], -v[8:9], v[10:11], 1.0
	v_fmac_f64_e32 v[10:11], v[10:11], v[14:15]
	v_mul_f64 v[14:15], v[12:13], v[10:11]
	v_fma_f64 v[8:9], -v[8:9], v[14:15], v[12:13]
	v_div_fmas_f64 v[8:9], v[8:9], v[10:11], v[14:15]
	v_div_fixup_f64 v[2:3], v[8:9], s[18:19], v[2:3]
	s_and_saveexec_b64 s[18:19], s[0:1]
	s_cbranch_execz .LBB25_127
.LBB25_116:                             ;   in Loop: Header=BB25_3 Depth=1
	s_mov_b64 s[20:21], 0
	v_mov_b32_e32 v8, v31
	s_branch .LBB25_118
.LBB25_117:                             ;   in Loop: Header=BB25_118 Depth=2
	s_or_b64 exec, exec, s[82:83]
	v_add_u32_e32 v8, 64, v8
	v_cmp_le_u32_e32 vcc, s71, v8
	s_or_b64 s[20:21], vcc, s[20:21]
	s_andn2_b64 exec, exec, s[20:21]
	s_cbranch_execz .LBB25_127
.LBB25_118:                             ;   Parent Loop BB25_3 Depth=1
                                        ; =>  This Loop Header: Depth=2
                                        ;       Child Loop BB25_121 Depth 3
                                        ;       Child Loop BB25_124 Depth 3
	v_cmp_gt_i32_e32 vcc, s33, v8
	s_and_saveexec_b64 s[82:83], vcc
	s_cbranch_execz .LBB25_117
; %bb.119:                              ;   in Loop: Header=BB25_118 Depth=2
	v_ashrrev_i32_e32 v9, 31, v8
	v_lshlrev_b64 v[10:11], 2, v[8:9]
	v_mov_b32_e32 v6, s37
	v_add_co_u32_e32 v12, vcc, s36, v10
	v_addc_co_u32_e32 v13, vcc, v6, v11, vcc
	global_load_dword v6, v[12:13], off
	v_mov_b32_e32 v13, s39
	v_add_co_u32_e32 v12, vcc, s38, v10
	v_addc_co_u32_e32 v13, vcc, v13, v11, vcc
	global_load_dword v13, v[12:13], off
	s_waitcnt vmcnt(1)
	v_add_u32_e32 v12, v35, v6
	s_waitcnt vmcnt(0)
	v_subrev_u32_e32 v6, s66, v13
	v_cmp_lt_i32_e32 vcc, v12, v6
	s_and_saveexec_b64 s[56:57], vcc
	s_cbranch_execz .LBB25_122
; %bb.120:                              ;   in Loop: Header=BB25_118 Depth=2
	v_ashrrev_i32_e32 v13, 31, v12
	v_lshlrev_b64 v[16:17], 3, v[12:13]
	v_mov_b32_e32 v13, s75
	v_add_co_u32_e32 v14, vcc, s74, v16
	v_addc_co_u32_e32 v15, vcc, v13, v17, vcc
	v_mov_b32_e32 v13, s43
	v_add_co_u32_e32 v16, vcc, s42, v16
	v_addc_co_u32_e32 v17, vcc, v13, v17, vcc
	s_mov_b64 s[58:59], 0
.LBB25_121:                             ;   Parent Loop BB25_3 Depth=1
                                        ;     Parent Loop BB25_118 Depth=2
                                        ; =>    This Inner Loop Header: Depth=3
	global_load_dwordx2 v[18:19], v[14:15], off
	v_add_co_u32_e32 v14, vcc, 0x80, v14
	v_add_u32_e32 v12, 16, v12
	v_addc_co_u32_e32 v15, vcc, 0, v15, vcc
	v_cmp_ge_i32_e32 vcc, v12, v6
	s_or_b64 s[58:59], vcc, s[58:59]
	s_waitcnt vmcnt(0)
	global_store_dwordx2 v[16:17], v[18:19], off
	v_add_co_u32_e32 v16, vcc, 0x80, v16
	v_addc_co_u32_e32 v17, vcc, 0, v17, vcc
	s_andn2_b64 exec, exec, s[58:59]
	s_cbranch_execnz .LBB25_121
.LBB25_122:                             ;   in Loop: Header=BB25_118 Depth=2
	s_or_b64 exec, exec, s[56:57]
	v_mov_b32_e32 v6, s25
	v_add_co_u32_e32 v12, vcc, s24, v10
	v_addc_co_u32_e32 v13, vcc, v6, v11, vcc
	global_load_dword v6, v[12:13], off
	v_mov_b32_e32 v12, s27
	v_add_co_u32_e32 v10, vcc, s26, v10
	v_addc_co_u32_e32 v11, vcc, v12, v11, vcc
	global_load_dword v11, v[10:11], off
	s_waitcnt vmcnt(1)
	v_add_u32_e32 v10, v36, v6
	s_waitcnt vmcnt(0)
	v_subrev_u32_e32 v6, s70, v11
	v_cmp_lt_i32_e32 vcc, v10, v6
	s_and_saveexec_b64 s[56:57], vcc
	s_cbranch_execz .LBB25_125
; %bb.123:                              ;   in Loop: Header=BB25_118 Depth=2
	v_ashrrev_i32_e32 v11, 31, v10
	v_lshlrev_b64 v[14:15], 3, v[10:11]
	v_mov_b32_e32 v11, s77
	v_add_co_u32_e32 v12, vcc, s76, v14
	v_addc_co_u32_e32 v13, vcc, v11, v15, vcc
	v_mov_b32_e32 v11, s31
	v_add_co_u32_e32 v14, vcc, s30, v14
	v_addc_co_u32_e32 v15, vcc, v11, v15, vcc
	s_mov_b64 s[58:59], 0
.LBB25_124:                             ;   Parent Loop BB25_3 Depth=1
                                        ;     Parent Loop BB25_118 Depth=2
                                        ; =>    This Inner Loop Header: Depth=3
	global_load_dwordx2 v[16:17], v[12:13], off
	v_add_co_u32_e32 v12, vcc, 0x80, v12
	v_add_u32_e32 v10, 16, v10
	v_addc_co_u32_e32 v13, vcc, 0, v13, vcc
	v_cmp_ge_i32_e32 vcc, v10, v6
	s_or_b64 s[58:59], vcc, s[58:59]
	s_waitcnt vmcnt(0)
	global_store_dwordx2 v[14:15], v[16:17], off
	v_add_co_u32_e32 v14, vcc, 0x80, v14
	v_addc_co_u32_e32 v15, vcc, 0, v15, vcc
	s_andn2_b64 exec, exec, s[58:59]
	s_cbranch_execnz .LBB25_124
.LBB25_125:                             ;   in Loop: Header=BB25_118 Depth=2
	s_or_b64 exec, exec, s[56:57]
	s_and_b64 exec, exec, s[16:17]
	s_cbranch_execz .LBB25_117
; %bb.126:                              ;   in Loop: Header=BB25_118 Depth=2
	v_lshlrev_b64 v[10:11], 3, v[8:9]
	v_mov_b32_e32 v6, s63
	v_add_co_u32_e32 v12, vcc, s62, v10
	v_addc_co_u32_e32 v13, vcc, v6, v11, vcc
	global_load_dwordx2 v[12:13], v[12:13], off
	v_mov_b32_e32 v6, s61
	v_add_co_u32_e32 v10, vcc, s60, v10
	v_addc_co_u32_e32 v11, vcc, v6, v11, vcc
	s_waitcnt vmcnt(0)
	global_store_dwordx2 v[10:11], v[12:13], off
	s_branch .LBB25_117
.LBB25_127:                             ;   in Loop: Header=BB25_3 Depth=1
	s_or_b64 exec, exec, s[18:19]
	s_mov_b64 s[20:21], -1
	s_mov_b64 s[18:19], -1
	s_and_b64 vcc, exec, s[64:65]
	s_cbranch_vccz .LBB25_137
; %bb.128:                              ;   in Loop: Header=BB25_3 Depth=1
	v_readlane_b32 s52, v48, 14
	v_readlane_b32 s53, v48, 15
	s_and_b64 vcc, exec, s[52:53]
                                        ; implicit-def: $sgpr56_sgpr57
	s_cbranch_vccz .LBB25_134
; %bb.129:                              ;   in Loop: Header=BB25_3 Depth=1
	v_readlane_b32 s52, v48, 12
	v_readlane_b32 s53, v48, 13
	s_and_b64 vcc, exec, s[52:53]
                                        ; implicit-def: $sgpr56_sgpr57
	s_cbranch_vccz .LBB25_131
; %bb.130:                              ;   in Loop: Header=BB25_3 Depth=1
	v_readlane_b32 s56, v48, 0
	v_readlane_b32 s58, v48, 2
	;; [unrolled: 1-line block ×4, first 2 shown]
	v_cmp_ge_f64_e32 vcc, s[58:59], v[2:3]
	s_mov_b64 s[18:19], 0
	s_and_b64 s[56:57], vcc, exec
.LBB25_131:                             ;   in Loop: Header=BB25_3 Depth=1
	s_andn2_b64 vcc, exec, s[18:19]
	s_cbranch_vccnz .LBB25_133
; %bb.132:                              ;   in Loop: Header=BB25_3 Depth=1
	v_readlane_b32 s84, v48, 0
	v_readlane_b32 s86, v48, 2
	v_readlane_b32 s87, v48, 3
	v_cmp_ge_f64_e32 vcc, s[86:87], v[4:5]
	s_andn2_b64 s[18:19], s[56:57], exec
	s_and_b64 s[52:53], vcc, exec
	s_or_b64 s[56:57], s[18:19], s[52:53]
	v_readlane_b32 s85, v48, 1
.LBB25_133:                             ;   in Loop: Header=BB25_3 Depth=1
	s_mov_b64 s[18:19], 0
.LBB25_134:                             ;   in Loop: Header=BB25_3 Depth=1
	s_andn2_b64 vcc, exec, s[18:19]
	s_cbranch_vccnz .LBB25_136
; %bb.135:                              ;   in Loop: Header=BB25_3 Depth=1
	v_readlane_b32 s84, v48, 0
	v_readlane_b32 s86, v48, 2
	;; [unrolled: 1-line block ×3, first 2 shown]
	v_cmp_ge_f64_e32 vcc, s[86:87], v[4:5]
	v_cmp_ge_f64_e64 s[18:19], s[86:87], v[2:3]
	s_and_b64 s[18:19], vcc, s[18:19]
	s_andn2_b64 s[52:53], s[56:57], exec
	s_and_b64 s[18:19], s[18:19], exec
	s_or_b64 s[56:57], s[52:53], s[18:19]
	v_readlane_b32 s85, v48, 1
.LBB25_136:                             ;   in Loop: Header=BB25_3 Depth=1
	s_xor_b64 s[18:19], s[56:57], -1
.LBB25_137:                             ;   in Loop: Header=BB25_3 Depth=1
	v_mov_b32_e32 v6, s54
	s_and_saveexec_b64 s[52:53], s[18:19]
	s_cbranch_execz .LBB25_2
; %bb.138:                              ;   in Loop: Header=BB25_3 Depth=1
	s_add_i32 s54, s54, 1
	s_cmp_eq_u32 s54, s67
	s_cselect_b64 s[18:19], -1, 0
	v_mov_b32_e32 v6, s67
	s_orn2_b64 s[20:21], s[18:19], exec
	s_branch .LBB25_2
.LBB25_139:
	s_or_b64 exec, exec, s[78:79]
	v_readlane_b32 s24, v48, 6
	v_readlane_b32 s25, v48, 7
	;; [unrolled: 1-line block ×4, first 2 shown]
.LBB25_140:
	v_readlane_b32 s0, v48, 4
	v_readlane_b32 s1, v48, 5
	s_or_b64 exec, exec, s[0:1]
	s_andn2_b64 vcc, exec, s[64:65]
	s_cbranch_vccnz .LBB25_159
; %bb.141:
	v_mov_b32_dpp v7, v6 row_shr:1 row_mask:0xf bank_mask:0xf
	v_max_i32_e32 v6, v6, v7
	v_cmp_eq_u32_e32 vcc, 15, v30
	s_nop 0
	v_mov_b32_dpp v7, v6 row_shr:2 row_mask:0xf bank_mask:0xf
	v_max_i32_e32 v6, v6, v7
	s_nop 1
	v_mov_b32_dpp v7, v6 row_shr:4 row_mask:0xf bank_mask:0xe
	v_max_i32_e32 v6, v6, v7
	s_nop 1
	v_mov_b32_dpp v7, v6 row_shr:8 row_mask:0xf bank_mask:0xc
	s_and_saveexec_b64 s[0:1], vcc
	s_cbranch_execz .LBB25_143
; %bb.142:
	v_lshlrev_b32_e32 v1, 2, v1
	v_max_i32_e32 v6, v6, v7
	ds_write_b32 v1, v6 offset:512
.LBB25_143:
	s_or_b64 exec, exec, s[0:1]
	v_cmp_gt_u32_e32 vcc, 32, v0
	v_lshlrev_b32_e32 v1, 2, v0
	s_waitcnt lgkmcnt(0)
	s_barrier
	s_and_saveexec_b64 s[0:1], vcc
	s_cbranch_execz .LBB25_145
; %bb.144:
	ds_read2_b32 v[6:7], v1 offset0:128 offset1:160
	s_waitcnt lgkmcnt(0)
	v_max_i32_e32 v6, v6, v7
	ds_write_b32 v1, v6 offset:512
.LBB25_145:
	s_or_b64 exec, exec, s[0:1]
	v_cmp_gt_u32_e32 vcc, 16, v0
	s_waitcnt lgkmcnt(0)
	s_barrier
	s_and_saveexec_b64 s[0:1], vcc
	s_cbranch_execz .LBB25_147
; %bb.146:
	ds_read2_b32 v[6:7], v1 offset0:128 offset1:144
	s_waitcnt lgkmcnt(0)
	v_max_i32_e32 v6, v6, v7
	ds_write_b32 v1, v6 offset:512
.LBB25_147:
	s_or_b64 exec, exec, s[0:1]
	v_cmp_gt_u32_e32 vcc, 8, v0
	;; [unrolled: 12-line block ×4, first 2 shown]
	s_waitcnt lgkmcnt(0)
	s_barrier
	s_and_saveexec_b64 s[0:1], vcc
	s_cbranch_execz .LBB25_153
; %bb.152:
	ds_read2_b32 v[6:7], v1 offset0:128 offset1:130
	s_waitcnt lgkmcnt(0)
	v_max_i32_e32 v6, v6, v7
	ds_write_b32 v1, v6 offset:512
.LBB25_153:
	s_or_b64 exec, exec, s[0:1]
	v_cmp_eq_u32_e32 vcc, 0, v0
	s_waitcnt lgkmcnt(0)
	s_barrier
	s_and_saveexec_b64 s[0:1], vcc
	s_cbranch_execz .LBB25_155
; %bb.154:
	v_mov_b32_e32 v1, 0
	ds_read_b64 v[6:7], v1 offset:512
	s_waitcnt lgkmcnt(0)
	v_max_i32_e32 v6, v6, v7
	ds_write_b32 v1, v6 offset:512
.LBB25_155:
	s_or_b64 exec, exec, s[0:1]
	s_waitcnt lgkmcnt(0)
	s_barrier
	s_and_saveexec_b64 s[0:1], vcc
	s_cbranch_execz .LBB25_158
; %bb.156:
	v_mbcnt_lo_u32_b32 v1, exec_lo, 0
	v_mbcnt_hi_u32_b32 v1, exec_hi, v1
	v_cmp_eq_u32_e32 vcc, 0, v1
	s_and_b64 exec, exec, vcc
	s_cbranch_execz .LBB25_158
; %bb.157:
	v_mov_b32_e32 v1, 0
	ds_read_b32 v6, v1 offset:512
	v_readlane_b32 s4, v48, 0
	v_readlane_b32 s5, v48, 1
	;; [unrolled: 1-line block ×4, first 2 shown]
	s_waitcnt lgkmcnt(0)
	v_add_u32_e32 v6, 1, v6
	s_nop 0
	global_atomic_smax v1, v6, s[4:5]
.LBB25_158:
	s_or_b64 exec, exec, s[0:1]
.LBB25_159:
	v_cmp_eq_u32_e32 vcc, 0, v0
	s_mov_b32 s0, 0
	s_and_b64 s[2:3], vcc, s[34:35]
	s_and_saveexec_b64 s[4:5], s[2:3]
	s_cbranch_execz .LBB25_164
; %bb.160:
	v_mov_b32_e32 v0, 0
	global_load_dwordx2 v[6:7], v0, s[24:25] glc
	s_brev_b32 s1, 1
	s_mov_b64 s[6:7], 0
                                        ; implicit-def: $sgpr8_sgpr9
                                        ; implicit-def: $sgpr10_sgpr11
	s_waitcnt vmcnt(0)
	v_cmp_eq_u64_e64 s[12:13], s[0:1], v[6:7]
	v_cmp_eq_f64_e64 s[0:1], 0, v[4:5]
	s_branch .LBB25_162
.LBB25_161:                             ;   in Loop: Header=BB25_162 Depth=1
	s_or_b64 exec, exec, s[14:15]
	s_and_b64 s[2:3], exec, s[8:9]
	s_or_b64 s[6:7], s[2:3], s[6:7]
	s_andn2_b64 s[2:3], s[12:13], exec
	s_and_b64 s[12:13], s[10:11], exec
	s_or_b64 s[12:13], s[2:3], s[12:13]
	s_andn2_b64 exec, exec, s[6:7]
	s_cbranch_execz .LBB25_164
.LBB25_162:                             ; =>This Inner Loop Header: Depth=1
	v_cmp_lt_f64_e64 s[2:3], v[6:7], v[4:5]
	s_and_b64 s[14:15], s[0:1], s[12:13]
	s_or_b64 s[2:3], s[2:3], s[14:15]
	s_andn2_b64 s[10:11], s[10:11], exec
	s_or_b64 s[8:9], s[8:9], exec
	s_and_saveexec_b64 s[14:15], s[2:3]
	s_cbranch_execz .LBB25_161
; %bb.163:                              ;   in Loop: Header=BB25_162 Depth=1
	global_atomic_cmpswap_x2 v[8:9], v0, v[4:7], s[24:25] glc
	s_andn2_b64 s[8:9], s[8:9], exec
	s_andn2_b64 s[10:11], s[10:11], exec
                                        ; implicit-def: $sgpr12_sgpr13
	s_waitcnt vmcnt(0)
	v_cmp_eq_u64_e64 s[2:3], v[8:9], v[6:7]
	v_cndmask_b32_e64 v7, v9, v7, s[2:3]
	v_cndmask_b32_e64 v6, v8, v6, s[2:3]
	s_and_b64 s[2:3], s[2:3], exec
	v_cmp_class_f64_e64 s[16:17], v[6:7], 32
	s_or_b64 s[8:9], s[8:9], s[2:3]
	s_and_b64 s[2:3], s[16:17], exec
	s_or_b64 s[10:11], s[10:11], s[2:3]
	v_pk_mov_b32 v[6:7], v[8:9], v[8:9] op_sel:[0,1]
	s_branch .LBB25_161
.LBB25_164:
	s_or_b64 exec, exec, s[4:5]
	s_and_b64 s[0:1], vcc, s[22:23]
	s_and_saveexec_b64 s[2:3], s[0:1]
	s_cbranch_execz .LBB25_169
; %bb.165:
	v_mov_b32_e32 v0, 0
	global_load_dwordx2 v[4:5], v0, s[26:27] glc
	s_mov_b32 s0, 0
	s_brev_b32 s1, 1
	s_mov_b64 s[2:3], 0
	v_cmp_eq_f64_e32 vcc, 0, v[2:3]
                                        ; implicit-def: $sgpr4_sgpr5
                                        ; implicit-def: $sgpr6_sgpr7
	s_waitcnt vmcnt(0)
	v_cmp_eq_u64_e64 s[8:9], s[0:1], v[4:5]
	s_branch .LBB25_167
.LBB25_166:                             ;   in Loop: Header=BB25_167 Depth=1
	s_or_b64 exec, exec, s[10:11]
	s_and_b64 s[0:1], exec, s[4:5]
	s_or_b64 s[2:3], s[0:1], s[2:3]
	s_andn2_b64 s[0:1], s[8:9], exec
	s_and_b64 s[8:9], s[6:7], exec
	s_or_b64 s[8:9], s[0:1], s[8:9]
	s_andn2_b64 exec, exec, s[2:3]
	s_cbranch_execz .LBB25_169
.LBB25_167:                             ; =>This Inner Loop Header: Depth=1
	v_cmp_lt_f64_e64 s[0:1], v[4:5], v[2:3]
	s_and_b64 s[10:11], vcc, s[8:9]
	s_or_b64 s[0:1], s[0:1], s[10:11]
	s_andn2_b64 s[6:7], s[6:7], exec
	s_or_b64 s[4:5], s[4:5], exec
	s_and_saveexec_b64 s[10:11], s[0:1]
	s_cbranch_execz .LBB25_166
; %bb.168:                              ;   in Loop: Header=BB25_167 Depth=1
	global_atomic_cmpswap_x2 v[6:7], v0, v[2:5], s[26:27] glc
	s_andn2_b64 s[4:5], s[4:5], exec
	s_andn2_b64 s[6:7], s[6:7], exec
                                        ; implicit-def: $sgpr8_sgpr9
	s_waitcnt vmcnt(0)
	v_cmp_eq_u64_e64 s[0:1], v[6:7], v[4:5]
	v_cndmask_b32_e64 v5, v7, v5, s[0:1]
	v_cndmask_b32_e64 v4, v6, v4, s[0:1]
	s_and_b64 s[0:1], s[0:1], exec
	v_cmp_class_f64_e64 s[12:13], v[4:5], 32
	s_or_b64 s[4:5], s[4:5], s[0:1]
	s_and_b64 s[0:1], s[12:13], exec
	s_or_b64 s[6:7], s[6:7], s[0:1]
	v_pk_mov_b32 v[4:5], v[6:7], v[6:7] op_sel:[0,1]
	s_branch .LBB25_166
.LBB25_169:
	s_endpgm
	.section	.rodata,"a",@progbits
	.p2align	6, 0x0
	.amdhsa_kernel _ZN9rocsparseL6kernelILi1024ELi16EdiiEEvbbbT3_PS1_NS_15floating_traitsIT1_E6data_tES1_T2_PKS7_S9_PKS1_PKS4_21rocsparse_index_base_S9_S9_SB_PS4_SF_SE_S9_S9_SB_SF_SF_SE_SF_SF_PS6_SG_PKS6_
		.amdhsa_group_segment_fixed_size 768
		.amdhsa_private_segment_fixed_size 0
		.amdhsa_kernarg_size 208
		.amdhsa_user_sgpr_count 6
		.amdhsa_user_sgpr_private_segment_buffer 1
		.amdhsa_user_sgpr_dispatch_ptr 0
		.amdhsa_user_sgpr_queue_ptr 0
		.amdhsa_user_sgpr_kernarg_segment_ptr 1
		.amdhsa_user_sgpr_dispatch_id 0
		.amdhsa_user_sgpr_flat_scratch_init 0
		.amdhsa_user_sgpr_kernarg_preload_length 0
		.amdhsa_user_sgpr_kernarg_preload_offset 0
		.amdhsa_user_sgpr_private_segment_size 0
		.amdhsa_uses_dynamic_stack 0
		.amdhsa_system_sgpr_private_segment_wavefront_offset 0
		.amdhsa_system_sgpr_workgroup_id_x 1
		.amdhsa_system_sgpr_workgroup_id_y 0
		.amdhsa_system_sgpr_workgroup_id_z 0
		.amdhsa_system_sgpr_workgroup_info 0
		.amdhsa_system_vgpr_workitem_id 0
		.amdhsa_next_free_vgpr 49
		.amdhsa_next_free_sgpr 96
		.amdhsa_accum_offset 52
		.amdhsa_reserve_vcc 1
		.amdhsa_reserve_flat_scratch 0
		.amdhsa_float_round_mode_32 0
		.amdhsa_float_round_mode_16_64 0
		.amdhsa_float_denorm_mode_32 3
		.amdhsa_float_denorm_mode_16_64 3
		.amdhsa_dx10_clamp 1
		.amdhsa_ieee_mode 1
		.amdhsa_fp16_overflow 0
		.amdhsa_tg_split 0
		.amdhsa_exception_fp_ieee_invalid_op 0
		.amdhsa_exception_fp_denorm_src 0
		.amdhsa_exception_fp_ieee_div_zero 0
		.amdhsa_exception_fp_ieee_overflow 0
		.amdhsa_exception_fp_ieee_underflow 0
		.amdhsa_exception_fp_ieee_inexact 0
		.amdhsa_exception_int_div_zero 0
	.end_amdhsa_kernel
	.section	.text._ZN9rocsparseL6kernelILi1024ELi16EdiiEEvbbbT3_PS1_NS_15floating_traitsIT1_E6data_tES1_T2_PKS7_S9_PKS1_PKS4_21rocsparse_index_base_S9_S9_SB_PS4_SF_SE_S9_S9_SB_SF_SF_SE_SF_SF_PS6_SG_PKS6_,"axG",@progbits,_ZN9rocsparseL6kernelILi1024ELi16EdiiEEvbbbT3_PS1_NS_15floating_traitsIT1_E6data_tES1_T2_PKS7_S9_PKS1_PKS4_21rocsparse_index_base_S9_S9_SB_PS4_SF_SE_S9_S9_SB_SF_SF_SE_SF_SF_PS6_SG_PKS6_,comdat
.Lfunc_end25:
	.size	_ZN9rocsparseL6kernelILi1024ELi16EdiiEEvbbbT3_PS1_NS_15floating_traitsIT1_E6data_tES1_T2_PKS7_S9_PKS1_PKS4_21rocsparse_index_base_S9_S9_SB_PS4_SF_SE_S9_S9_SB_SF_SF_SE_SF_SF_PS6_SG_PKS6_, .Lfunc_end25-_ZN9rocsparseL6kernelILi1024ELi16EdiiEEvbbbT3_PS1_NS_15floating_traitsIT1_E6data_tES1_T2_PKS7_S9_PKS1_PKS4_21rocsparse_index_base_S9_S9_SB_PS4_SF_SE_S9_S9_SB_SF_SF_SE_SF_SF_PS6_SG_PKS6_
                                        ; -- End function
	.section	.AMDGPU.csdata,"",@progbits
; Kernel info:
; codeLenInByte = 5780
; NumSgprs: 100
; NumVgprs: 49
; NumAgprs: 0
; TotalNumVgprs: 49
; ScratchSize: 0
; MemoryBound: 1
; FloatMode: 240
; IeeeMode: 1
; LDSByteSize: 768 bytes/workgroup (compile time only)
; SGPRBlocks: 12
; VGPRBlocks: 6
; NumSGPRsForWavesPerEU: 100
; NumVGPRsForWavesPerEU: 49
; AccumOffset: 52
; Occupancy: 8
; WaveLimiterHint : 1
; COMPUTE_PGM_RSRC2:SCRATCH_EN: 0
; COMPUTE_PGM_RSRC2:USER_SGPR: 6
; COMPUTE_PGM_RSRC2:TRAP_HANDLER: 0
; COMPUTE_PGM_RSRC2:TGID_X_EN: 1
; COMPUTE_PGM_RSRC2:TGID_Y_EN: 0
; COMPUTE_PGM_RSRC2:TGID_Z_EN: 0
; COMPUTE_PGM_RSRC2:TIDIG_COMP_CNT: 0
; COMPUTE_PGM_RSRC3_GFX90A:ACCUM_OFFSET: 12
; COMPUTE_PGM_RSRC3_GFX90A:TG_SPLIT: 0
	.section	.text._ZN9rocsparseL6kernelILi1024ELi32EdiiEEvbbbT3_PS1_NS_15floating_traitsIT1_E6data_tES1_T2_PKS7_S9_PKS1_PKS4_21rocsparse_index_base_S9_S9_SB_PS4_SF_SE_S9_S9_SB_SF_SF_SE_SF_SF_PS6_SG_PKS6_,"axG",@progbits,_ZN9rocsparseL6kernelILi1024ELi32EdiiEEvbbbT3_PS1_NS_15floating_traitsIT1_E6data_tES1_T2_PKS7_S9_PKS1_PKS4_21rocsparse_index_base_S9_S9_SB_PS4_SF_SE_S9_S9_SB_SF_SF_SE_SF_SF_PS6_SG_PKS6_,comdat
	.globl	_ZN9rocsparseL6kernelILi1024ELi32EdiiEEvbbbT3_PS1_NS_15floating_traitsIT1_E6data_tES1_T2_PKS7_S9_PKS1_PKS4_21rocsparse_index_base_S9_S9_SB_PS4_SF_SE_S9_S9_SB_SF_SF_SE_SF_SF_PS6_SG_PKS6_ ; -- Begin function _ZN9rocsparseL6kernelILi1024ELi32EdiiEEvbbbT3_PS1_NS_15floating_traitsIT1_E6data_tES1_T2_PKS7_S9_PKS1_PKS4_21rocsparse_index_base_S9_S9_SB_PS4_SF_SE_S9_S9_SB_SF_SF_SE_SF_SF_PS6_SG_PKS6_
	.p2align	8
	.type	_ZN9rocsparseL6kernelILi1024ELi32EdiiEEvbbbT3_PS1_NS_15floating_traitsIT1_E6data_tES1_T2_PKS7_S9_PKS1_PKS4_21rocsparse_index_base_S9_S9_SB_PS4_SF_SE_S9_S9_SB_SF_SF_SE_SF_SF_PS6_SG_PKS6_,@function
_ZN9rocsparseL6kernelILi1024ELi32EdiiEEvbbbT3_PS1_NS_15floating_traitsIT1_E6data_tES1_T2_PKS7_S9_PKS1_PKS4_21rocsparse_index_base_S9_S9_SB_PS4_SF_SE_S9_S9_SB_SF_SF_SE_SF_SF_PS6_SG_PKS6_: ; @_ZN9rocsparseL6kernelILi1024ELi32EdiiEEvbbbT3_PS1_NS_15floating_traitsIT1_E6data_tES1_T2_PKS7_S9_PKS1_PKS4_21rocsparse_index_base_S9_S9_SB_PS4_SF_SE_S9_S9_SB_SF_SF_SE_SF_SF_PS6_SG_PKS6_
; %bb.0:
	s_load_dword s0, s[4:5], 0x0
	s_load_dwordx2 s[64:65], s[4:5], 0x0
	s_load_dwordx4 s[20:23], s[4:5], 0xb8
	s_load_dwordx4 s[8:11], s[4:5], 0x8
	s_load_dword s33, s[4:5], 0x18
	s_waitcnt lgkmcnt(0)
	s_bitcmp1_b32 s0, 0
	s_cselect_b64 s[62:63], -1, 0
	s_bitcmp1_b32 s0, 8
                                        ; implicit-def: $vgpr48 : SGPR spill to VGPR lane
	s_cselect_b64 s[60:61], -1, 0
	s_bitcmp1_b32 s64, 16
	v_writelane_b32 v48, s8, 0
	s_cselect_b64 s[34:35], -1, 0
	v_lshrrev_b32_e32 v1, 5, v0
	s_lshl_b32 s31, s6, 10
	v_writelane_b32 v48, s9, 1
	v_or_b32_e32 v31, s31, v1
	v_mov_b32_e32 v6, 0
	s_cmp_gt_i32 s65, 0
	v_pk_mov_b32 v[2:3], 0, 0
	v_writelane_b32 v48, s10, 2
	v_and_b32_e32 v30, 31, v0
	v_lshlrev_b32_e32 v32, 3, v0
	s_mov_b32 s64, 0
	v_mov_b32_e32 v7, v6
	v_cmp_gt_i32_e32 vcc, s33, v31
	s_cselect_b64 s[0:1], -1, 0
	v_pk_mov_b32 v[4:5], v[2:3], v[2:3] op_sel:[0,1]
	v_writelane_b32 v48, s11, 3
	ds_write_b64 v32, v[6:7]
	s_waitcnt lgkmcnt(0)
	s_barrier
	s_and_b64 s[0:1], s[0:1], vcc
	s_mov_b64 s[2:3], exec
	v_writelane_b32 v48, s2, 4
	s_and_b64 s[0:1], s[2:3], s[0:1]
	v_writelane_b32 v48, s3, 5
	s_mov_b64 exec, s[0:1]
	s_cbranch_execz .LBB26_136
; %bb.1:
	v_writelane_b32 v48, s20, 6
	v_writelane_b32 v48, s21, 7
	s_load_dwordx2 s[0:1], s[4:5], 0xc8
	v_writelane_b32 v48, s22, 8
	v_writelane_b32 v48, s23, 9
	s_load_dwordx4 s[56:59], s[4:5], 0xa8
	s_load_dwordx8 s[20:27], s[4:5], 0x78
	s_load_dwordx8 s[36:43], s[4:5], 0x48
	;; [unrolled: 1-line block ×3, first 2 shown]
	s_load_dword s28, s[4:5], 0x40
	s_load_dwordx2 s[72:73], s[4:5], 0x68
	s_load_dword s29, s[4:5], 0x70
	s_load_dwordx2 s[74:75], s[4:5], 0x98
	s_load_dword s30, s[4:5], 0xa0
	s_waitcnt lgkmcnt(0)
	v_writelane_b32 v48, s0, 10
	v_writelane_b32 v48, s1, 11
	s_xor_b64 s[0:1], s[60:61], -1
	v_writelane_b32 v48, s0, 12
	s_addk_i32 s31, 0x400
	s_and_b64 s[16:17], s[60:61], s[34:35]
	v_pk_mov_b32 v[4:5], 0, 0
	v_writelane_b32 v48, s1, 13
	v_subrev_u32_e32 v33, s28, v30
	v_cmp_gt_u32_e64 s[0:1], s31, v31
	v_cmp_eq_u32_e64 s[2:3], 31, v30
	v_lshlrev_b32_e32 v34, 3, v1
	v_cmp_gt_u32_e64 s[4:5], 16, v0
	v_cmp_gt_u32_e64 s[6:7], 8, v0
	;; [unrolled: 1-line block ×4, first 2 shown]
	v_cmp_eq_u32_e64 s[12:13], 0, v0
	v_subrev_u32_e32 v35, s29, v30
	v_subrev_u32_e32 v36, s30, v30
	v_cmp_eq_u32_e64 s[14:15], 0, v30
	s_xor_b64 s[78:79], s[16:17], -1
	s_mov_b64 s[76:77], 0
	s_movk_i32 s68, 0x1f8
	v_mov_b32_e32 v7, 0
	v_pk_mov_b32 v[2:3], v[4:5], v[4:5] op_sel:[0,1]
	s_branch .LBB26_3
.LBB26_2:                               ;   in Loop: Header=BB26_3 Depth=1
	s_or_b64 exec, exec, s[52:53]
	s_and_b64 s[16:17], exec, s[18:19]
	s_or_b64 s[76:77], s[16:17], s[76:77]
	s_andn2_b64 exec, exec, s[76:77]
	s_cbranch_execz .LBB26_135
.LBB26_3:                               ; =>This Loop Header: Depth=1
                                        ;     Child Loop BB26_7 Depth 2
                                        ;       Child Loop BB26_12 Depth 3
                                        ;         Child Loop BB26_16 Depth 4
                                        ;         Child Loop BB26_37 Depth 4
	;; [unrolled: 1-line block ×5, first 2 shown]
                                        ;     Child Loop BB26_114 Depth 2
                                        ;       Child Loop BB26_117 Depth 3
                                        ;       Child Loop BB26_120 Depth 3
	s_mov_b32 s69, 0
	v_cndmask_b32_e64 v5, v5, 0, s[60:61]
	v_cndmask_b32_e64 v4, v4, 0, s[60:61]
	;; [unrolled: 1-line block ×4, first 2 shown]
	s_branch .LBB26_7
.LBB26_4:                               ;   in Loop: Header=BB26_7 Depth=2
	s_or_b64 exec, exec, s[84:85]
.LBB26_5:                               ;   in Loop: Header=BB26_7 Depth=2
	s_or_b64 exec, exec, s[82:83]
.LBB26_6:                               ;   in Loop: Header=BB26_7 Depth=2
	s_or_b64 exec, exec, s[80:81]
	s_add_i32 s69, s69, 1
	s_cmp_eq_u32 s69, 32
	s_cbranch_scc1 .LBB26_83
.LBB26_7:                               ;   Parent Loop BB26_3 Depth=1
                                        ; =>  This Loop Header: Depth=2
                                        ;       Child Loop BB26_12 Depth 3
                                        ;         Child Loop BB26_16 Depth 4
                                        ;         Child Loop BB26_37 Depth 4
	;; [unrolled: 1-line block ×5, first 2 shown]
	v_lshl_add_u32 v8, s69, 5, v31
	v_cmp_gt_i32_e32 vcc, s33, v8
	s_and_saveexec_b64 s[80:81], vcc
	s_cbranch_execz .LBB26_6
; %bb.8:                                ;   in Loop: Header=BB26_7 Depth=2
	v_ashrrev_i32_e32 v9, 31, v8
	v_lshlrev_b64 v[12:13], 2, v[8:9]
	v_mov_b32_e32 v6, s45
	v_add_co_u32_e32 v10, vcc, s44, v12
	v_addc_co_u32_e32 v11, vcc, v6, v13, vcc
	global_load_dword v6, v[10:11], off
	v_mov_b32_e32 v9, s47
	v_add_co_u32_e32 v10, vcc, s46, v12
	v_addc_co_u32_e32 v11, vcc, v9, v13, vcc
	global_load_dword v9, v[10:11], off
	s_waitcnt vmcnt(1)
	v_add_u32_e32 v10, v33, v6
	s_waitcnt vmcnt(0)
	v_subrev_u32_e32 v9, s28, v9
	v_cmp_lt_i32_e32 vcc, v10, v9
	s_and_saveexec_b64 s[82:83], vcc
	s_cbranch_execz .LBB26_5
; %bb.9:                                ;   in Loop: Header=BB26_7 Depth=2
	v_mov_b32_e32 v6, s39
	v_add_co_u32_e32 v14, vcc, s38, v12
	v_addc_co_u32_e32 v15, vcc, v6, v13, vcc
	v_mov_b32_e32 v6, s37
	v_add_co_u32_e32 v12, vcc, s36, v12
	v_addc_co_u32_e32 v13, vcc, v6, v13, vcc
	global_load_dword v6, v[12:13], off
	global_load_dword v11, v[14:15], off
	v_mov_b32_e32 v18, s41
	v_mov_b32_e32 v19, s43
	s_mov_b64 s[84:85], 0
	s_waitcnt vmcnt(1)
	v_subrev_u32_e32 v12, s29, v6
	v_ashrrev_i32_e32 v13, 31, v12
	v_lshlrev_b64 v[14:15], 2, v[12:13]
	v_lshlrev_b64 v[16:17], 3, v[12:13]
	v_add_co_u32_e32 v13, vcc, s40, v14
	v_addc_co_u32_e32 v38, vcc, v18, v15, vcc
	s_waitcnt vmcnt(0)
	v_sub_u32_e32 v37, v11, v6
	v_add_co_u32_e32 v39, vcc, s42, v16
	v_cmp_lt_i32_e64 s[16:17], 0, v37
	v_addc_co_u32_e32 v40, vcc, v19, v17, vcc
	s_branch .LBB26_12
.LBB26_10:                              ;   in Loop: Header=BB26_12 Depth=3
	s_or_b64 exec, exec, s[52:53]
.LBB26_11:                              ;   in Loop: Header=BB26_12 Depth=3
	s_or_b64 exec, exec, s[18:19]
	v_add_u32_e32 v10, 32, v10
	v_cmp_ge_i32_e32 vcc, v10, v9
	s_or_b64 s[84:85], vcc, s[84:85]
	s_andn2_b64 exec, exec, s[84:85]
	s_cbranch_execz .LBB26_4
.LBB26_12:                              ;   Parent Loop BB26_3 Depth=1
                                        ;     Parent Loop BB26_7 Depth=2
                                        ; =>    This Loop Header: Depth=3
                                        ;         Child Loop BB26_16 Depth 4
                                        ;         Child Loop BB26_37 Depth 4
	;; [unrolled: 1-line block ×5, first 2 shown]
	v_ashrrev_i32_e32 v11, 31, v10
	v_lshlrev_b64 v[14:15], 2, v[10:11]
	v_mov_b32_e32 v6, s49
	v_add_co_u32_e32 v14, vcc, s48, v14
	v_addc_co_u32_e32 v15, vcc, v6, v15, vcc
	global_load_dword v6, v[14:15], off
	v_mov_b32_e32 v19, s21
	v_mov_b32_e32 v20, s23
	;; [unrolled: 1-line block ×3, first 2 shown]
	s_waitcnt vmcnt(0)
	v_subrev_u32_e32 v14, s28, v6
	v_ashrrev_i32_e32 v15, 31, v14
	v_lshlrev_b64 v[16:17], 2, v[14:15]
	v_add_co_u32_e32 v18, vcc, s20, v16
	v_addc_co_u32_e32 v19, vcc, v19, v17, vcc
	v_add_co_u32_e32 v16, vcc, s22, v16
	v_addc_co_u32_e32 v17, vcc, v20, v17, vcc
	global_load_dword v6, v[18:19], off
	s_nop 0
	global_load_dword v18, v[16:17], off
	v_pk_mov_b32 v[16:17], 0, 0
	s_waitcnt vmcnt(1)
	v_subrev_u32_e32 v20, s30, v6
	s_waitcnt vmcnt(0)
	v_sub_u32_e32 v41, v18, v6
	v_mov_b32_e32 v6, 0
	s_and_saveexec_b64 s[18:19], s[16:17]
	s_cbranch_execz .LBB26_20
; %bb.13:                               ;   in Loop: Header=BB26_12 Depth=3
	v_ashrrev_i32_e32 v21, 31, v20
	v_lshlrev_b64 v[16:17], 2, v[20:21]
	v_mov_b32_e32 v6, s25
	v_add_co_u32_e32 v18, vcc, s24, v16
	v_addc_co_u32_e32 v19, vcc, v6, v17, vcc
	v_lshlrev_b64 v[16:17], 3, v[20:21]
	v_mov_b32_e32 v6, s27
	v_add_co_u32_e32 v21, vcc, s26, v16
	v_addc_co_u32_e32 v24, vcc, v6, v17, vcc
	v_mov_b32_e32 v6, 0
	s_mov_b64 s[86:87], 0
	v_pk_mov_b32 v[16:17], 0, 0
	v_mov_b32_e32 v22, v6
                                        ; implicit-def: $sgpr88_sgpr89
	s_branch .LBB26_16
.LBB26_14:                              ;   in Loop: Header=BB26_16 Depth=4
	s_or_b64 exec, exec, s[52:53]
	v_cmp_le_i32_e32 vcc, v25, v26
	v_addc_co_u32_e32 v6, vcc, 0, v6, vcc
	v_cmp_ge_i32_e32 vcc, v25, v26
	v_addc_co_u32_e32 v22, vcc, 0, v22, vcc
	v_cmp_ge_i32_e32 vcc, v6, v37
	s_andn2_b64 s[52:53], s[88:89], exec
	s_and_b64 s[54:55], vcc, exec
	s_or_b64 s[88:89], s[52:53], s[54:55]
.LBB26_15:                              ;   in Loop: Header=BB26_16 Depth=4
	s_or_b64 exec, exec, s[66:67]
	s_and_b64 s[52:53], exec, s[88:89]
	s_or_b64 s[86:87], s[52:53], s[86:87]
	s_andn2_b64 exec, exec, s[86:87]
	s_cbranch_execz .LBB26_19
.LBB26_16:                              ;   Parent Loop BB26_3 Depth=1
                                        ;     Parent Loop BB26_7 Depth=2
                                        ;       Parent Loop BB26_12 Depth=3
                                        ; =>      This Inner Loop Header: Depth=4
	v_cmp_lt_i32_e32 vcc, v22, v41
	s_or_b64 s[88:89], s[88:89], exec
	s_and_saveexec_b64 s[66:67], vcc
	s_cbranch_execz .LBB26_15
; %bb.17:                               ;   in Loop: Header=BB26_16 Depth=4
	v_lshlrev_b64 v[26:27], 2, v[6:7]
	v_add_co_u32_e32 v26, vcc, v13, v26
	v_addc_co_u32_e32 v27, vcc, v38, v27, vcc
	v_mov_b32_e32 v23, v7
	global_load_dword v25, v[26:27], off
	v_lshlrev_b64 v[26:27], 2, v[22:23]
	v_add_co_u32_e32 v26, vcc, v18, v26
	v_addc_co_u32_e32 v27, vcc, v19, v27, vcc
	global_load_dword v26, v[26:27], off
	s_waitcnt vmcnt(1)
	v_subrev_u32_e32 v25, s29, v25
	s_waitcnt vmcnt(0)
	v_subrev_u32_e32 v26, s30, v26
	v_cmp_eq_u32_e32 vcc, v25, v26
	s_and_saveexec_b64 s[52:53], vcc
	s_cbranch_execz .LBB26_14
; %bb.18:                               ;   in Loop: Header=BB26_16 Depth=4
	v_lshlrev_b64 v[28:29], 3, v[6:7]
	v_add_co_u32_e32 v28, vcc, v39, v28
	v_addc_co_u32_e32 v29, vcc, v40, v29, vcc
	v_lshlrev_b64 v[42:43], 3, v[22:23]
	v_add_co_u32_e32 v42, vcc, v21, v42
	v_addc_co_u32_e32 v43, vcc, v24, v43, vcc
	global_load_dwordx2 v[28:29], v[28:29], off
	s_nop 0
	global_load_dwordx2 v[42:43], v[42:43], off
	s_waitcnt vmcnt(0)
	v_fmac_f64_e32 v[16:17], v[28:29], v[42:43]
	s_branch .LBB26_14
.LBB26_19:                              ;   in Loop: Header=BB26_12 Depth=3
	s_or_b64 exec, exec, s[86:87]
.LBB26_20:                              ;   in Loop: Header=BB26_12 Depth=3
	s_or_b64 exec, exec, s[18:19]
	v_lshlrev_b64 v[18:19], 3, v[10:11]
	v_mov_b32_e32 v11, s51
	v_add_co_u32_e32 v18, vcc, s50, v18
	v_addc_co_u32_e32 v19, vcc, v11, v19, vcc
	global_load_dwordx2 v[18:19], v[18:19], off
	v_cmp_le_i32_e64 s[18:19], v8, v14
	v_cmp_gt_i32_e32 vcc, v8, v14
	s_waitcnt vmcnt(0)
	v_add_f64 v[24:25], v[18:19], -v[16:17]
	s_and_saveexec_b64 s[52:53], vcc
	s_cbranch_execnz .LBB26_23
; %bb.21:                               ;   in Loop: Header=BB26_12 Depth=3
	s_or_b64 exec, exec, s[52:53]
	v_cmp_class_f64_e64 s[86:87], v[24:25], s68
	s_and_saveexec_b64 s[88:89], s[86:87]
	s_cbranch_execnz .LBB26_26
.LBB26_22:                              ;   in Loop: Header=BB26_12 Depth=3
	s_or_b64 exec, exec, s[88:89]
	s_and_b64 s[52:53], s[86:87], s[34:35]
	s_and_saveexec_b64 s[18:19], s[52:53]
	s_cbranch_execz .LBB26_11
	s_branch .LBB26_61
.LBB26_23:                              ;   in Loop: Header=BB26_12 Depth=3
	v_lshlrev_b64 v[26:27], 3, v[14:15]
	v_mov_b32_e32 v11, s57
	v_add_co_u32_e32 v26, vcc, s56, v26
	v_addc_co_u32_e32 v27, vcc, v11, v27, vcc
	global_load_dwordx2 v[26:27], v[26:27], off
	v_pk_mov_b32 v[28:29], 0, 0
	s_waitcnt vmcnt(0)
	v_cmp_lg_f64_e32 vcc, 0, v[26:27]
	s_and_saveexec_b64 s[54:55], vcc
; %bb.24:                               ;   in Loop: Header=BB26_12 Depth=3
	v_div_scale_f64 v[28:29], s[66:67], v[26:27], v[26:27], v[24:25]
	v_rcp_f64_e32 v[42:43], v[28:29]
	v_div_scale_f64 v[44:45], vcc, v[24:25], v[26:27], v[24:25]
	v_fma_f64 v[46:47], -v[28:29], v[42:43], 1.0
	v_fmac_f64_e32 v[42:43], v[42:43], v[46:47]
	v_fma_f64 v[46:47], -v[28:29], v[42:43], 1.0
	v_fmac_f64_e32 v[42:43], v[42:43], v[46:47]
	v_mul_f64 v[46:47], v[44:45], v[42:43]
	v_fma_f64 v[28:29], -v[28:29], v[46:47], v[44:45]
	v_div_fmas_f64 v[28:29], v[28:29], v[42:43], v[46:47]
	v_div_fixup_f64 v[28:29], v[28:29], v[26:27], v[24:25]
; %bb.25:                               ;   in Loop: Header=BB26_12 Depth=3
	s_or_b64 exec, exec, s[54:55]
	v_pk_mov_b32 v[24:25], v[28:29], v[28:29] op_sel:[0,1]
	s_or_b64 exec, exec, s[52:53]
	v_cmp_class_f64_e64 s[86:87], v[24:25], s68
	s_and_saveexec_b64 s[88:89], s[86:87]
	s_cbranch_execz .LBB26_22
.LBB26_26:                              ;   in Loop: Header=BB26_12 Depth=3
	s_and_saveexec_b64 s[52:53], s[18:19]
	s_xor_b64 s[18:19], exec, s[52:53]
	s_cbranch_execz .LBB26_47
; %bb.27:                               ;   in Loop: Header=BB26_12 Depth=3
	v_cmp_ge_i32_e32 vcc, v8, v14
	s_and_saveexec_b64 s[52:53], vcc
	s_xor_b64 s[52:53], exec, s[52:53]
	s_cbranch_execz .LBB26_33
; %bb.28:                               ;   in Loop: Header=BB26_12 Depth=3
	v_lshlrev_b64 v[26:27], 3, v[14:15]
	v_mov_b32_e32 v11, s59
	v_add_co_u32_e32 v28, vcc, s58, v26
	v_addc_co_u32_e32 v29, vcc, v11, v27, vcc
	s_andn2_b64 vcc, exec, s[60:61]
	global_store_dwordx2 v[28:29], v[24:25], off
	s_cbranch_vccnz .LBB26_32
; %bb.29:                               ;   in Loop: Header=BB26_12 Depth=3
	v_mov_b32_e32 v11, s57
	v_add_co_u32_e32 v26, vcc, s56, v26
	v_addc_co_u32_e32 v27, vcc, v11, v27, vcc
	global_load_dwordx2 v[26:27], v[26:27], off
	s_waitcnt vmcnt(0)
	v_add_f64 v[24:25], v[26:27], -v[24:25]
	v_cmp_class_f64_e64 s[66:67], v[24:25], s68
	s_and_saveexec_b64 s[54:55], s[66:67]
; %bb.30:                               ;   in Loop: Header=BB26_12 Depth=3
	v_and_b32_e32 v11, 0x7fffffff, v25
	v_cmp_lt_f64_e64 vcc, v[4:5], |v[24:25]|
	v_cndmask_b32_e32 v5, v5, v11, vcc
	v_cndmask_b32_e32 v4, v4, v24, vcc
; %bb.31:                               ;   in Loop: Header=BB26_12 Depth=3
	s_or_b64 exec, exec, s[54:55]
.LBB26_32:                              ;   in Loop: Header=BB26_12 Depth=3
                                        ; implicit-def: $vgpr24_vgpr25
.LBB26_33:                              ;   in Loop: Header=BB26_12 Depth=3
	s_andn2_saveexec_b64 s[90:91], s[52:53]
	s_cbranch_execz .LBB26_46
; %bb.34:                               ;   in Loop: Header=BB26_12 Depth=3
	v_cmp_lt_i32_e32 vcc, v22, v41
	s_and_saveexec_b64 s[92:93], vcc
	s_cbranch_execz .LBB26_45
; %bb.35:                               ;   in Loop: Header=BB26_12 Depth=3
	s_mov_b64 s[94:95], 0
	v_mov_b32_e32 v11, v22
                                        ; implicit-def: $sgpr66_sgpr67
                                        ; implicit-def: $sgpr52_sgpr53
                                        ; implicit-def: $sgpr70_sgpr71
	s_branch .LBB26_37
.LBB26_36:                              ;   in Loop: Header=BB26_37 Depth=4
	s_or_b64 exec, exec, s[54:55]
	s_and_b64 s[54:55], exec, s[52:53]
	s_or_b64 s[94:95], s[54:55], s[94:95]
	s_andn2_b64 s[54:55], s[66:67], exec
	s_and_b64 s[66:67], s[70:71], exec
	s_or_b64 s[66:67], s[54:55], s[66:67]
	s_andn2_b64 exec, exec, s[94:95]
	s_cbranch_execz .LBB26_39
.LBB26_37:                              ;   Parent Loop BB26_3 Depth=1
                                        ;     Parent Loop BB26_7 Depth=2
                                        ;       Parent Loop BB26_12 Depth=3
                                        ; =>      This Inner Loop Header: Depth=4
	v_add_u32_e32 v26, v20, v11
	v_ashrrev_i32_e32 v27, 31, v26
	v_lshlrev_b64 v[28:29], 2, v[26:27]
	v_mov_b32_e32 v21, s25
	v_add_co_u32_e32 v28, vcc, s24, v28
	v_addc_co_u32_e32 v29, vcc, v21, v29, vcc
	global_load_dword v21, v[28:29], off
	s_or_b64 s[70:71], s[70:71], exec
	s_or_b64 s[52:53], s[52:53], exec
	s_waitcnt vmcnt(0)
	v_subrev_u32_e32 v21, s30, v21
	v_cmp_ne_u32_e32 vcc, v21, v8
	s_and_saveexec_b64 s[54:55], vcc
	s_cbranch_execz .LBB26_36
; %bb.38:                               ;   in Loop: Header=BB26_37 Depth=4
	v_add_u32_e32 v11, 1, v11
	v_cmp_ge_i32_e32 vcc, v11, v41
	s_andn2_b64 s[52:53], s[52:53], exec
	s_and_b64 vcc, vcc, exec
	s_andn2_b64 s[70:71], s[70:71], exec
	s_or_b64 s[52:53], s[52:53], vcc
	s_branch .LBB26_36
.LBB26_39:                              ;   in Loop: Header=BB26_12 Depth=3
	s_or_b64 exec, exec, s[94:95]
	s_and_saveexec_b64 s[52:53], s[66:67]
	s_xor_b64 s[52:53], exec, s[52:53]
	s_cbranch_execz .LBB26_44
; %bb.40:                               ;   in Loop: Header=BB26_12 Depth=3
	v_lshlrev_b64 v[26:27], 3, v[26:27]
	v_mov_b32_e32 v11, s75
	v_add_co_u32_e32 v28, vcc, s74, v26
	v_addc_co_u32_e32 v29, vcc, v11, v27, vcc
	s_andn2_b64 vcc, exec, s[60:61]
	global_store_dwordx2 v[28:29], v[24:25], off
	s_cbranch_vccnz .LBB26_44
; %bb.41:                               ;   in Loop: Header=BB26_12 Depth=3
	v_mov_b32_e32 v11, s27
	v_add_co_u32_e32 v26, vcc, s26, v26
	v_addc_co_u32_e32 v27, vcc, v11, v27, vcc
	global_load_dwordx2 v[26:27], v[26:27], off
	s_waitcnt vmcnt(0)
	v_add_f64 v[24:25], v[26:27], -v[24:25]
	v_cmp_class_f64_e64 s[66:67], v[24:25], s68
	s_and_saveexec_b64 s[54:55], s[66:67]
; %bb.42:                               ;   in Loop: Header=BB26_12 Depth=3
	v_and_b32_e32 v11, 0x7fffffff, v25
	v_cmp_lt_f64_e64 vcc, v[4:5], |v[24:25]|
	v_cndmask_b32_e32 v5, v5, v11, vcc
	v_cndmask_b32_e32 v4, v4, v24, vcc
; %bb.43:                               ;   in Loop: Header=BB26_12 Depth=3
	s_or_b64 exec, exec, s[54:55]
.LBB26_44:                              ;   in Loop: Header=BB26_12 Depth=3
	s_or_b64 exec, exec, s[52:53]
.LBB26_45:                              ;   in Loop: Header=BB26_12 Depth=3
	s_or_b64 exec, exec, s[92:93]
.LBB26_46:                              ;   in Loop: Header=BB26_12 Depth=3
	s_or_b64 exec, exec, s[90:91]
                                        ; implicit-def: $vgpr24_vgpr25
.LBB26_47:                              ;   in Loop: Header=BB26_12 Depth=3
	s_andn2_saveexec_b64 s[18:19], s[18:19]
	s_cbranch_execz .LBB26_60
; %bb.48:                               ;   in Loop: Header=BB26_12 Depth=3
	v_cmp_lt_i32_e32 vcc, v6, v37
	s_and_saveexec_b64 s[90:91], vcc
	s_cbranch_execz .LBB26_59
; %bb.49:                               ;   in Loop: Header=BB26_12 Depth=3
	s_mov_b64 s[92:93], 0
	v_mov_b32_e32 v11, v6
                                        ; implicit-def: $sgpr66_sgpr67
                                        ; implicit-def: $sgpr52_sgpr53
                                        ; implicit-def: $sgpr70_sgpr71
	s_branch .LBB26_51
.LBB26_50:                              ;   in Loop: Header=BB26_51 Depth=4
	s_or_b64 exec, exec, s[54:55]
	s_and_b64 s[54:55], exec, s[52:53]
	s_or_b64 s[92:93], s[54:55], s[92:93]
	s_andn2_b64 s[54:55], s[66:67], exec
	s_and_b64 s[66:67], s[70:71], exec
	s_or_b64 s[66:67], s[54:55], s[66:67]
	s_andn2_b64 exec, exec, s[92:93]
	s_cbranch_execz .LBB26_53
.LBB26_51:                              ;   Parent Loop BB26_3 Depth=1
                                        ;     Parent Loop BB26_7 Depth=2
                                        ;       Parent Loop BB26_12 Depth=3
                                        ; =>      This Inner Loop Header: Depth=4
	v_add_u32_e32 v26, v12, v11
	v_ashrrev_i32_e32 v27, 31, v26
	v_lshlrev_b64 v[28:29], 2, v[26:27]
	v_mov_b32_e32 v21, s41
	v_add_co_u32_e32 v28, vcc, s40, v28
	v_addc_co_u32_e32 v29, vcc, v21, v29, vcc
	global_load_dword v21, v[28:29], off
	s_or_b64 s[70:71], s[70:71], exec
	s_or_b64 s[52:53], s[52:53], exec
	s_waitcnt vmcnt(0)
	v_subrev_u32_e32 v21, s29, v21
	v_cmp_ne_u32_e32 vcc, v21, v14
	s_and_saveexec_b64 s[54:55], vcc
	s_cbranch_execz .LBB26_50
; %bb.52:                               ;   in Loop: Header=BB26_51 Depth=4
	v_add_u32_e32 v11, 1, v11
	v_cmp_ge_i32_e32 vcc, v11, v37
	s_andn2_b64 s[52:53], s[52:53], exec
	s_and_b64 s[94:95], vcc, exec
	s_andn2_b64 s[70:71], s[70:71], exec
	s_or_b64 s[52:53], s[52:53], s[94:95]
	s_branch .LBB26_50
.LBB26_53:                              ;   in Loop: Header=BB26_12 Depth=3
	s_or_b64 exec, exec, s[92:93]
	s_and_saveexec_b64 s[52:53], s[66:67]
	s_xor_b64 s[52:53], exec, s[52:53]
	s_cbranch_execz .LBB26_58
; %bb.54:                               ;   in Loop: Header=BB26_12 Depth=3
	v_lshlrev_b64 v[26:27], 3, v[26:27]
	v_mov_b32_e32 v11, s73
	v_add_co_u32_e32 v28, vcc, s72, v26
	v_addc_co_u32_e32 v29, vcc, v11, v27, vcc
	s_andn2_b64 vcc, exec, s[60:61]
	global_store_dwordx2 v[28:29], v[24:25], off
	s_cbranch_vccnz .LBB26_58
; %bb.55:                               ;   in Loop: Header=BB26_12 Depth=3
	v_mov_b32_e32 v11, s43
	v_add_co_u32_e32 v26, vcc, s42, v26
	v_addc_co_u32_e32 v27, vcc, v11, v27, vcc
	global_load_dwordx2 v[26:27], v[26:27], off
	s_waitcnt vmcnt(0)
	v_add_f64 v[24:25], v[26:27], -v[24:25]
	v_cmp_class_f64_e64 s[66:67], v[24:25], s68
	s_and_saveexec_b64 s[54:55], s[66:67]
; %bb.56:                               ;   in Loop: Header=BB26_12 Depth=3
	v_and_b32_e32 v11, 0x7fffffff, v25
	v_cmp_lt_f64_e64 vcc, v[4:5], |v[24:25]|
	v_cndmask_b32_e32 v5, v5, v11, vcc
	v_cndmask_b32_e32 v4, v4, v24, vcc
; %bb.57:                               ;   in Loop: Header=BB26_12 Depth=3
	s_or_b64 exec, exec, s[54:55]
.LBB26_58:                              ;   in Loop: Header=BB26_12 Depth=3
	s_or_b64 exec, exec, s[52:53]
.LBB26_59:                              ;   in Loop: Header=BB26_12 Depth=3
	s_or_b64 exec, exec, s[90:91]
.LBB26_60:                              ;   in Loop: Header=BB26_12 Depth=3
	s_or_b64 exec, exec, s[18:19]
	s_or_b64 exec, exec, s[88:89]
	s_and_b64 s[52:53], s[86:87], s[34:35]
	s_and_saveexec_b64 s[18:19], s[52:53]
	s_cbranch_execz .LBB26_11
.LBB26_61:                              ;   in Loop: Header=BB26_12 Depth=3
	v_cmp_ge_i32_e32 vcc, v22, v41
	s_and_saveexec_b64 s[52:53], vcc
	s_xor_b64 s[86:87], exec, s[52:53]
	s_cbranch_execnz .LBB26_67
; %bb.62:                               ;   in Loop: Header=BB26_12 Depth=3
	s_andn2_saveexec_b64 s[86:87], s[86:87]
	s_cbranch_execnz .LBB26_76
.LBB26_63:                              ;   in Loop: Header=BB26_12 Depth=3
	s_or_b64 exec, exec, s[86:87]
	v_cmp_eq_u32_e32 vcc, v8, v14
	s_and_saveexec_b64 s[52:53], vcc
	s_cbranch_execz .LBB26_65
.LBB26_64:                              ;   in Loop: Header=BB26_12 Depth=3
	v_lshlrev_b64 v[14:15], 3, v[14:15]
	v_mov_b32_e32 v6, s57
	v_add_co_u32_e32 v14, vcc, s56, v14
	v_addc_co_u32_e32 v15, vcc, v6, v15, vcc
	global_load_dwordx2 v[14:15], v[14:15], off
	s_waitcnt vmcnt(0)
	v_add_f64 v[16:17], v[16:17], v[14:15]
.LBB26_65:                              ;   in Loop: Header=BB26_12 Depth=3
	s_or_b64 exec, exec, s[52:53]
	v_add_f64 v[14:15], v[18:19], -v[16:17]
	v_cmp_class_f64_e64 s[54:55], v[14:15], s68
	s_and_saveexec_b64 s[52:53], s[54:55]
	s_cbranch_execz .LBB26_10
; %bb.66:                               ;   in Loop: Header=BB26_12 Depth=3
	v_and_b32_e32 v6, 0x7fffffff, v15
	v_cmp_lt_f64_e64 vcc, v[2:3], |v[14:15]|
	v_cndmask_b32_e32 v3, v3, v6, vcc
	v_cndmask_b32_e32 v2, v2, v14, vcc
	s_branch .LBB26_10
.LBB26_67:                              ;   in Loop: Header=BB26_12 Depth=3
	v_cmp_lt_i32_e32 vcc, v6, v37
	s_and_saveexec_b64 s[88:89], vcc
	s_cbranch_execz .LBB26_75
; %bb.68:                               ;   in Loop: Header=BB26_12 Depth=3
	s_mov_b64 s[90:91], 0
                                        ; implicit-def: $sgpr66_sgpr67
                                        ; implicit-def: $sgpr52_sgpr53
                                        ; implicit-def: $sgpr70_sgpr71
	s_branch .LBB26_70
.LBB26_69:                              ;   in Loop: Header=BB26_70 Depth=4
	s_or_b64 exec, exec, s[54:55]
	s_and_b64 s[54:55], exec, s[52:53]
	s_or_b64 s[90:91], s[54:55], s[90:91]
	s_andn2_b64 s[54:55], s[66:67], exec
	s_and_b64 s[66:67], s[70:71], exec
	s_or_b64 s[66:67], s[54:55], s[66:67]
	s_andn2_b64 exec, exec, s[90:91]
	s_cbranch_execz .LBB26_72
.LBB26_70:                              ;   Parent Loop BB26_3 Depth=1
                                        ;     Parent Loop BB26_7 Depth=2
                                        ;       Parent Loop BB26_12 Depth=3
                                        ; =>      This Inner Loop Header: Depth=4
	v_add_u32_e32 v20, v12, v6
	v_ashrrev_i32_e32 v21, 31, v20
	v_lshlrev_b64 v[22:23], 2, v[20:21]
	v_mov_b32_e32 v11, s41
	v_add_co_u32_e32 v22, vcc, s40, v22
	v_addc_co_u32_e32 v23, vcc, v11, v23, vcc
	global_load_dword v11, v[22:23], off
	s_or_b64 s[70:71], s[70:71], exec
	s_or_b64 s[52:53], s[52:53], exec
	s_waitcnt vmcnt(0)
	v_subrev_u32_e32 v11, s29, v11
	v_cmp_ne_u32_e32 vcc, v11, v14
	s_and_saveexec_b64 s[54:55], vcc
	s_cbranch_execz .LBB26_69
; %bb.71:                               ;   in Loop: Header=BB26_70 Depth=4
	v_add_u32_e32 v6, 1, v6
	v_cmp_ge_i32_e32 vcc, v6, v37
	s_andn2_b64 s[52:53], s[52:53], exec
	s_and_b64 s[92:93], vcc, exec
	s_andn2_b64 s[70:71], s[70:71], exec
	s_or_b64 s[52:53], s[52:53], s[92:93]
	s_branch .LBB26_69
.LBB26_72:                              ;   in Loop: Header=BB26_12 Depth=3
	s_or_b64 exec, exec, s[90:91]
	s_and_saveexec_b64 s[52:53], s[66:67]
	s_xor_b64 s[52:53], exec, s[52:53]
	s_cbranch_execz .LBB26_74
; %bb.73:                               ;   in Loop: Header=BB26_12 Depth=3
	v_lshlrev_b64 v[20:21], 3, v[20:21]
	v_mov_b32_e32 v6, s43
	v_add_co_u32_e32 v20, vcc, s42, v20
	v_addc_co_u32_e32 v21, vcc, v6, v21, vcc
	v_lshlrev_b64 v[22:23], 3, v[14:15]
	v_mov_b32_e32 v6, s57
	v_add_co_u32_e32 v22, vcc, s56, v22
	v_addc_co_u32_e32 v23, vcc, v6, v23, vcc
	global_load_dwordx2 v[20:21], v[20:21], off
	s_nop 0
	global_load_dwordx2 v[22:23], v[22:23], off
	s_waitcnt vmcnt(0)
	v_fmac_f64_e32 v[16:17], v[20:21], v[22:23]
.LBB26_74:                              ;   in Loop: Header=BB26_12 Depth=3
	s_or_b64 exec, exec, s[52:53]
.LBB26_75:                              ;   in Loop: Header=BB26_12 Depth=3
	s_or_b64 exec, exec, s[88:89]
                                        ; implicit-def: $vgpr22
                                        ; implicit-def: $vgpr20
                                        ; implicit-def: $vgpr41
	s_andn2_saveexec_b64 s[86:87], s[86:87]
	s_cbranch_execz .LBB26_63
.LBB26_76:                              ;   in Loop: Header=BB26_12 Depth=3
	s_mov_b64 s[88:89], 0
                                        ; implicit-def: $sgpr66_sgpr67
                                        ; implicit-def: $sgpr52_sgpr53
                                        ; implicit-def: $sgpr70_sgpr71
	s_branch .LBB26_78
.LBB26_77:                              ;   in Loop: Header=BB26_78 Depth=4
	s_or_b64 exec, exec, s[54:55]
	s_and_b64 s[54:55], exec, s[52:53]
	s_or_b64 s[88:89], s[54:55], s[88:89]
	s_andn2_b64 s[54:55], s[66:67], exec
	s_and_b64 s[66:67], s[70:71], exec
	s_or_b64 s[66:67], s[54:55], s[66:67]
	s_andn2_b64 exec, exec, s[88:89]
	s_cbranch_execz .LBB26_80
.LBB26_78:                              ;   Parent Loop BB26_3 Depth=1
                                        ;     Parent Loop BB26_7 Depth=2
                                        ;       Parent Loop BB26_12 Depth=3
                                        ; =>      This Inner Loop Header: Depth=4
	v_add_u32_e32 v24, v20, v22
	v_ashrrev_i32_e32 v25, 31, v24
	v_lshlrev_b64 v[26:27], 2, v[24:25]
	v_mov_b32_e32 v6, s25
	v_add_co_u32_e32 v26, vcc, s24, v26
	v_addc_co_u32_e32 v27, vcc, v6, v27, vcc
	global_load_dword v6, v[26:27], off
	s_or_b64 s[70:71], s[70:71], exec
	s_or_b64 s[52:53], s[52:53], exec
	s_waitcnt vmcnt(0)
	v_subrev_u32_e32 v6, s30, v6
	v_cmp_ne_u32_e32 vcc, v6, v8
	s_and_saveexec_b64 s[54:55], vcc
	s_cbranch_execz .LBB26_77
; %bb.79:                               ;   in Loop: Header=BB26_78 Depth=4
	v_add_u32_e32 v22, 1, v22
	v_cmp_ge_i32_e32 vcc, v22, v41
	s_andn2_b64 s[52:53], s[52:53], exec
	s_and_b64 s[90:91], vcc, exec
	s_andn2_b64 s[70:71], s[70:71], exec
	s_or_b64 s[52:53], s[52:53], s[90:91]
	s_branch .LBB26_77
.LBB26_80:                              ;   in Loop: Header=BB26_12 Depth=3
	s_or_b64 exec, exec, s[88:89]
	s_and_saveexec_b64 s[52:53], s[66:67]
	s_xor_b64 s[52:53], exec, s[52:53]
	s_cbranch_execz .LBB26_82
; %bb.81:                               ;   in Loop: Header=BB26_12 Depth=3
	v_lshlrev_b64 v[20:21], 3, v[24:25]
	v_mov_b32_e32 v6, s27
	v_add_co_u32_e32 v20, vcc, s26, v20
	v_addc_co_u32_e32 v21, vcc, v6, v21, vcc
	global_load_dwordx2 v[20:21], v[20:21], off
	s_waitcnt vmcnt(0)
	v_add_f64 v[16:17], v[16:17], v[20:21]
.LBB26_82:                              ;   in Loop: Header=BB26_12 Depth=3
	s_or_b64 exec, exec, s[52:53]
	s_or_b64 exec, exec, s[86:87]
	v_cmp_eq_u32_e32 vcc, v8, v14
	s_and_saveexec_b64 s[52:53], vcc
	s_cbranch_execnz .LBB26_64
	s_branch .LBB26_65
.LBB26_83:                              ;   in Loop: Header=BB26_3 Depth=1
	s_and_b64 vcc, exec, s[60:61]
	s_cbranch_vccnz .LBB26_86
; %bb.84:                               ;   in Loop: Header=BB26_3 Depth=1
	s_andn2_b64 vcc, exec, s[34:35]
	s_cbranch_vccz .LBB26_99
.LBB26_85:                              ;   in Loop: Header=BB26_3 Depth=1
	s_and_saveexec_b64 s[16:17], s[0:1]
	s_cbranch_execnz .LBB26_112
	s_branch .LBB26_123
.LBB26_86:                              ;   in Loop: Header=BB26_3 Depth=1
	v_mov_b32_dpp v8, v4 row_shr:1 row_mask:0xf bank_mask:0xf
	v_mov_b32_dpp v9, v5 row_shr:1 row_mask:0xf bank_mask:0xf
	v_cmp_lt_f64_e32 vcc, v[4:5], v[8:9]
	v_cndmask_b32_e32 v5, v5, v9, vcc
	v_cndmask_b32_e32 v4, v4, v8, vcc
	s_nop 0
	v_mov_b32_dpp v9, v5 row_shr:2 row_mask:0xf bank_mask:0xf
	v_mov_b32_dpp v8, v4 row_shr:2 row_mask:0xf bank_mask:0xf
	v_cmp_lt_f64_e32 vcc, v[4:5], v[8:9]
	v_cndmask_b32_e32 v5, v5, v9, vcc
	v_cndmask_b32_e32 v4, v4, v8, vcc
	s_nop 0
	;; [unrolled: 6-line block ×4, first 2 shown]
	v_mov_b32_dpp v9, v5 row_bcast:15 row_mask:0xa bank_mask:0xf
	v_mov_b32_dpp v8, v4 row_bcast:15 row_mask:0xa bank_mask:0xf
	s_and_saveexec_b64 s[16:17], s[2:3]
	s_cbranch_execz .LBB26_88
; %bb.87:                               ;   in Loop: Header=BB26_3 Depth=1
	v_cmp_lt_f64_e32 vcc, v[4:5], v[8:9]
	v_cndmask_b32_e32 v5, v5, v9, vcc
	v_cndmask_b32_e32 v4, v4, v8, vcc
	ds_write_b64 v34, v[4:5]
.LBB26_88:                              ;   in Loop: Header=BB26_3 Depth=1
	s_or_b64 exec, exec, s[16:17]
	s_waitcnt lgkmcnt(0)
	s_barrier
	s_and_saveexec_b64 s[16:17], s[4:5]
	s_cbranch_execz .LBB26_90
; %bb.89:                               ;   in Loop: Header=BB26_3 Depth=1
	ds_read2_b64 v[8:11], v32 offset1:16
	s_waitcnt lgkmcnt(0)
	v_cmp_lt_f64_e32 vcc, v[8:9], v[10:11]
	v_cndmask_b32_e32 v5, v9, v11, vcc
	v_cndmask_b32_e32 v4, v8, v10, vcc
	ds_write_b64 v32, v[4:5]
.LBB26_90:                              ;   in Loop: Header=BB26_3 Depth=1
	s_or_b64 exec, exec, s[16:17]
	s_waitcnt lgkmcnt(0)
	s_barrier
	s_and_saveexec_b64 s[16:17], s[6:7]
	s_cbranch_execz .LBB26_92
; %bb.91:                               ;   in Loop: Header=BB26_3 Depth=1
	ds_read2_b64 v[8:11], v32 offset1:8
	s_waitcnt lgkmcnt(0)
	v_cmp_lt_f64_e32 vcc, v[8:9], v[10:11]
	v_cndmask_b32_e32 v5, v9, v11, vcc
	v_cndmask_b32_e32 v4, v8, v10, vcc
	ds_write_b64 v32, v[4:5]
.LBB26_92:                              ;   in Loop: Header=BB26_3 Depth=1
	;; [unrolled: 13-line block ×4, first 2 shown]
	s_or_b64 exec, exec, s[16:17]
	s_waitcnt lgkmcnt(0)
	s_barrier
	s_and_saveexec_b64 s[16:17], s[12:13]
	s_cbranch_execz .LBB26_98
; %bb.97:                               ;   in Loop: Header=BB26_3 Depth=1
	ds_read_b128 v[8:11], v7
	s_waitcnt lgkmcnt(0)
	v_cmp_lt_f64_e32 vcc, v[8:9], v[10:11]
	v_cndmask_b32_e32 v5, v9, v11, vcc
	v_cndmask_b32_e32 v4, v8, v10, vcc
	ds_write_b64 v7, v[4:5]
.LBB26_98:                              ;   in Loop: Header=BB26_3 Depth=1
	s_or_b64 exec, exec, s[16:17]
	v_readlane_b32 s16, v48, 10
	v_readlane_b32 s17, v48, 11
	s_waitcnt lgkmcnt(0)
	s_barrier
	ds_read_b64 v[4:5], v7
	s_load_dwordx2 s[16:17], s[16:17], 0x0
	s_waitcnt lgkmcnt(0)
	v_div_scale_f64 v[8:9], s[18:19], s[16:17], s[16:17], v[4:5]
	v_rcp_f64_e32 v[10:11], v[8:9]
	v_div_scale_f64 v[12:13], vcc, v[4:5], s[16:17], v[4:5]
	v_fma_f64 v[14:15], -v[8:9], v[10:11], 1.0
	v_fmac_f64_e32 v[10:11], v[10:11], v[14:15]
	v_fma_f64 v[14:15], -v[8:9], v[10:11], 1.0
	v_fmac_f64_e32 v[10:11], v[10:11], v[14:15]
	v_mul_f64 v[14:15], v[12:13], v[10:11]
	v_fma_f64 v[8:9], -v[8:9], v[14:15], v[12:13]
	v_div_fmas_f64 v[8:9], v[8:9], v[10:11], v[14:15]
	v_div_fixup_f64 v[4:5], v[8:9], s[16:17], v[4:5]
	s_andn2_b64 vcc, exec, s[34:35]
	s_cbranch_vccnz .LBB26_85
.LBB26_99:                              ;   in Loop: Header=BB26_3 Depth=1
	v_mov_b32_dpp v8, v2 row_shr:1 row_mask:0xf bank_mask:0xf
	v_mov_b32_dpp v9, v3 row_shr:1 row_mask:0xf bank_mask:0xf
	v_cmp_lt_f64_e32 vcc, v[2:3], v[8:9]
	v_cndmask_b32_e32 v3, v3, v9, vcc
	v_cndmask_b32_e32 v2, v2, v8, vcc
	s_nop 0
	v_mov_b32_dpp v9, v3 row_shr:2 row_mask:0xf bank_mask:0xf
	v_mov_b32_dpp v8, v2 row_shr:2 row_mask:0xf bank_mask:0xf
	v_cmp_lt_f64_e32 vcc, v[2:3], v[8:9]
	v_cndmask_b32_e32 v3, v3, v9, vcc
	v_cndmask_b32_e32 v2, v2, v8, vcc
	s_nop 0
	;; [unrolled: 6-line block ×4, first 2 shown]
	v_mov_b32_dpp v9, v3 row_bcast:15 row_mask:0xa bank_mask:0xf
	v_mov_b32_dpp v8, v2 row_bcast:15 row_mask:0xa bank_mask:0xf
	s_and_saveexec_b64 s[16:17], s[2:3]
	s_cbranch_execz .LBB26_101
; %bb.100:                              ;   in Loop: Header=BB26_3 Depth=1
	v_cmp_lt_f64_e32 vcc, v[2:3], v[8:9]
	v_cndmask_b32_e32 v3, v3, v9, vcc
	v_cndmask_b32_e32 v2, v2, v8, vcc
	ds_write_b64 v34, v[2:3]
.LBB26_101:                             ;   in Loop: Header=BB26_3 Depth=1
	s_or_b64 exec, exec, s[16:17]
	s_waitcnt lgkmcnt(0)
	s_barrier
	s_and_saveexec_b64 s[16:17], s[4:5]
	s_cbranch_execz .LBB26_103
; %bb.102:                              ;   in Loop: Header=BB26_3 Depth=1
	ds_read2_b64 v[8:11], v32 offset1:16
	s_waitcnt lgkmcnt(0)
	v_cmp_lt_f64_e32 vcc, v[8:9], v[10:11]
	v_cndmask_b32_e32 v3, v9, v11, vcc
	v_cndmask_b32_e32 v2, v8, v10, vcc
	ds_write_b64 v32, v[2:3]
.LBB26_103:                             ;   in Loop: Header=BB26_3 Depth=1
	s_or_b64 exec, exec, s[16:17]
	s_waitcnt lgkmcnt(0)
	s_barrier
	s_and_saveexec_b64 s[16:17], s[6:7]
	s_cbranch_execz .LBB26_105
; %bb.104:                              ;   in Loop: Header=BB26_3 Depth=1
	ds_read2_b64 v[8:11], v32 offset1:8
	s_waitcnt lgkmcnt(0)
	v_cmp_lt_f64_e32 vcc, v[8:9], v[10:11]
	v_cndmask_b32_e32 v3, v9, v11, vcc
	v_cndmask_b32_e32 v2, v8, v10, vcc
	ds_write_b64 v32, v[2:3]
.LBB26_105:                             ;   in Loop: Header=BB26_3 Depth=1
	;; [unrolled: 13-line block ×4, first 2 shown]
	s_or_b64 exec, exec, s[16:17]
	s_waitcnt lgkmcnt(0)
	s_barrier
	s_and_saveexec_b64 s[16:17], s[12:13]
	s_cbranch_execz .LBB26_111
; %bb.110:                              ;   in Loop: Header=BB26_3 Depth=1
	ds_read_b128 v[8:11], v7
	s_waitcnt lgkmcnt(0)
	v_cmp_lt_f64_e32 vcc, v[8:9], v[10:11]
	v_cndmask_b32_e32 v3, v9, v11, vcc
	v_cndmask_b32_e32 v2, v8, v10, vcc
	ds_write_b64 v7, v[2:3]
.LBB26_111:                             ;   in Loop: Header=BB26_3 Depth=1
	s_or_b64 exec, exec, s[16:17]
	v_readlane_b32 s16, v48, 10
	v_readlane_b32 s17, v48, 11
	s_waitcnt lgkmcnt(0)
	s_barrier
	ds_read_b64 v[2:3], v7
	s_load_dwordx2 s[16:17], s[16:17], 0x0
	s_waitcnt lgkmcnt(0)
	v_div_scale_f64 v[8:9], s[18:19], s[16:17], s[16:17], v[2:3]
	v_rcp_f64_e32 v[10:11], v[8:9]
	v_div_scale_f64 v[12:13], vcc, v[2:3], s[16:17], v[2:3]
	v_fma_f64 v[14:15], -v[8:9], v[10:11], 1.0
	v_fmac_f64_e32 v[10:11], v[10:11], v[14:15]
	v_fma_f64 v[14:15], -v[8:9], v[10:11], 1.0
	v_fmac_f64_e32 v[10:11], v[10:11], v[14:15]
	v_mul_f64 v[14:15], v[12:13], v[10:11]
	v_fma_f64 v[8:9], -v[8:9], v[14:15], v[12:13]
	v_div_fmas_f64 v[8:9], v[8:9], v[10:11], v[14:15]
	v_div_fixup_f64 v[2:3], v[8:9], s[16:17], v[2:3]
	s_and_saveexec_b64 s[16:17], s[0:1]
	s_cbranch_execz .LBB26_123
.LBB26_112:                             ;   in Loop: Header=BB26_3 Depth=1
	s_mov_b64 s[18:19], 0
	v_mov_b32_e32 v8, v31
	s_branch .LBB26_114
.LBB26_113:                             ;   in Loop: Header=BB26_114 Depth=2
	s_or_b64 exec, exec, s[80:81]
	v_add_u32_e32 v8, 32, v8
	v_cmp_le_u32_e32 vcc, s31, v8
	s_or_b64 s[18:19], vcc, s[18:19]
	s_andn2_b64 exec, exec, s[18:19]
	s_cbranch_execz .LBB26_123
.LBB26_114:                             ;   Parent Loop BB26_3 Depth=1
                                        ; =>  This Loop Header: Depth=2
                                        ;       Child Loop BB26_117 Depth 3
                                        ;       Child Loop BB26_120 Depth 3
	v_cmp_gt_i32_e32 vcc, s33, v8
	s_and_saveexec_b64 s[80:81], vcc
	s_cbranch_execz .LBB26_113
; %bb.115:                              ;   in Loop: Header=BB26_114 Depth=2
	v_ashrrev_i32_e32 v9, 31, v8
	v_lshlrev_b64 v[10:11], 2, v[8:9]
	v_mov_b32_e32 v6, s37
	v_add_co_u32_e32 v12, vcc, s36, v10
	v_addc_co_u32_e32 v13, vcc, v6, v11, vcc
	global_load_dword v6, v[12:13], off
	v_mov_b32_e32 v13, s39
	v_add_co_u32_e32 v12, vcc, s38, v10
	v_addc_co_u32_e32 v13, vcc, v13, v11, vcc
	global_load_dword v13, v[12:13], off
	s_waitcnt vmcnt(1)
	v_add_u32_e32 v12, v35, v6
	s_waitcnt vmcnt(0)
	v_subrev_u32_e32 v6, s29, v13
	v_cmp_lt_i32_e32 vcc, v12, v6
	s_and_saveexec_b64 s[52:53], vcc
	s_cbranch_execz .LBB26_118
; %bb.116:                              ;   in Loop: Header=BB26_114 Depth=2
	v_ashrrev_i32_e32 v13, 31, v12
	v_lshlrev_b64 v[16:17], 3, v[12:13]
	v_mov_b32_e32 v13, s73
	v_add_co_u32_e32 v14, vcc, s72, v16
	v_addc_co_u32_e32 v15, vcc, v13, v17, vcc
	v_mov_b32_e32 v13, s43
	v_add_co_u32_e32 v16, vcc, s42, v16
	v_addc_co_u32_e32 v17, vcc, v13, v17, vcc
	s_mov_b64 s[54:55], 0
.LBB26_117:                             ;   Parent Loop BB26_3 Depth=1
                                        ;     Parent Loop BB26_114 Depth=2
                                        ; =>    This Inner Loop Header: Depth=3
	global_load_dwordx2 v[18:19], v[14:15], off
	v_add_co_u32_e32 v14, vcc, 0x100, v14
	v_add_u32_e32 v12, 32, v12
	v_addc_co_u32_e32 v15, vcc, 0, v15, vcc
	v_cmp_ge_i32_e32 vcc, v12, v6
	s_or_b64 s[54:55], vcc, s[54:55]
	s_waitcnt vmcnt(0)
	global_store_dwordx2 v[16:17], v[18:19], off
	v_add_co_u32_e32 v16, vcc, 0x100, v16
	v_addc_co_u32_e32 v17, vcc, 0, v17, vcc
	s_andn2_b64 exec, exec, s[54:55]
	s_cbranch_execnz .LBB26_117
.LBB26_118:                             ;   in Loop: Header=BB26_114 Depth=2
	s_or_b64 exec, exec, s[52:53]
	v_mov_b32_e32 v6, s21
	v_add_co_u32_e32 v12, vcc, s20, v10
	v_addc_co_u32_e32 v13, vcc, v6, v11, vcc
	global_load_dword v6, v[12:13], off
	v_mov_b32_e32 v12, s23
	v_add_co_u32_e32 v10, vcc, s22, v10
	v_addc_co_u32_e32 v11, vcc, v12, v11, vcc
	global_load_dword v11, v[10:11], off
	s_waitcnt vmcnt(1)
	v_add_u32_e32 v10, v36, v6
	s_waitcnt vmcnt(0)
	v_subrev_u32_e32 v6, s30, v11
	v_cmp_lt_i32_e32 vcc, v10, v6
	s_and_saveexec_b64 s[52:53], vcc
	s_cbranch_execz .LBB26_121
; %bb.119:                              ;   in Loop: Header=BB26_114 Depth=2
	v_ashrrev_i32_e32 v11, 31, v10
	v_lshlrev_b64 v[14:15], 3, v[10:11]
	v_mov_b32_e32 v11, s75
	v_add_co_u32_e32 v12, vcc, s74, v14
	v_addc_co_u32_e32 v13, vcc, v11, v15, vcc
	v_mov_b32_e32 v11, s27
	v_add_co_u32_e32 v14, vcc, s26, v14
	v_addc_co_u32_e32 v15, vcc, v11, v15, vcc
	s_mov_b64 s[54:55], 0
.LBB26_120:                             ;   Parent Loop BB26_3 Depth=1
                                        ;     Parent Loop BB26_114 Depth=2
                                        ; =>    This Inner Loop Header: Depth=3
	global_load_dwordx2 v[16:17], v[12:13], off
	v_add_co_u32_e32 v12, vcc, 0x100, v12
	v_add_u32_e32 v10, 32, v10
	v_addc_co_u32_e32 v13, vcc, 0, v13, vcc
	v_cmp_ge_i32_e32 vcc, v10, v6
	s_or_b64 s[54:55], vcc, s[54:55]
	s_waitcnt vmcnt(0)
	global_store_dwordx2 v[14:15], v[16:17], off
	v_add_co_u32_e32 v14, vcc, 0x100, v14
	v_addc_co_u32_e32 v15, vcc, 0, v15, vcc
	s_andn2_b64 exec, exec, s[54:55]
	s_cbranch_execnz .LBB26_120
.LBB26_121:                             ;   in Loop: Header=BB26_114 Depth=2
	s_or_b64 exec, exec, s[52:53]
	s_and_b64 exec, exec, s[14:15]
	s_cbranch_execz .LBB26_113
; %bb.122:                              ;   in Loop: Header=BB26_114 Depth=2
	v_lshlrev_b64 v[10:11], 3, v[8:9]
	v_mov_b32_e32 v6, s59
	v_add_co_u32_e32 v12, vcc, s58, v10
	v_addc_co_u32_e32 v13, vcc, v6, v11, vcc
	global_load_dwordx2 v[12:13], v[12:13], off
	v_mov_b32_e32 v6, s57
	v_add_co_u32_e32 v10, vcc, s56, v10
	v_addc_co_u32_e32 v11, vcc, v6, v11, vcc
	s_waitcnt vmcnt(0)
	global_store_dwordx2 v[10:11], v[12:13], off
	s_branch .LBB26_113
.LBB26_123:                             ;   in Loop: Header=BB26_3 Depth=1
	s_or_b64 exec, exec, s[16:17]
	s_mov_b64 s[18:19], -1
	s_mov_b64 s[16:17], -1
	s_and_b64 vcc, exec, s[62:63]
	s_cbranch_vccz .LBB26_133
; %bb.124:                              ;   in Loop: Header=BB26_3 Depth=1
	s_and_b64 vcc, exec, s[78:79]
                                        ; implicit-def: $sgpr52_sgpr53
	s_cbranch_vccz .LBB26_130
; %bb.125:                              ;   in Loop: Header=BB26_3 Depth=1
	v_readlane_b32 s52, v48, 12
	v_readlane_b32 s53, v48, 13
	s_and_b64 vcc, exec, s[52:53]
                                        ; implicit-def: $sgpr52_sgpr53
	s_cbranch_vccz .LBB26_127
; %bb.126:                              ;   in Loop: Header=BB26_3 Depth=1
	v_readlane_b32 s52, v48, 0
	v_readlane_b32 s54, v48, 2
	v_readlane_b32 s55, v48, 3
	v_readlane_b32 s53, v48, 1
	v_cmp_ge_f64_e32 vcc, s[54:55], v[2:3]
	s_mov_b64 s[16:17], 0
	s_and_b64 s[52:53], vcc, exec
.LBB26_127:                             ;   in Loop: Header=BB26_3 Depth=1
	s_andn2_b64 vcc, exec, s[16:17]
	s_cbranch_vccnz .LBB26_129
; %bb.128:                              ;   in Loop: Header=BB26_3 Depth=1
	v_readlane_b32 s80, v48, 0
	v_readlane_b32 s82, v48, 2
	;; [unrolled: 1-line block ×3, first 2 shown]
	v_cmp_ge_f64_e32 vcc, s[82:83], v[4:5]
	s_andn2_b64 s[16:17], s[52:53], exec
	s_and_b64 s[52:53], vcc, exec
	s_or_b64 s[52:53], s[16:17], s[52:53]
	v_readlane_b32 s81, v48, 1
.LBB26_129:                             ;   in Loop: Header=BB26_3 Depth=1
	s_mov_b64 s[16:17], 0
.LBB26_130:                             ;   in Loop: Header=BB26_3 Depth=1
	s_andn2_b64 vcc, exec, s[16:17]
	s_cbranch_vccnz .LBB26_132
; %bb.131:                              ;   in Loop: Header=BB26_3 Depth=1
	v_readlane_b32 s80, v48, 0
	v_readlane_b32 s82, v48, 2
	;; [unrolled: 1-line block ×3, first 2 shown]
	v_cmp_ge_f64_e32 vcc, s[82:83], v[4:5]
	v_cmp_ge_f64_e64 s[16:17], s[82:83], v[2:3]
	s_and_b64 s[16:17], vcc, s[16:17]
	s_andn2_b64 s[52:53], s[52:53], exec
	s_and_b64 s[16:17], s[16:17], exec
	s_or_b64 s[52:53], s[52:53], s[16:17]
	v_readlane_b32 s81, v48, 1
.LBB26_132:                             ;   in Loop: Header=BB26_3 Depth=1
	s_xor_b64 s[16:17], s[52:53], -1
.LBB26_133:                             ;   in Loop: Header=BB26_3 Depth=1
	v_mov_b32_e32 v6, s64
	s_and_saveexec_b64 s[52:53], s[16:17]
	s_cbranch_execz .LBB26_2
; %bb.134:                              ;   in Loop: Header=BB26_3 Depth=1
	s_add_i32 s64, s64, 1
	s_cmp_eq_u32 s64, s65
	s_cselect_b64 s[16:17], -1, 0
	v_mov_b32_e32 v6, s65
	s_orn2_b64 s[18:19], s[16:17], exec
	s_branch .LBB26_2
.LBB26_135:
	s_or_b64 exec, exec, s[76:77]
	v_readlane_b32 s20, v48, 6
	v_readlane_b32 s21, v48, 7
	;; [unrolled: 1-line block ×4, first 2 shown]
.LBB26_136:
	v_readlane_b32 s0, v48, 4
	v_readlane_b32 s1, v48, 5
	s_or_b64 exec, exec, s[0:1]
	s_andn2_b64 vcc, exec, s[62:63]
	s_cbranch_vccnz .LBB26_153
; %bb.137:
	v_mov_b32_dpp v7, v6 row_shr:1 row_mask:0xf bank_mask:0xf
	v_max_i32_e32 v6, v6, v7
	v_cmp_eq_u32_e32 vcc, 31, v30
	s_nop 0
	v_mov_b32_dpp v7, v6 row_shr:2 row_mask:0xf bank_mask:0xf
	v_max_i32_e32 v6, v6, v7
	s_nop 1
	v_mov_b32_dpp v7, v6 row_shr:4 row_mask:0xf bank_mask:0xe
	v_max_i32_e32 v6, v6, v7
	s_nop 1
	v_mov_b32_dpp v7, v6 row_shr:8 row_mask:0xf bank_mask:0xc
	v_max_i32_e32 v6, v6, v7
	s_nop 1
	v_mov_b32_dpp v7, v6 row_bcast:15 row_mask:0xa bank_mask:0xf
	s_and_saveexec_b64 s[0:1], vcc
	s_cbranch_execz .LBB26_139
; %bb.138:
	v_lshlrev_b32_e32 v1, 2, v1
	v_max_i32_e32 v6, v6, v7
	ds_write_b32 v1, v6 offset:256
.LBB26_139:
	s_or_b64 exec, exec, s[0:1]
	v_cmp_gt_u32_e32 vcc, 16, v0
	v_lshlrev_b32_e32 v1, 2, v0
	s_waitcnt lgkmcnt(0)
	s_barrier
	s_and_saveexec_b64 s[0:1], vcc
	s_cbranch_execz .LBB26_141
; %bb.140:
	ds_read2_b32 v[6:7], v1 offset0:64 offset1:80
	s_waitcnt lgkmcnt(0)
	v_max_i32_e32 v6, v6, v7
	ds_write_b32 v1, v6 offset:256
.LBB26_141:
	s_or_b64 exec, exec, s[0:1]
	v_cmp_gt_u32_e32 vcc, 8, v0
	s_waitcnt lgkmcnt(0)
	s_barrier
	s_and_saveexec_b64 s[0:1], vcc
	s_cbranch_execz .LBB26_143
; %bb.142:
	ds_read2_b32 v[6:7], v1 offset0:64 offset1:72
	s_waitcnt lgkmcnt(0)
	v_max_i32_e32 v6, v6, v7
	ds_write_b32 v1, v6 offset:256
.LBB26_143:
	s_or_b64 exec, exec, s[0:1]
	v_cmp_gt_u32_e32 vcc, 4, v0
	;; [unrolled: 12-line block ×3, first 2 shown]
	s_waitcnt lgkmcnt(0)
	s_barrier
	s_and_saveexec_b64 s[0:1], vcc
	s_cbranch_execz .LBB26_147
; %bb.146:
	ds_read2_b32 v[6:7], v1 offset0:64 offset1:66
	s_waitcnt lgkmcnt(0)
	v_max_i32_e32 v6, v6, v7
	ds_write_b32 v1, v6 offset:256
.LBB26_147:
	s_or_b64 exec, exec, s[0:1]
	v_cmp_eq_u32_e32 vcc, 0, v0
	s_waitcnt lgkmcnt(0)
	s_barrier
	s_and_saveexec_b64 s[0:1], vcc
	s_cbranch_execz .LBB26_149
; %bb.148:
	v_mov_b32_e32 v1, 0
	ds_read_b64 v[6:7], v1 offset:256
	s_waitcnt lgkmcnt(0)
	v_max_i32_e32 v6, v6, v7
	ds_write_b32 v1, v6 offset:256
.LBB26_149:
	s_or_b64 exec, exec, s[0:1]
	s_waitcnt lgkmcnt(0)
	s_barrier
	s_and_saveexec_b64 s[0:1], vcc
	s_cbranch_execz .LBB26_152
; %bb.150:
	v_mbcnt_lo_u32_b32 v1, exec_lo, 0
	v_mbcnt_hi_u32_b32 v1, exec_hi, v1
	v_cmp_eq_u32_e32 vcc, 0, v1
	s_and_b64 exec, exec, vcc
	s_cbranch_execz .LBB26_152
; %bb.151:
	v_mov_b32_e32 v1, 0
	ds_read_b32 v6, v1 offset:256
	v_readlane_b32 s4, v48, 0
	v_readlane_b32 s5, v48, 1
	;; [unrolled: 1-line block ×4, first 2 shown]
	s_waitcnt lgkmcnt(0)
	v_add_u32_e32 v6, 1, v6
	s_nop 0
	global_atomic_smax v1, v6, s[4:5]
.LBB26_152:
	s_or_b64 exec, exec, s[0:1]
.LBB26_153:
	v_cmp_eq_u32_e32 vcc, 0, v0
	s_mov_b32 s0, 0
	s_and_b64 s[2:3], vcc, s[60:61]
	s_and_saveexec_b64 s[4:5], s[2:3]
	s_cbranch_execz .LBB26_158
; %bb.154:
	v_mov_b32_e32 v0, 0
	global_load_dwordx2 v[6:7], v0, s[20:21] glc
	s_brev_b32 s1, 1
	s_mov_b64 s[6:7], 0
                                        ; implicit-def: $sgpr8_sgpr9
                                        ; implicit-def: $sgpr10_sgpr11
	s_waitcnt vmcnt(0)
	v_cmp_eq_u64_e64 s[12:13], s[0:1], v[6:7]
	v_cmp_eq_f64_e64 s[0:1], 0, v[4:5]
	s_branch .LBB26_156
.LBB26_155:                             ;   in Loop: Header=BB26_156 Depth=1
	s_or_b64 exec, exec, s[14:15]
	s_and_b64 s[2:3], exec, s[8:9]
	s_or_b64 s[6:7], s[2:3], s[6:7]
	s_andn2_b64 s[2:3], s[12:13], exec
	s_and_b64 s[12:13], s[10:11], exec
	s_or_b64 s[12:13], s[2:3], s[12:13]
	s_andn2_b64 exec, exec, s[6:7]
	s_cbranch_execz .LBB26_158
.LBB26_156:                             ; =>This Inner Loop Header: Depth=1
	v_cmp_lt_f64_e64 s[2:3], v[6:7], v[4:5]
	s_and_b64 s[14:15], s[0:1], s[12:13]
	s_or_b64 s[2:3], s[2:3], s[14:15]
	s_andn2_b64 s[10:11], s[10:11], exec
	s_or_b64 s[8:9], s[8:9], exec
	s_and_saveexec_b64 s[14:15], s[2:3]
	s_cbranch_execz .LBB26_155
; %bb.157:                              ;   in Loop: Header=BB26_156 Depth=1
	global_atomic_cmpswap_x2 v[8:9], v0, v[4:7], s[20:21] glc
	s_andn2_b64 s[8:9], s[8:9], exec
	s_andn2_b64 s[10:11], s[10:11], exec
                                        ; implicit-def: $sgpr12_sgpr13
	s_waitcnt vmcnt(0)
	v_cmp_eq_u64_e64 s[2:3], v[8:9], v[6:7]
	v_cndmask_b32_e64 v7, v9, v7, s[2:3]
	v_cndmask_b32_e64 v6, v8, v6, s[2:3]
	s_and_b64 s[2:3], s[2:3], exec
	v_cmp_class_f64_e64 s[16:17], v[6:7], 32
	s_or_b64 s[8:9], s[8:9], s[2:3]
	s_and_b64 s[2:3], s[16:17], exec
	s_or_b64 s[10:11], s[10:11], s[2:3]
	v_pk_mov_b32 v[6:7], v[8:9], v[8:9] op_sel:[0,1]
	s_branch .LBB26_155
.LBB26_158:
	s_or_b64 exec, exec, s[4:5]
	s_and_b64 s[0:1], vcc, s[34:35]
	s_and_saveexec_b64 s[2:3], s[0:1]
	s_cbranch_execz .LBB26_163
; %bb.159:
	v_mov_b32_e32 v0, 0
	global_load_dwordx2 v[4:5], v0, s[22:23] glc
	s_mov_b32 s0, 0
	s_brev_b32 s1, 1
	s_mov_b64 s[2:3], 0
	v_cmp_eq_f64_e32 vcc, 0, v[2:3]
                                        ; implicit-def: $sgpr4_sgpr5
                                        ; implicit-def: $sgpr6_sgpr7
	s_waitcnt vmcnt(0)
	v_cmp_eq_u64_e64 s[8:9], s[0:1], v[4:5]
	s_branch .LBB26_161
.LBB26_160:                             ;   in Loop: Header=BB26_161 Depth=1
	s_or_b64 exec, exec, s[10:11]
	s_and_b64 s[0:1], exec, s[4:5]
	s_or_b64 s[2:3], s[0:1], s[2:3]
	s_andn2_b64 s[0:1], s[8:9], exec
	s_and_b64 s[8:9], s[6:7], exec
	s_or_b64 s[8:9], s[0:1], s[8:9]
	s_andn2_b64 exec, exec, s[2:3]
	s_cbranch_execz .LBB26_163
.LBB26_161:                             ; =>This Inner Loop Header: Depth=1
	v_cmp_lt_f64_e64 s[0:1], v[4:5], v[2:3]
	s_and_b64 s[10:11], vcc, s[8:9]
	s_or_b64 s[0:1], s[0:1], s[10:11]
	s_andn2_b64 s[6:7], s[6:7], exec
	s_or_b64 s[4:5], s[4:5], exec
	s_and_saveexec_b64 s[10:11], s[0:1]
	s_cbranch_execz .LBB26_160
; %bb.162:                              ;   in Loop: Header=BB26_161 Depth=1
	global_atomic_cmpswap_x2 v[6:7], v0, v[2:5], s[22:23] glc
	s_andn2_b64 s[4:5], s[4:5], exec
	s_andn2_b64 s[6:7], s[6:7], exec
                                        ; implicit-def: $sgpr8_sgpr9
	s_waitcnt vmcnt(0)
	v_cmp_eq_u64_e64 s[0:1], v[6:7], v[4:5]
	v_cndmask_b32_e64 v5, v7, v5, s[0:1]
	v_cndmask_b32_e64 v4, v6, v4, s[0:1]
	s_and_b64 s[0:1], s[0:1], exec
	v_cmp_class_f64_e64 s[12:13], v[4:5], 32
	s_or_b64 s[4:5], s[4:5], s[0:1]
	s_and_b64 s[0:1], s[12:13], exec
	s_or_b64 s[6:7], s[6:7], s[0:1]
	v_pk_mov_b32 v[4:5], v[6:7], v[6:7] op_sel:[0,1]
	s_branch .LBB26_160
.LBB26_163:
	s_endpgm
	.section	.rodata,"a",@progbits
	.p2align	6, 0x0
	.amdhsa_kernel _ZN9rocsparseL6kernelILi1024ELi32EdiiEEvbbbT3_PS1_NS_15floating_traitsIT1_E6data_tES1_T2_PKS7_S9_PKS1_PKS4_21rocsparse_index_base_S9_S9_SB_PS4_SF_SE_S9_S9_SB_SF_SF_SE_SF_SF_PS6_SG_PKS6_
		.amdhsa_group_segment_fixed_size 384
		.amdhsa_private_segment_fixed_size 0
		.amdhsa_kernarg_size 208
		.amdhsa_user_sgpr_count 6
		.amdhsa_user_sgpr_private_segment_buffer 1
		.amdhsa_user_sgpr_dispatch_ptr 0
		.amdhsa_user_sgpr_queue_ptr 0
		.amdhsa_user_sgpr_kernarg_segment_ptr 1
		.amdhsa_user_sgpr_dispatch_id 0
		.amdhsa_user_sgpr_flat_scratch_init 0
		.amdhsa_user_sgpr_kernarg_preload_length 0
		.amdhsa_user_sgpr_kernarg_preload_offset 0
		.amdhsa_user_sgpr_private_segment_size 0
		.amdhsa_uses_dynamic_stack 0
		.amdhsa_system_sgpr_private_segment_wavefront_offset 0
		.amdhsa_system_sgpr_workgroup_id_x 1
		.amdhsa_system_sgpr_workgroup_id_y 0
		.amdhsa_system_sgpr_workgroup_id_z 0
		.amdhsa_system_sgpr_workgroup_info 0
		.amdhsa_system_vgpr_workitem_id 0
		.amdhsa_next_free_vgpr 49
		.amdhsa_next_free_sgpr 96
		.amdhsa_accum_offset 52
		.amdhsa_reserve_vcc 1
		.amdhsa_reserve_flat_scratch 0
		.amdhsa_float_round_mode_32 0
		.amdhsa_float_round_mode_16_64 0
		.amdhsa_float_denorm_mode_32 3
		.amdhsa_float_denorm_mode_16_64 3
		.amdhsa_dx10_clamp 1
		.amdhsa_ieee_mode 1
		.amdhsa_fp16_overflow 0
		.amdhsa_tg_split 0
		.amdhsa_exception_fp_ieee_invalid_op 0
		.amdhsa_exception_fp_denorm_src 0
		.amdhsa_exception_fp_ieee_div_zero 0
		.amdhsa_exception_fp_ieee_overflow 0
		.amdhsa_exception_fp_ieee_underflow 0
		.amdhsa_exception_fp_ieee_inexact 0
		.amdhsa_exception_int_div_zero 0
	.end_amdhsa_kernel
	.section	.text._ZN9rocsparseL6kernelILi1024ELi32EdiiEEvbbbT3_PS1_NS_15floating_traitsIT1_E6data_tES1_T2_PKS7_S9_PKS1_PKS4_21rocsparse_index_base_S9_S9_SB_PS4_SF_SE_S9_S9_SB_SF_SF_SE_SF_SF_PS6_SG_PKS6_,"axG",@progbits,_ZN9rocsparseL6kernelILi1024ELi32EdiiEEvbbbT3_PS1_NS_15floating_traitsIT1_E6data_tES1_T2_PKS7_S9_PKS1_PKS4_21rocsparse_index_base_S9_S9_SB_PS4_SF_SE_S9_S9_SB_SF_SF_SE_SF_SF_PS6_SG_PKS6_,comdat
.Lfunc_end26:
	.size	_ZN9rocsparseL6kernelILi1024ELi32EdiiEEvbbbT3_PS1_NS_15floating_traitsIT1_E6data_tES1_T2_PKS7_S9_PKS1_PKS4_21rocsparse_index_base_S9_S9_SB_PS4_SF_SE_S9_S9_SB_SF_SF_SE_SF_SF_PS6_SG_PKS6_, .Lfunc_end26-_ZN9rocsparseL6kernelILi1024ELi32EdiiEEvbbbT3_PS1_NS_15floating_traitsIT1_E6data_tES1_T2_PKS7_S9_PKS1_PKS4_21rocsparse_index_base_S9_S9_SB_PS4_SF_SE_S9_S9_SB_SF_SF_SE_SF_SF_PS6_SG_PKS6_
                                        ; -- End function
	.section	.AMDGPU.csdata,"",@progbits
; Kernel info:
; codeLenInByte = 5668
; NumSgprs: 100
; NumVgprs: 49
; NumAgprs: 0
; TotalNumVgprs: 49
; ScratchSize: 0
; MemoryBound: 1
; FloatMode: 240
; IeeeMode: 1
; LDSByteSize: 384 bytes/workgroup (compile time only)
; SGPRBlocks: 12
; VGPRBlocks: 6
; NumSGPRsForWavesPerEU: 100
; NumVGPRsForWavesPerEU: 49
; AccumOffset: 52
; Occupancy: 8
; WaveLimiterHint : 1
; COMPUTE_PGM_RSRC2:SCRATCH_EN: 0
; COMPUTE_PGM_RSRC2:USER_SGPR: 6
; COMPUTE_PGM_RSRC2:TRAP_HANDLER: 0
; COMPUTE_PGM_RSRC2:TGID_X_EN: 1
; COMPUTE_PGM_RSRC2:TGID_Y_EN: 0
; COMPUTE_PGM_RSRC2:TGID_Z_EN: 0
; COMPUTE_PGM_RSRC2:TIDIG_COMP_CNT: 0
; COMPUTE_PGM_RSRC3_GFX90A:ACCUM_OFFSET: 12
; COMPUTE_PGM_RSRC3_GFX90A:TG_SPLIT: 0
	.section	.text._ZN9rocsparseL6kernelILi1024ELi64EdiiEEvbbbT3_PS1_NS_15floating_traitsIT1_E6data_tES1_T2_PKS7_S9_PKS1_PKS4_21rocsparse_index_base_S9_S9_SB_PS4_SF_SE_S9_S9_SB_SF_SF_SE_SF_SF_PS6_SG_PKS6_,"axG",@progbits,_ZN9rocsparseL6kernelILi1024ELi64EdiiEEvbbbT3_PS1_NS_15floating_traitsIT1_E6data_tES1_T2_PKS7_S9_PKS1_PKS4_21rocsparse_index_base_S9_S9_SB_PS4_SF_SE_S9_S9_SB_SF_SF_SE_SF_SF_PS6_SG_PKS6_,comdat
	.globl	_ZN9rocsparseL6kernelILi1024ELi64EdiiEEvbbbT3_PS1_NS_15floating_traitsIT1_E6data_tES1_T2_PKS7_S9_PKS1_PKS4_21rocsparse_index_base_S9_S9_SB_PS4_SF_SE_S9_S9_SB_SF_SF_SE_SF_SF_PS6_SG_PKS6_ ; -- Begin function _ZN9rocsparseL6kernelILi1024ELi64EdiiEEvbbbT3_PS1_NS_15floating_traitsIT1_E6data_tES1_T2_PKS7_S9_PKS1_PKS4_21rocsparse_index_base_S9_S9_SB_PS4_SF_SE_S9_S9_SB_SF_SF_SE_SF_SF_PS6_SG_PKS6_
	.p2align	8
	.type	_ZN9rocsparseL6kernelILi1024ELi64EdiiEEvbbbT3_PS1_NS_15floating_traitsIT1_E6data_tES1_T2_PKS7_S9_PKS1_PKS4_21rocsparse_index_base_S9_S9_SB_PS4_SF_SE_S9_S9_SB_SF_SF_SE_SF_SF_PS6_SG_PKS6_,@function
_ZN9rocsparseL6kernelILi1024ELi64EdiiEEvbbbT3_PS1_NS_15floating_traitsIT1_E6data_tES1_T2_PKS7_S9_PKS1_PKS4_21rocsparse_index_base_S9_S9_SB_PS4_SF_SE_S9_S9_SB_SF_SF_SE_SF_SF_PS6_SG_PKS6_: ; @_ZN9rocsparseL6kernelILi1024ELi64EdiiEEvbbbT3_PS1_NS_15floating_traitsIT1_E6data_tES1_T2_PKS7_S9_PKS1_PKS4_21rocsparse_index_base_S9_S9_SB_PS4_SF_SE_S9_S9_SB_SF_SF_SE_SF_SF_PS6_SG_PKS6_
; %bb.0:
	s_load_dword s0, s[4:5], 0x0
	s_load_dwordx2 s[62:63], s[4:5], 0x0
	s_load_dwordx4 s[20:23], s[4:5], 0xb8
	s_load_dwordx4 s[8:11], s[4:5], 0x8
	s_load_dword s33, s[4:5], 0x18
	s_waitcnt lgkmcnt(0)
	s_bitcmp1_b32 s0, 0
	s_cselect_b64 s[60:61], -1, 0
	s_bitcmp1_b32 s0, 8
                                        ; implicit-def: $vgpr48 : SGPR spill to VGPR lane
	s_cselect_b64 s[34:35], -1, 0
	s_bitcmp1_b32 s62, 16
	v_writelane_b32 v48, s8, 0
	s_cselect_b64 s[18:19], -1, 0
	v_lshrrev_b32_e32 v1, 6, v0
	s_lshl_b32 s29, s6, 10
	v_writelane_b32 v48, s9, 1
	v_or_b32_e32 v31, s29, v1
	v_mov_b32_e32 v6, 0
	s_cmp_gt_i32 s63, 0
	v_pk_mov_b32 v[2:3], 0, 0
	v_writelane_b32 v48, s10, 2
	v_and_b32_e32 v30, 63, v0
	v_lshlrev_b32_e32 v32, 3, v0
	s_mov_b32 s54, 0
	v_mov_b32_e32 v7, v6
	v_cmp_gt_i32_e32 vcc, s33, v31
	s_cselect_b64 s[0:1], -1, 0
	v_pk_mov_b32 v[4:5], v[2:3], v[2:3] op_sel:[0,1]
	v_writelane_b32 v48, s11, 3
	ds_write_b64 v32, v[6:7]
	s_waitcnt lgkmcnt(0)
	s_barrier
	s_and_b64 s[0:1], s[0:1], vcc
	s_mov_b64 s[2:3], exec
	v_writelane_b32 v48, s2, 4
	s_and_b64 s[0:1], s[2:3], s[0:1]
	v_writelane_b32 v48, s3, 5
	s_mov_b64 exec, s[0:1]
	s_cbranch_execz .LBB27_132
; %bb.1:
	v_writelane_b32 v48, s20, 6
	v_writelane_b32 v48, s21, 7
	;; [unrolled: 1-line block ×4, first 2 shown]
	s_load_dwordx2 s[66:67], s[4:5], 0xc8
	s_load_dwordx4 s[56:59], s[4:5], 0xa8
	s_load_dwordx8 s[20:27], s[4:5], 0x78
	s_load_dwordx8 s[36:43], s[4:5], 0x48
	;; [unrolled: 1-line block ×3, first 2 shown]
	s_load_dword s55, s[4:5], 0x40
	s_load_dwordx2 s[70:71], s[4:5], 0x68
	s_load_dword s62, s[4:5], 0x70
	s_load_dwordx2 s[72:73], s[4:5], 0x98
	s_load_dword s28, s[4:5], 0xa0
	s_xor_b64 s[0:1], s[34:35], -1
	v_writelane_b32 v48, s0, 10
	s_addk_i32 s29, 0x400
	s_and_b64 s[14:15], s[34:35], s[18:19]
	v_pk_mov_b32 v[4:5], 0, 0
	v_writelane_b32 v48, s1, 11
	s_waitcnt lgkmcnt(0)
	v_subrev_u32_e32 v33, s55, v30
	v_cmp_gt_u32_e64 s[0:1], s29, v31
	v_cmp_eq_u32_e64 s[2:3], 63, v30
	v_lshlrev_b32_e32 v34, 3, v1
	v_cmp_gt_u32_e64 s[4:5], 8, v0
	v_cmp_gt_u32_e64 s[6:7], 4, v0
	;; [unrolled: 1-line block ×3, first 2 shown]
	v_cmp_eq_u32_e64 s[10:11], 0, v0
	v_subrev_u32_e32 v35, s62, v30
	v_subrev_u32_e32 v36, s28, v30
	v_cmp_eq_u32_e64 s[12:13], 0, v30
	s_xor_b64 s[76:77], s[14:15], -1
	s_mov_b64 s[74:75], 0
	s_movk_i32 s30, 0x1f8
	v_mov_b32_e32 v7, 0
	v_pk_mov_b32 v[2:3], v[4:5], v[4:5] op_sel:[0,1]
	s_branch .LBB27_3
.LBB27_2:                               ;   in Loop: Header=BB27_3 Depth=1
	s_or_b64 exec, exec, s[52:53]
	s_and_b64 s[14:15], exec, s[16:17]
	s_or_b64 s[74:75], s[14:15], s[74:75]
	s_andn2_b64 exec, exec, s[74:75]
	s_cbranch_execz .LBB27_131
.LBB27_3:                               ; =>This Loop Header: Depth=1
                                        ;     Child Loop BB27_7 Depth 2
                                        ;       Child Loop BB27_12 Depth 3
                                        ;         Child Loop BB27_16 Depth 4
                                        ;         Child Loop BB27_37 Depth 4
	;; [unrolled: 1-line block ×5, first 2 shown]
                                        ;     Child Loop BB27_110 Depth 2
                                        ;       Child Loop BB27_113 Depth 3
                                        ;       Child Loop BB27_116 Depth 3
	s_mov_b32 s31, 0
	v_cndmask_b32_e64 v5, v5, 0, s[34:35]
	v_cndmask_b32_e64 v4, v4, 0, s[34:35]
	;; [unrolled: 1-line block ×4, first 2 shown]
	s_branch .LBB27_7
.LBB27_4:                               ;   in Loop: Header=BB27_7 Depth=2
	s_or_b64 exec, exec, s[82:83]
.LBB27_5:                               ;   in Loop: Header=BB27_7 Depth=2
	s_or_b64 exec, exec, s[80:81]
.LBB27_6:                               ;   in Loop: Header=BB27_7 Depth=2
	s_or_b64 exec, exec, s[78:79]
	s_add_i32 s31, s31, 1
	s_cmp_eq_u32 s31, 64
	s_cbranch_scc1 .LBB27_83
.LBB27_7:                               ;   Parent Loop BB27_3 Depth=1
                                        ; =>  This Loop Header: Depth=2
                                        ;       Child Loop BB27_12 Depth 3
                                        ;         Child Loop BB27_16 Depth 4
                                        ;         Child Loop BB27_37 Depth 4
	;; [unrolled: 1-line block ×5, first 2 shown]
	v_lshl_add_u32 v8, s31, 4, v31
	v_cmp_gt_i32_e32 vcc, s33, v8
	s_and_saveexec_b64 s[78:79], vcc
	s_cbranch_execz .LBB27_6
; %bb.8:                                ;   in Loop: Header=BB27_7 Depth=2
	v_ashrrev_i32_e32 v9, 31, v8
	v_lshlrev_b64 v[12:13], 2, v[8:9]
	v_mov_b32_e32 v6, s45
	v_add_co_u32_e32 v10, vcc, s44, v12
	v_addc_co_u32_e32 v11, vcc, v6, v13, vcc
	global_load_dword v6, v[10:11], off
	v_mov_b32_e32 v9, s47
	v_add_co_u32_e32 v10, vcc, s46, v12
	v_addc_co_u32_e32 v11, vcc, v9, v13, vcc
	global_load_dword v9, v[10:11], off
	s_waitcnt vmcnt(1)
	v_add_u32_e32 v10, v33, v6
	s_waitcnt vmcnt(0)
	v_subrev_u32_e32 v9, s55, v9
	v_cmp_lt_i32_e32 vcc, v10, v9
	s_and_saveexec_b64 s[80:81], vcc
	s_cbranch_execz .LBB27_5
; %bb.9:                                ;   in Loop: Header=BB27_7 Depth=2
	v_mov_b32_e32 v6, s39
	v_add_co_u32_e32 v14, vcc, s38, v12
	v_addc_co_u32_e32 v15, vcc, v6, v13, vcc
	v_mov_b32_e32 v6, s37
	v_add_co_u32_e32 v12, vcc, s36, v12
	v_addc_co_u32_e32 v13, vcc, v6, v13, vcc
	global_load_dword v6, v[12:13], off
	global_load_dword v11, v[14:15], off
	v_mov_b32_e32 v18, s41
	v_mov_b32_e32 v19, s43
	s_mov_b64 s[82:83], 0
	s_waitcnt vmcnt(1)
	v_subrev_u32_e32 v12, s62, v6
	v_ashrrev_i32_e32 v13, 31, v12
	v_lshlrev_b64 v[14:15], 2, v[12:13]
	v_lshlrev_b64 v[16:17], 3, v[12:13]
	v_add_co_u32_e32 v13, vcc, s40, v14
	v_addc_co_u32_e32 v38, vcc, v18, v15, vcc
	s_waitcnt vmcnt(0)
	v_sub_u32_e32 v37, v11, v6
	v_add_co_u32_e32 v39, vcc, s42, v16
	v_cmp_lt_i32_e64 s[14:15], 0, v37
	v_addc_co_u32_e32 v40, vcc, v19, v17, vcc
	s_branch .LBB27_12
.LBB27_10:                              ;   in Loop: Header=BB27_12 Depth=3
	s_or_b64 exec, exec, s[52:53]
.LBB27_11:                              ;   in Loop: Header=BB27_12 Depth=3
	s_or_b64 exec, exec, s[16:17]
	v_add_u32_e32 v10, 64, v10
	v_cmp_ge_i32_e32 vcc, v10, v9
	s_or_b64 s[82:83], vcc, s[82:83]
	s_andn2_b64 exec, exec, s[82:83]
	s_cbranch_execz .LBB27_4
.LBB27_12:                              ;   Parent Loop BB27_3 Depth=1
                                        ;     Parent Loop BB27_7 Depth=2
                                        ; =>    This Loop Header: Depth=3
                                        ;         Child Loop BB27_16 Depth 4
                                        ;         Child Loop BB27_37 Depth 4
	;; [unrolled: 1-line block ×5, first 2 shown]
	v_ashrrev_i32_e32 v11, 31, v10
	v_lshlrev_b64 v[14:15], 2, v[10:11]
	v_mov_b32_e32 v6, s49
	v_add_co_u32_e32 v14, vcc, s48, v14
	v_addc_co_u32_e32 v15, vcc, v6, v15, vcc
	global_load_dword v6, v[14:15], off
	v_mov_b32_e32 v19, s21
	v_mov_b32_e32 v20, s23
	;; [unrolled: 1-line block ×3, first 2 shown]
	s_waitcnt vmcnt(0)
	v_subrev_u32_e32 v14, s55, v6
	v_ashrrev_i32_e32 v15, 31, v14
	v_lshlrev_b64 v[16:17], 2, v[14:15]
	v_add_co_u32_e32 v18, vcc, s20, v16
	v_addc_co_u32_e32 v19, vcc, v19, v17, vcc
	v_add_co_u32_e32 v16, vcc, s22, v16
	v_addc_co_u32_e32 v17, vcc, v20, v17, vcc
	global_load_dword v6, v[18:19], off
	s_nop 0
	global_load_dword v18, v[16:17], off
	v_pk_mov_b32 v[16:17], 0, 0
	s_waitcnt vmcnt(1)
	v_subrev_u32_e32 v20, s28, v6
	s_waitcnt vmcnt(0)
	v_sub_u32_e32 v41, v18, v6
	v_mov_b32_e32 v6, 0
	s_and_saveexec_b64 s[16:17], s[14:15]
	s_cbranch_execz .LBB27_20
; %bb.13:                               ;   in Loop: Header=BB27_12 Depth=3
	v_ashrrev_i32_e32 v21, 31, v20
	v_lshlrev_b64 v[16:17], 2, v[20:21]
	v_mov_b32_e32 v6, s25
	v_add_co_u32_e32 v18, vcc, s24, v16
	v_addc_co_u32_e32 v19, vcc, v6, v17, vcc
	v_lshlrev_b64 v[16:17], 3, v[20:21]
	v_mov_b32_e32 v6, s27
	v_add_co_u32_e32 v21, vcc, s26, v16
	v_addc_co_u32_e32 v24, vcc, v6, v17, vcc
	v_mov_b32_e32 v6, 0
	s_mov_b64 s[84:85], 0
	v_pk_mov_b32 v[16:17], 0, 0
	v_mov_b32_e32 v22, v6
                                        ; implicit-def: $sgpr86_sgpr87
	s_branch .LBB27_16
.LBB27_14:                              ;   in Loop: Header=BB27_16 Depth=4
	s_or_b64 exec, exec, s[64:65]
	v_cmp_le_i32_e32 vcc, v25, v26
	v_addc_co_u32_e32 v6, vcc, 0, v6, vcc
	v_cmp_ge_i32_e32 vcc, v25, v26
	v_addc_co_u32_e32 v22, vcc, 0, v22, vcc
	v_cmp_ge_i32_e32 vcc, v6, v37
	s_andn2_b64 s[52:53], s[86:87], exec
	s_and_b64 s[64:65], vcc, exec
	s_or_b64 s[86:87], s[52:53], s[64:65]
.LBB27_15:                              ;   in Loop: Header=BB27_16 Depth=4
	s_or_b64 exec, exec, s[88:89]
	s_and_b64 s[52:53], exec, s[86:87]
	s_or_b64 s[84:85], s[52:53], s[84:85]
	s_andn2_b64 exec, exec, s[84:85]
	s_cbranch_execz .LBB27_19
.LBB27_16:                              ;   Parent Loop BB27_3 Depth=1
                                        ;     Parent Loop BB27_7 Depth=2
                                        ;       Parent Loop BB27_12 Depth=3
                                        ; =>      This Inner Loop Header: Depth=4
	v_cmp_lt_i32_e32 vcc, v22, v41
	s_or_b64 s[86:87], s[86:87], exec
	s_and_saveexec_b64 s[88:89], vcc
	s_cbranch_execz .LBB27_15
; %bb.17:                               ;   in Loop: Header=BB27_16 Depth=4
	v_lshlrev_b64 v[26:27], 2, v[6:7]
	v_add_co_u32_e32 v26, vcc, v13, v26
	v_addc_co_u32_e32 v27, vcc, v38, v27, vcc
	v_mov_b32_e32 v23, v7
	global_load_dword v25, v[26:27], off
	v_lshlrev_b64 v[26:27], 2, v[22:23]
	v_add_co_u32_e32 v26, vcc, v18, v26
	v_addc_co_u32_e32 v27, vcc, v19, v27, vcc
	global_load_dword v26, v[26:27], off
	s_waitcnt vmcnt(1)
	v_subrev_u32_e32 v25, s62, v25
	s_waitcnt vmcnt(0)
	v_subrev_u32_e32 v26, s28, v26
	v_cmp_eq_u32_e32 vcc, v25, v26
	s_and_saveexec_b64 s[64:65], vcc
	s_cbranch_execz .LBB27_14
; %bb.18:                               ;   in Loop: Header=BB27_16 Depth=4
	v_lshlrev_b64 v[28:29], 3, v[6:7]
	v_add_co_u32_e32 v28, vcc, v39, v28
	v_addc_co_u32_e32 v29, vcc, v40, v29, vcc
	v_lshlrev_b64 v[42:43], 3, v[22:23]
	v_add_co_u32_e32 v42, vcc, v21, v42
	v_addc_co_u32_e32 v43, vcc, v24, v43, vcc
	global_load_dwordx2 v[28:29], v[28:29], off
	s_nop 0
	global_load_dwordx2 v[42:43], v[42:43], off
	s_waitcnt vmcnt(0)
	v_fmac_f64_e32 v[16:17], v[28:29], v[42:43]
	s_branch .LBB27_14
.LBB27_19:                              ;   in Loop: Header=BB27_12 Depth=3
	s_or_b64 exec, exec, s[84:85]
.LBB27_20:                              ;   in Loop: Header=BB27_12 Depth=3
	s_or_b64 exec, exec, s[16:17]
	v_lshlrev_b64 v[18:19], 3, v[10:11]
	v_mov_b32_e32 v11, s51
	v_add_co_u32_e32 v18, vcc, s50, v18
	v_addc_co_u32_e32 v19, vcc, v11, v19, vcc
	global_load_dwordx2 v[18:19], v[18:19], off
	v_cmp_le_i32_e64 s[16:17], v8, v14
	v_cmp_gt_i32_e32 vcc, v8, v14
	s_waitcnt vmcnt(0)
	v_add_f64 v[24:25], v[18:19], -v[16:17]
	s_and_saveexec_b64 s[64:65], vcc
	s_cbranch_execnz .LBB27_23
; %bb.21:                               ;   in Loop: Header=BB27_12 Depth=3
	s_or_b64 exec, exec, s[64:65]
	v_cmp_class_f64_e64 s[84:85], v[24:25], s30
	s_and_saveexec_b64 s[86:87], s[84:85]
	s_cbranch_execnz .LBB27_26
.LBB27_22:                              ;   in Loop: Header=BB27_12 Depth=3
	s_or_b64 exec, exec, s[86:87]
	s_and_b64 s[52:53], s[84:85], s[18:19]
	s_and_saveexec_b64 s[16:17], s[52:53]
	s_cbranch_execz .LBB27_11
	s_branch .LBB27_61
.LBB27_23:                              ;   in Loop: Header=BB27_12 Depth=3
	v_lshlrev_b64 v[26:27], 3, v[14:15]
	v_mov_b32_e32 v11, s57
	v_add_co_u32_e32 v26, vcc, s56, v26
	v_addc_co_u32_e32 v27, vcc, v11, v27, vcc
	global_load_dwordx2 v[26:27], v[26:27], off
	v_pk_mov_b32 v[28:29], 0, 0
	s_waitcnt vmcnt(0)
	v_cmp_lg_f64_e32 vcc, 0, v[26:27]
	s_and_saveexec_b64 s[68:69], vcc
; %bb.24:                               ;   in Loop: Header=BB27_12 Depth=3
	v_div_scale_f64 v[28:29], s[52:53], v[26:27], v[26:27], v[24:25]
	v_rcp_f64_e32 v[42:43], v[28:29]
	v_div_scale_f64 v[44:45], vcc, v[24:25], v[26:27], v[24:25]
	v_fma_f64 v[46:47], -v[28:29], v[42:43], 1.0
	v_fmac_f64_e32 v[42:43], v[42:43], v[46:47]
	v_fma_f64 v[46:47], -v[28:29], v[42:43], 1.0
	v_fmac_f64_e32 v[42:43], v[42:43], v[46:47]
	v_mul_f64 v[46:47], v[44:45], v[42:43]
	v_fma_f64 v[28:29], -v[28:29], v[46:47], v[44:45]
	v_div_fmas_f64 v[28:29], v[28:29], v[42:43], v[46:47]
	v_div_fixup_f64 v[28:29], v[28:29], v[26:27], v[24:25]
; %bb.25:                               ;   in Loop: Header=BB27_12 Depth=3
	s_or_b64 exec, exec, s[68:69]
	v_pk_mov_b32 v[24:25], v[28:29], v[28:29] op_sel:[0,1]
	s_or_b64 exec, exec, s[64:65]
	v_cmp_class_f64_e64 s[84:85], v[24:25], s30
	s_and_saveexec_b64 s[86:87], s[84:85]
	s_cbranch_execz .LBB27_22
.LBB27_26:                              ;   in Loop: Header=BB27_12 Depth=3
	s_and_saveexec_b64 s[52:53], s[16:17]
	s_xor_b64 s[16:17], exec, s[52:53]
	s_cbranch_execz .LBB27_47
; %bb.27:                               ;   in Loop: Header=BB27_12 Depth=3
	v_cmp_ge_i32_e32 vcc, v8, v14
	s_and_saveexec_b64 s[52:53], vcc
	s_xor_b64 s[64:65], exec, s[52:53]
	s_cbranch_execz .LBB27_33
; %bb.28:                               ;   in Loop: Header=BB27_12 Depth=3
	v_lshlrev_b64 v[26:27], 3, v[14:15]
	v_mov_b32_e32 v11, s59
	v_add_co_u32_e32 v28, vcc, s58, v26
	v_addc_co_u32_e32 v29, vcc, v11, v27, vcc
	s_andn2_b64 vcc, exec, s[34:35]
	global_store_dwordx2 v[28:29], v[24:25], off
	s_cbranch_vccnz .LBB27_32
; %bb.29:                               ;   in Loop: Header=BB27_12 Depth=3
	v_mov_b32_e32 v11, s57
	v_add_co_u32_e32 v26, vcc, s56, v26
	v_addc_co_u32_e32 v27, vcc, v11, v27, vcc
	global_load_dwordx2 v[26:27], v[26:27], off
	s_waitcnt vmcnt(0)
	v_add_f64 v[24:25], v[26:27], -v[24:25]
	v_cmp_class_f64_e64 s[68:69], v[24:25], s30
	s_and_saveexec_b64 s[52:53], s[68:69]
; %bb.30:                               ;   in Loop: Header=BB27_12 Depth=3
	v_and_b32_e32 v11, 0x7fffffff, v25
	v_cmp_lt_f64_e64 vcc, v[4:5], |v[24:25]|
	v_cndmask_b32_e32 v5, v5, v11, vcc
	v_cndmask_b32_e32 v4, v4, v24, vcc
; %bb.31:                               ;   in Loop: Header=BB27_12 Depth=3
	s_or_b64 exec, exec, s[52:53]
.LBB27_32:                              ;   in Loop: Header=BB27_12 Depth=3
                                        ; implicit-def: $vgpr24_vgpr25
.LBB27_33:                              ;   in Loop: Header=BB27_12 Depth=3
	s_andn2_saveexec_b64 s[88:89], s[64:65]
	s_cbranch_execz .LBB27_46
; %bb.34:                               ;   in Loop: Header=BB27_12 Depth=3
	v_cmp_lt_i32_e32 vcc, v22, v41
	s_and_saveexec_b64 s[90:91], vcc
	s_cbranch_execz .LBB27_45
; %bb.35:                               ;   in Loop: Header=BB27_12 Depth=3
	s_mov_b64 s[92:93], 0
	v_mov_b32_e32 v11, v22
                                        ; implicit-def: $sgpr94_sgpr95
                                        ; implicit-def: $sgpr68_sgpr69
                                        ; implicit-def: $sgpr64_sgpr65
	s_branch .LBB27_37
.LBB27_36:                              ;   in Loop: Header=BB27_37 Depth=4
	s_or_b64 exec, exec, s[52:53]
	s_and_b64 s[52:53], exec, s[68:69]
	s_or_b64 s[92:93], s[52:53], s[92:93]
	s_andn2_b64 s[52:53], s[94:95], exec
	s_and_b64 s[94:95], s[64:65], exec
	s_or_b64 s[94:95], s[52:53], s[94:95]
	s_andn2_b64 exec, exec, s[92:93]
	s_cbranch_execz .LBB27_39
.LBB27_37:                              ;   Parent Loop BB27_3 Depth=1
                                        ;     Parent Loop BB27_7 Depth=2
                                        ;       Parent Loop BB27_12 Depth=3
                                        ; =>      This Inner Loop Header: Depth=4
	v_add_u32_e32 v26, v20, v11
	v_ashrrev_i32_e32 v27, 31, v26
	v_lshlrev_b64 v[28:29], 2, v[26:27]
	v_mov_b32_e32 v21, s25
	v_add_co_u32_e32 v28, vcc, s24, v28
	v_addc_co_u32_e32 v29, vcc, v21, v29, vcc
	global_load_dword v21, v[28:29], off
	s_or_b64 s[64:65], s[64:65], exec
	s_or_b64 s[68:69], s[68:69], exec
	s_waitcnt vmcnt(0)
	v_subrev_u32_e32 v21, s28, v21
	v_cmp_ne_u32_e32 vcc, v21, v8
	s_and_saveexec_b64 s[52:53], vcc
	s_cbranch_execz .LBB27_36
; %bb.38:                               ;   in Loop: Header=BB27_37 Depth=4
	v_add_u32_e32 v11, 1, v11
	v_cmp_ge_i32_e32 vcc, v11, v41
	s_andn2_b64 s[68:69], s[68:69], exec
	s_and_b64 vcc, vcc, exec
	s_andn2_b64 s[64:65], s[64:65], exec
	s_or_b64 s[68:69], s[68:69], vcc
	s_branch .LBB27_36
.LBB27_39:                              ;   in Loop: Header=BB27_12 Depth=3
	s_or_b64 exec, exec, s[92:93]
	s_and_saveexec_b64 s[52:53], s[94:95]
	s_xor_b64 s[64:65], exec, s[52:53]
	s_cbranch_execz .LBB27_44
; %bb.40:                               ;   in Loop: Header=BB27_12 Depth=3
	v_lshlrev_b64 v[26:27], 3, v[26:27]
	v_mov_b32_e32 v11, s73
	v_add_co_u32_e32 v28, vcc, s72, v26
	v_addc_co_u32_e32 v29, vcc, v11, v27, vcc
	s_andn2_b64 vcc, exec, s[34:35]
	global_store_dwordx2 v[28:29], v[24:25], off
	s_cbranch_vccnz .LBB27_44
; %bb.41:                               ;   in Loop: Header=BB27_12 Depth=3
	v_mov_b32_e32 v11, s27
	v_add_co_u32_e32 v26, vcc, s26, v26
	v_addc_co_u32_e32 v27, vcc, v11, v27, vcc
	global_load_dwordx2 v[26:27], v[26:27], off
	s_waitcnt vmcnt(0)
	v_add_f64 v[24:25], v[26:27], -v[24:25]
	v_cmp_class_f64_e64 s[68:69], v[24:25], s30
	s_and_saveexec_b64 s[52:53], s[68:69]
; %bb.42:                               ;   in Loop: Header=BB27_12 Depth=3
	v_and_b32_e32 v11, 0x7fffffff, v25
	v_cmp_lt_f64_e64 vcc, v[4:5], |v[24:25]|
	v_cndmask_b32_e32 v5, v5, v11, vcc
	v_cndmask_b32_e32 v4, v4, v24, vcc
; %bb.43:                               ;   in Loop: Header=BB27_12 Depth=3
	s_or_b64 exec, exec, s[52:53]
.LBB27_44:                              ;   in Loop: Header=BB27_12 Depth=3
	s_or_b64 exec, exec, s[64:65]
.LBB27_45:                              ;   in Loop: Header=BB27_12 Depth=3
	s_or_b64 exec, exec, s[90:91]
.LBB27_46:                              ;   in Loop: Header=BB27_12 Depth=3
	s_or_b64 exec, exec, s[88:89]
                                        ; implicit-def: $vgpr24_vgpr25
.LBB27_47:                              ;   in Loop: Header=BB27_12 Depth=3
	s_andn2_saveexec_b64 s[16:17], s[16:17]
	s_cbranch_execz .LBB27_60
; %bb.48:                               ;   in Loop: Header=BB27_12 Depth=3
	v_cmp_lt_i32_e32 vcc, v6, v37
	s_and_saveexec_b64 s[88:89], vcc
	s_cbranch_execz .LBB27_59
; %bb.49:                               ;   in Loop: Header=BB27_12 Depth=3
	s_mov_b64 s[90:91], 0
	v_mov_b32_e32 v11, v6
                                        ; implicit-def: $sgpr92_sgpr93
                                        ; implicit-def: $sgpr68_sgpr69
                                        ; implicit-def: $sgpr64_sgpr65
	s_branch .LBB27_51
.LBB27_50:                              ;   in Loop: Header=BB27_51 Depth=4
	s_or_b64 exec, exec, s[94:95]
	s_and_b64 s[52:53], exec, s[68:69]
	s_or_b64 s[90:91], s[52:53], s[90:91]
	s_andn2_b64 s[52:53], s[92:93], exec
	s_and_b64 s[92:93], s[64:65], exec
	s_or_b64 s[92:93], s[52:53], s[92:93]
	s_andn2_b64 exec, exec, s[90:91]
	s_cbranch_execz .LBB27_53
.LBB27_51:                              ;   Parent Loop BB27_3 Depth=1
                                        ;     Parent Loop BB27_7 Depth=2
                                        ;       Parent Loop BB27_12 Depth=3
                                        ; =>      This Inner Loop Header: Depth=4
	v_add_u32_e32 v26, v12, v11
	v_ashrrev_i32_e32 v27, 31, v26
	v_lshlrev_b64 v[28:29], 2, v[26:27]
	v_mov_b32_e32 v21, s41
	v_add_co_u32_e32 v28, vcc, s40, v28
	v_addc_co_u32_e32 v29, vcc, v21, v29, vcc
	global_load_dword v21, v[28:29], off
	s_or_b64 s[64:65], s[64:65], exec
	s_or_b64 s[68:69], s[68:69], exec
	s_waitcnt vmcnt(0)
	v_subrev_u32_e32 v21, s62, v21
	v_cmp_ne_u32_e32 vcc, v21, v14
	s_and_saveexec_b64 s[94:95], vcc
	s_cbranch_execz .LBB27_50
; %bb.52:                               ;   in Loop: Header=BB27_51 Depth=4
	v_add_u32_e32 v11, 1, v11
	v_cmp_ge_i32_e32 vcc, v11, v37
	s_andn2_b64 s[52:53], s[68:69], exec
	s_and_b64 s[68:69], vcc, exec
	s_andn2_b64 s[64:65], s[64:65], exec
	s_or_b64 s[68:69], s[52:53], s[68:69]
	s_branch .LBB27_50
.LBB27_53:                              ;   in Loop: Header=BB27_12 Depth=3
	s_or_b64 exec, exec, s[90:91]
	s_and_saveexec_b64 s[52:53], s[92:93]
	s_xor_b64 s[64:65], exec, s[52:53]
	s_cbranch_execz .LBB27_58
; %bb.54:                               ;   in Loop: Header=BB27_12 Depth=3
	v_lshlrev_b64 v[26:27], 3, v[26:27]
	v_mov_b32_e32 v11, s71
	v_add_co_u32_e32 v28, vcc, s70, v26
	v_addc_co_u32_e32 v29, vcc, v11, v27, vcc
	s_andn2_b64 vcc, exec, s[34:35]
	global_store_dwordx2 v[28:29], v[24:25], off
	s_cbranch_vccnz .LBB27_58
; %bb.55:                               ;   in Loop: Header=BB27_12 Depth=3
	v_mov_b32_e32 v11, s43
	v_add_co_u32_e32 v26, vcc, s42, v26
	v_addc_co_u32_e32 v27, vcc, v11, v27, vcc
	global_load_dwordx2 v[26:27], v[26:27], off
	s_waitcnt vmcnt(0)
	v_add_f64 v[24:25], v[26:27], -v[24:25]
	v_cmp_class_f64_e64 s[68:69], v[24:25], s30
	s_and_saveexec_b64 s[52:53], s[68:69]
; %bb.56:                               ;   in Loop: Header=BB27_12 Depth=3
	v_and_b32_e32 v11, 0x7fffffff, v25
	v_cmp_lt_f64_e64 vcc, v[4:5], |v[24:25]|
	v_cndmask_b32_e32 v5, v5, v11, vcc
	v_cndmask_b32_e32 v4, v4, v24, vcc
; %bb.57:                               ;   in Loop: Header=BB27_12 Depth=3
	s_or_b64 exec, exec, s[52:53]
.LBB27_58:                              ;   in Loop: Header=BB27_12 Depth=3
	s_or_b64 exec, exec, s[64:65]
.LBB27_59:                              ;   in Loop: Header=BB27_12 Depth=3
	s_or_b64 exec, exec, s[88:89]
.LBB27_60:                              ;   in Loop: Header=BB27_12 Depth=3
	s_or_b64 exec, exec, s[16:17]
	s_or_b64 exec, exec, s[86:87]
	s_and_b64 s[52:53], s[84:85], s[18:19]
	s_and_saveexec_b64 s[16:17], s[52:53]
	s_cbranch_execz .LBB27_11
.LBB27_61:                              ;   in Loop: Header=BB27_12 Depth=3
	v_cmp_ge_i32_e32 vcc, v22, v41
	s_and_saveexec_b64 s[52:53], vcc
	s_xor_b64 s[84:85], exec, s[52:53]
	s_cbranch_execnz .LBB27_67
; %bb.62:                               ;   in Loop: Header=BB27_12 Depth=3
	s_andn2_saveexec_b64 s[84:85], s[84:85]
	s_cbranch_execnz .LBB27_76
.LBB27_63:                              ;   in Loop: Header=BB27_12 Depth=3
	s_or_b64 exec, exec, s[84:85]
	v_cmp_eq_u32_e32 vcc, v8, v14
	s_and_saveexec_b64 s[52:53], vcc
	s_cbranch_execz .LBB27_65
.LBB27_64:                              ;   in Loop: Header=BB27_12 Depth=3
	v_lshlrev_b64 v[14:15], 3, v[14:15]
	v_mov_b32_e32 v6, s57
	v_add_co_u32_e32 v14, vcc, s56, v14
	v_addc_co_u32_e32 v15, vcc, v6, v15, vcc
	global_load_dwordx2 v[14:15], v[14:15], off
	s_waitcnt vmcnt(0)
	v_add_f64 v[16:17], v[16:17], v[14:15]
.LBB27_65:                              ;   in Loop: Header=BB27_12 Depth=3
	s_or_b64 exec, exec, s[52:53]
	v_add_f64 v[14:15], v[18:19], -v[16:17]
	v_cmp_class_f64_e64 s[64:65], v[14:15], s30
	s_and_saveexec_b64 s[52:53], s[64:65]
	s_cbranch_execz .LBB27_10
; %bb.66:                               ;   in Loop: Header=BB27_12 Depth=3
	v_and_b32_e32 v6, 0x7fffffff, v15
	v_cmp_lt_f64_e64 vcc, v[2:3], |v[14:15]|
	v_cndmask_b32_e32 v3, v3, v6, vcc
	v_cndmask_b32_e32 v2, v2, v14, vcc
	s_branch .LBB27_10
.LBB27_67:                              ;   in Loop: Header=BB27_12 Depth=3
	v_cmp_lt_i32_e32 vcc, v6, v37
	s_and_saveexec_b64 s[86:87], vcc
	s_cbranch_execz .LBB27_75
; %bb.68:                               ;   in Loop: Header=BB27_12 Depth=3
	s_mov_b64 s[88:89], 0
                                        ; implicit-def: $sgpr90_sgpr91
                                        ; implicit-def: $sgpr68_sgpr69
                                        ; implicit-def: $sgpr64_sgpr65
	s_branch .LBB27_70
.LBB27_69:                              ;   in Loop: Header=BB27_70 Depth=4
	s_or_b64 exec, exec, s[52:53]
	s_and_b64 s[52:53], exec, s[68:69]
	s_or_b64 s[88:89], s[52:53], s[88:89]
	s_andn2_b64 s[52:53], s[90:91], exec
	s_and_b64 s[90:91], s[64:65], exec
	s_or_b64 s[90:91], s[52:53], s[90:91]
	s_andn2_b64 exec, exec, s[88:89]
	s_cbranch_execz .LBB27_72
.LBB27_70:                              ;   Parent Loop BB27_3 Depth=1
                                        ;     Parent Loop BB27_7 Depth=2
                                        ;       Parent Loop BB27_12 Depth=3
                                        ; =>      This Inner Loop Header: Depth=4
	v_add_u32_e32 v20, v12, v6
	v_ashrrev_i32_e32 v21, 31, v20
	v_lshlrev_b64 v[22:23], 2, v[20:21]
	v_mov_b32_e32 v11, s41
	v_add_co_u32_e32 v22, vcc, s40, v22
	v_addc_co_u32_e32 v23, vcc, v11, v23, vcc
	global_load_dword v11, v[22:23], off
	s_or_b64 s[64:65], s[64:65], exec
	s_or_b64 s[68:69], s[68:69], exec
	s_waitcnt vmcnt(0)
	v_subrev_u32_e32 v11, s62, v11
	v_cmp_ne_u32_e32 vcc, v11, v14
	s_and_saveexec_b64 s[52:53], vcc
	s_cbranch_execz .LBB27_69
; %bb.71:                               ;   in Loop: Header=BB27_70 Depth=4
	v_add_u32_e32 v6, 1, v6
	v_cmp_ge_i32_e32 vcc, v6, v37
	s_andn2_b64 s[68:69], s[68:69], exec
	s_and_b64 s[92:93], vcc, exec
	s_andn2_b64 s[64:65], s[64:65], exec
	s_or_b64 s[68:69], s[68:69], s[92:93]
	s_branch .LBB27_69
.LBB27_72:                              ;   in Loop: Header=BB27_12 Depth=3
	s_or_b64 exec, exec, s[88:89]
	s_and_saveexec_b64 s[52:53], s[90:91]
	s_xor_b64 s[64:65], exec, s[52:53]
	s_cbranch_execz .LBB27_74
; %bb.73:                               ;   in Loop: Header=BB27_12 Depth=3
	v_lshlrev_b64 v[20:21], 3, v[20:21]
	v_mov_b32_e32 v6, s43
	v_add_co_u32_e32 v20, vcc, s42, v20
	v_addc_co_u32_e32 v21, vcc, v6, v21, vcc
	v_lshlrev_b64 v[22:23], 3, v[14:15]
	v_mov_b32_e32 v6, s57
	v_add_co_u32_e32 v22, vcc, s56, v22
	v_addc_co_u32_e32 v23, vcc, v6, v23, vcc
	global_load_dwordx2 v[20:21], v[20:21], off
	s_nop 0
	global_load_dwordx2 v[22:23], v[22:23], off
	s_waitcnt vmcnt(0)
	v_fmac_f64_e32 v[16:17], v[20:21], v[22:23]
.LBB27_74:                              ;   in Loop: Header=BB27_12 Depth=3
	s_or_b64 exec, exec, s[64:65]
.LBB27_75:                              ;   in Loop: Header=BB27_12 Depth=3
	s_or_b64 exec, exec, s[86:87]
                                        ; implicit-def: $vgpr22
                                        ; implicit-def: $vgpr20
                                        ; implicit-def: $vgpr41
	s_andn2_saveexec_b64 s[84:85], s[84:85]
	s_cbranch_execz .LBB27_63
.LBB27_76:                              ;   in Loop: Header=BB27_12 Depth=3
	s_mov_b64 s[86:87], 0
                                        ; implicit-def: $sgpr88_sgpr89
                                        ; implicit-def: $sgpr68_sgpr69
                                        ; implicit-def: $sgpr64_sgpr65
	s_branch .LBB27_78
.LBB27_77:                              ;   in Loop: Header=BB27_78 Depth=4
	s_or_b64 exec, exec, s[52:53]
	s_and_b64 s[52:53], exec, s[68:69]
	s_or_b64 s[86:87], s[52:53], s[86:87]
	s_andn2_b64 s[52:53], s[88:89], exec
	s_and_b64 s[88:89], s[64:65], exec
	s_or_b64 s[88:89], s[52:53], s[88:89]
	s_andn2_b64 exec, exec, s[86:87]
	s_cbranch_execz .LBB27_80
.LBB27_78:                              ;   Parent Loop BB27_3 Depth=1
                                        ;     Parent Loop BB27_7 Depth=2
                                        ;       Parent Loop BB27_12 Depth=3
                                        ; =>      This Inner Loop Header: Depth=4
	v_add_u32_e32 v24, v20, v22
	v_ashrrev_i32_e32 v25, 31, v24
	v_lshlrev_b64 v[26:27], 2, v[24:25]
	v_mov_b32_e32 v6, s25
	v_add_co_u32_e32 v26, vcc, s24, v26
	v_addc_co_u32_e32 v27, vcc, v6, v27, vcc
	global_load_dword v6, v[26:27], off
	s_or_b64 s[64:65], s[64:65], exec
	s_or_b64 s[68:69], s[68:69], exec
	s_waitcnt vmcnt(0)
	v_subrev_u32_e32 v6, s28, v6
	v_cmp_ne_u32_e32 vcc, v6, v8
	s_and_saveexec_b64 s[52:53], vcc
	s_cbranch_execz .LBB27_77
; %bb.79:                               ;   in Loop: Header=BB27_78 Depth=4
	v_add_u32_e32 v22, 1, v22
	v_cmp_ge_i32_e32 vcc, v22, v41
	s_andn2_b64 s[68:69], s[68:69], exec
	s_and_b64 s[90:91], vcc, exec
	s_andn2_b64 s[64:65], s[64:65], exec
	s_or_b64 s[68:69], s[68:69], s[90:91]
	s_branch .LBB27_77
.LBB27_80:                              ;   in Loop: Header=BB27_12 Depth=3
	s_or_b64 exec, exec, s[86:87]
	s_and_saveexec_b64 s[52:53], s[88:89]
	s_xor_b64 s[52:53], exec, s[52:53]
	s_cbranch_execz .LBB27_82
; %bb.81:                               ;   in Loop: Header=BB27_12 Depth=3
	v_lshlrev_b64 v[20:21], 3, v[24:25]
	v_mov_b32_e32 v6, s27
	v_add_co_u32_e32 v20, vcc, s26, v20
	v_addc_co_u32_e32 v21, vcc, v6, v21, vcc
	global_load_dwordx2 v[20:21], v[20:21], off
	s_waitcnt vmcnt(0)
	v_add_f64 v[16:17], v[16:17], v[20:21]
.LBB27_82:                              ;   in Loop: Header=BB27_12 Depth=3
	s_or_b64 exec, exec, s[52:53]
	s_or_b64 exec, exec, s[84:85]
	v_cmp_eq_u32_e32 vcc, v8, v14
	s_and_saveexec_b64 s[52:53], vcc
	s_cbranch_execnz .LBB27_64
	s_branch .LBB27_65
.LBB27_83:                              ;   in Loop: Header=BB27_3 Depth=1
	s_and_b64 vcc, exec, s[34:35]
	s_cbranch_vccnz .LBB27_86
; %bb.84:                               ;   in Loop: Header=BB27_3 Depth=1
	s_andn2_b64 vcc, exec, s[18:19]
	s_cbranch_vccz .LBB27_97
.LBB27_85:                              ;   in Loop: Header=BB27_3 Depth=1
	s_and_saveexec_b64 s[14:15], s[0:1]
	s_cbranch_execnz .LBB27_108
	s_branch .LBB27_119
.LBB27_86:                              ;   in Loop: Header=BB27_3 Depth=1
	v_mov_b32_dpp v8, v4 row_shr:1 row_mask:0xf bank_mask:0xf
	v_mov_b32_dpp v9, v5 row_shr:1 row_mask:0xf bank_mask:0xf
	v_cmp_lt_f64_e32 vcc, v[4:5], v[8:9]
	v_cndmask_b32_e32 v5, v5, v9, vcc
	v_cndmask_b32_e32 v4, v4, v8, vcc
	s_nop 0
	v_mov_b32_dpp v9, v5 row_shr:2 row_mask:0xf bank_mask:0xf
	v_mov_b32_dpp v8, v4 row_shr:2 row_mask:0xf bank_mask:0xf
	v_cmp_lt_f64_e32 vcc, v[4:5], v[8:9]
	v_cndmask_b32_e32 v5, v5, v9, vcc
	v_cndmask_b32_e32 v4, v4, v8, vcc
	s_nop 0
	;; [unrolled: 6-line block ×4, first 2 shown]
	v_mov_b32_dpp v9, v5 row_bcast:15 row_mask:0xa bank_mask:0xf
	v_mov_b32_dpp v8, v4 row_bcast:15 row_mask:0xa bank_mask:0xf
	v_cmp_lt_f64_e32 vcc, v[4:5], v[8:9]
	v_cndmask_b32_e32 v5, v5, v9, vcc
	v_cndmask_b32_e32 v4, v4, v8, vcc
	s_nop 0
	v_mov_b32_dpp v9, v5 row_bcast:31 row_mask:0xc bank_mask:0xf
	v_mov_b32_dpp v8, v4 row_bcast:31 row_mask:0xc bank_mask:0xf
	s_and_saveexec_b64 s[14:15], s[2:3]
	s_cbranch_execz .LBB27_88
; %bb.87:                               ;   in Loop: Header=BB27_3 Depth=1
	v_cmp_lt_f64_e32 vcc, v[4:5], v[8:9]
	v_cndmask_b32_e32 v5, v5, v9, vcc
	v_cndmask_b32_e32 v4, v4, v8, vcc
	ds_write_b64 v34, v[4:5]
.LBB27_88:                              ;   in Loop: Header=BB27_3 Depth=1
	s_or_b64 exec, exec, s[14:15]
	s_waitcnt lgkmcnt(0)
	s_barrier
	s_and_saveexec_b64 s[14:15], s[4:5]
	s_cbranch_execz .LBB27_90
; %bb.89:                               ;   in Loop: Header=BB27_3 Depth=1
	ds_read2_b64 v[8:11], v32 offset1:8
	s_waitcnt lgkmcnt(0)
	v_cmp_lt_f64_e32 vcc, v[8:9], v[10:11]
	v_cndmask_b32_e32 v5, v9, v11, vcc
	v_cndmask_b32_e32 v4, v8, v10, vcc
	ds_write_b64 v32, v[4:5]
.LBB27_90:                              ;   in Loop: Header=BB27_3 Depth=1
	s_or_b64 exec, exec, s[14:15]
	s_waitcnt lgkmcnt(0)
	s_barrier
	s_and_saveexec_b64 s[14:15], s[6:7]
	s_cbranch_execz .LBB27_92
; %bb.91:                               ;   in Loop: Header=BB27_3 Depth=1
	ds_read2_b64 v[8:11], v32 offset1:4
	s_waitcnt lgkmcnt(0)
	v_cmp_lt_f64_e32 vcc, v[8:9], v[10:11]
	v_cndmask_b32_e32 v5, v9, v11, vcc
	v_cndmask_b32_e32 v4, v8, v10, vcc
	ds_write_b64 v32, v[4:5]
.LBB27_92:                              ;   in Loop: Header=BB27_3 Depth=1
	;; [unrolled: 13-line block ×3, first 2 shown]
	s_or_b64 exec, exec, s[14:15]
	s_waitcnt lgkmcnt(0)
	s_barrier
	s_and_saveexec_b64 s[14:15], s[10:11]
	s_cbranch_execz .LBB27_96
; %bb.95:                               ;   in Loop: Header=BB27_3 Depth=1
	ds_read_b128 v[8:11], v7
	s_waitcnt lgkmcnt(0)
	v_cmp_lt_f64_e32 vcc, v[8:9], v[10:11]
	v_cndmask_b32_e32 v5, v9, v11, vcc
	v_cndmask_b32_e32 v4, v8, v10, vcc
	ds_write_b64 v7, v[4:5]
.LBB27_96:                              ;   in Loop: Header=BB27_3 Depth=1
	s_or_b64 exec, exec, s[14:15]
	s_waitcnt lgkmcnt(0)
	s_barrier
	ds_read_b64 v[4:5], v7
	s_load_dwordx2 s[14:15], s[66:67], 0x0
	s_waitcnt lgkmcnt(0)
	v_div_scale_f64 v[8:9], s[16:17], s[14:15], s[14:15], v[4:5]
	v_rcp_f64_e32 v[10:11], v[8:9]
	v_div_scale_f64 v[12:13], vcc, v[4:5], s[14:15], v[4:5]
	v_fma_f64 v[14:15], -v[8:9], v[10:11], 1.0
	v_fmac_f64_e32 v[10:11], v[10:11], v[14:15]
	v_fma_f64 v[14:15], -v[8:9], v[10:11], 1.0
	v_fmac_f64_e32 v[10:11], v[10:11], v[14:15]
	v_mul_f64 v[14:15], v[12:13], v[10:11]
	v_fma_f64 v[8:9], -v[8:9], v[14:15], v[12:13]
	v_div_fmas_f64 v[8:9], v[8:9], v[10:11], v[14:15]
	v_div_fixup_f64 v[4:5], v[8:9], s[14:15], v[4:5]
	s_andn2_b64 vcc, exec, s[18:19]
	s_cbranch_vccnz .LBB27_85
.LBB27_97:                              ;   in Loop: Header=BB27_3 Depth=1
	v_mov_b32_dpp v8, v2 row_shr:1 row_mask:0xf bank_mask:0xf
	v_mov_b32_dpp v9, v3 row_shr:1 row_mask:0xf bank_mask:0xf
	v_cmp_lt_f64_e32 vcc, v[2:3], v[8:9]
	v_cndmask_b32_e32 v3, v3, v9, vcc
	v_cndmask_b32_e32 v2, v2, v8, vcc
	s_nop 0
	v_mov_b32_dpp v9, v3 row_shr:2 row_mask:0xf bank_mask:0xf
	v_mov_b32_dpp v8, v2 row_shr:2 row_mask:0xf bank_mask:0xf
	v_cmp_lt_f64_e32 vcc, v[2:3], v[8:9]
	v_cndmask_b32_e32 v3, v3, v9, vcc
	v_cndmask_b32_e32 v2, v2, v8, vcc
	s_nop 0
	;; [unrolled: 6-line block ×4, first 2 shown]
	v_mov_b32_dpp v9, v3 row_bcast:15 row_mask:0xa bank_mask:0xf
	v_mov_b32_dpp v8, v2 row_bcast:15 row_mask:0xa bank_mask:0xf
	v_cmp_lt_f64_e32 vcc, v[2:3], v[8:9]
	v_cndmask_b32_e32 v3, v3, v9, vcc
	v_cndmask_b32_e32 v2, v2, v8, vcc
	s_nop 0
	v_mov_b32_dpp v9, v3 row_bcast:31 row_mask:0xc bank_mask:0xf
	v_mov_b32_dpp v8, v2 row_bcast:31 row_mask:0xc bank_mask:0xf
	s_and_saveexec_b64 s[14:15], s[2:3]
	s_cbranch_execz .LBB27_99
; %bb.98:                               ;   in Loop: Header=BB27_3 Depth=1
	v_cmp_lt_f64_e32 vcc, v[2:3], v[8:9]
	v_cndmask_b32_e32 v3, v3, v9, vcc
	v_cndmask_b32_e32 v2, v2, v8, vcc
	ds_write_b64 v34, v[2:3]
.LBB27_99:                              ;   in Loop: Header=BB27_3 Depth=1
	s_or_b64 exec, exec, s[14:15]
	s_waitcnt lgkmcnt(0)
	s_barrier
	s_and_saveexec_b64 s[14:15], s[4:5]
	s_cbranch_execz .LBB27_101
; %bb.100:                              ;   in Loop: Header=BB27_3 Depth=1
	ds_read2_b64 v[8:11], v32 offset1:8
	s_waitcnt lgkmcnt(0)
	v_cmp_lt_f64_e32 vcc, v[8:9], v[10:11]
	v_cndmask_b32_e32 v3, v9, v11, vcc
	v_cndmask_b32_e32 v2, v8, v10, vcc
	ds_write_b64 v32, v[2:3]
.LBB27_101:                             ;   in Loop: Header=BB27_3 Depth=1
	s_or_b64 exec, exec, s[14:15]
	s_waitcnt lgkmcnt(0)
	s_barrier
	s_and_saveexec_b64 s[14:15], s[6:7]
	s_cbranch_execz .LBB27_103
; %bb.102:                              ;   in Loop: Header=BB27_3 Depth=1
	ds_read2_b64 v[8:11], v32 offset1:4
	s_waitcnt lgkmcnt(0)
	v_cmp_lt_f64_e32 vcc, v[8:9], v[10:11]
	v_cndmask_b32_e32 v3, v9, v11, vcc
	v_cndmask_b32_e32 v2, v8, v10, vcc
	ds_write_b64 v32, v[2:3]
.LBB27_103:                             ;   in Loop: Header=BB27_3 Depth=1
	;; [unrolled: 13-line block ×3, first 2 shown]
	s_or_b64 exec, exec, s[14:15]
	s_waitcnt lgkmcnt(0)
	s_barrier
	s_and_saveexec_b64 s[14:15], s[10:11]
	s_cbranch_execz .LBB27_107
; %bb.106:                              ;   in Loop: Header=BB27_3 Depth=1
	ds_read_b128 v[8:11], v7
	s_waitcnt lgkmcnt(0)
	v_cmp_lt_f64_e32 vcc, v[8:9], v[10:11]
	v_cndmask_b32_e32 v3, v9, v11, vcc
	v_cndmask_b32_e32 v2, v8, v10, vcc
	ds_write_b64 v7, v[2:3]
.LBB27_107:                             ;   in Loop: Header=BB27_3 Depth=1
	s_or_b64 exec, exec, s[14:15]
	s_waitcnt lgkmcnt(0)
	s_barrier
	ds_read_b64 v[2:3], v7
	s_load_dwordx2 s[14:15], s[66:67], 0x0
	s_waitcnt lgkmcnt(0)
	v_div_scale_f64 v[8:9], s[16:17], s[14:15], s[14:15], v[2:3]
	v_rcp_f64_e32 v[10:11], v[8:9]
	v_div_scale_f64 v[12:13], vcc, v[2:3], s[14:15], v[2:3]
	v_fma_f64 v[14:15], -v[8:9], v[10:11], 1.0
	v_fmac_f64_e32 v[10:11], v[10:11], v[14:15]
	v_fma_f64 v[14:15], -v[8:9], v[10:11], 1.0
	v_fmac_f64_e32 v[10:11], v[10:11], v[14:15]
	v_mul_f64 v[14:15], v[12:13], v[10:11]
	v_fma_f64 v[8:9], -v[8:9], v[14:15], v[12:13]
	v_div_fmas_f64 v[8:9], v[8:9], v[10:11], v[14:15]
	v_div_fixup_f64 v[2:3], v[8:9], s[14:15], v[2:3]
	s_and_saveexec_b64 s[14:15], s[0:1]
	s_cbranch_execz .LBB27_119
.LBB27_108:                             ;   in Loop: Header=BB27_3 Depth=1
	s_mov_b64 s[16:17], 0
	v_mov_b32_e32 v8, v31
	s_branch .LBB27_110
.LBB27_109:                             ;   in Loop: Header=BB27_110 Depth=2
	s_or_b64 exec, exec, s[78:79]
	v_add_u32_e32 v8, 16, v8
	v_cmp_le_u32_e32 vcc, s29, v8
	s_or_b64 s[16:17], vcc, s[16:17]
	s_andn2_b64 exec, exec, s[16:17]
	s_cbranch_execz .LBB27_119
.LBB27_110:                             ;   Parent Loop BB27_3 Depth=1
                                        ; =>  This Loop Header: Depth=2
                                        ;       Child Loop BB27_113 Depth 3
                                        ;       Child Loop BB27_116 Depth 3
	v_cmp_gt_i32_e32 vcc, s33, v8
	s_and_saveexec_b64 s[78:79], vcc
	s_cbranch_execz .LBB27_109
; %bb.111:                              ;   in Loop: Header=BB27_110 Depth=2
	v_ashrrev_i32_e32 v9, 31, v8
	v_lshlrev_b64 v[10:11], 2, v[8:9]
	v_mov_b32_e32 v6, s37
	v_add_co_u32_e32 v12, vcc, s36, v10
	v_addc_co_u32_e32 v13, vcc, v6, v11, vcc
	global_load_dword v6, v[12:13], off
	v_mov_b32_e32 v13, s39
	v_add_co_u32_e32 v12, vcc, s38, v10
	v_addc_co_u32_e32 v13, vcc, v13, v11, vcc
	global_load_dword v13, v[12:13], off
	s_waitcnt vmcnt(1)
	v_add_u32_e32 v12, v35, v6
	s_waitcnt vmcnt(0)
	v_subrev_u32_e32 v6, s62, v13
	v_cmp_lt_i32_e32 vcc, v12, v6
	s_and_saveexec_b64 s[64:65], vcc
	s_cbranch_execz .LBB27_114
; %bb.112:                              ;   in Loop: Header=BB27_110 Depth=2
	v_ashrrev_i32_e32 v13, 31, v12
	v_lshlrev_b64 v[16:17], 3, v[12:13]
	v_mov_b32_e32 v13, s71
	v_add_co_u32_e32 v14, vcc, s70, v16
	v_addc_co_u32_e32 v15, vcc, v13, v17, vcc
	v_mov_b32_e32 v13, s43
	v_add_co_u32_e32 v16, vcc, s42, v16
	v_addc_co_u32_e32 v17, vcc, v13, v17, vcc
	s_mov_b64 s[68:69], 0
.LBB27_113:                             ;   Parent Loop BB27_3 Depth=1
                                        ;     Parent Loop BB27_110 Depth=2
                                        ; =>    This Inner Loop Header: Depth=3
	global_load_dwordx2 v[18:19], v[14:15], off
	v_add_co_u32_e32 v14, vcc, 0x200, v14
	v_add_u32_e32 v12, 64, v12
	v_addc_co_u32_e32 v15, vcc, 0, v15, vcc
	v_cmp_ge_i32_e32 vcc, v12, v6
	s_or_b64 s[68:69], vcc, s[68:69]
	s_waitcnt vmcnt(0)
	global_store_dwordx2 v[16:17], v[18:19], off
	v_add_co_u32_e32 v16, vcc, 0x200, v16
	v_addc_co_u32_e32 v17, vcc, 0, v17, vcc
	s_andn2_b64 exec, exec, s[68:69]
	s_cbranch_execnz .LBB27_113
.LBB27_114:                             ;   in Loop: Header=BB27_110 Depth=2
	s_or_b64 exec, exec, s[64:65]
	v_mov_b32_e32 v6, s21
	v_add_co_u32_e32 v12, vcc, s20, v10
	v_addc_co_u32_e32 v13, vcc, v6, v11, vcc
	global_load_dword v6, v[12:13], off
	v_mov_b32_e32 v12, s23
	v_add_co_u32_e32 v10, vcc, s22, v10
	v_addc_co_u32_e32 v11, vcc, v12, v11, vcc
	global_load_dword v11, v[10:11], off
	s_waitcnt vmcnt(1)
	v_add_u32_e32 v10, v36, v6
	s_waitcnt vmcnt(0)
	v_subrev_u32_e32 v6, s28, v11
	v_cmp_lt_i32_e32 vcc, v10, v6
	s_and_saveexec_b64 s[64:65], vcc
	s_cbranch_execz .LBB27_117
; %bb.115:                              ;   in Loop: Header=BB27_110 Depth=2
	v_ashrrev_i32_e32 v11, 31, v10
	v_lshlrev_b64 v[14:15], 3, v[10:11]
	v_mov_b32_e32 v11, s73
	v_add_co_u32_e32 v12, vcc, s72, v14
	v_addc_co_u32_e32 v13, vcc, v11, v15, vcc
	v_mov_b32_e32 v11, s27
	v_add_co_u32_e32 v14, vcc, s26, v14
	v_addc_co_u32_e32 v15, vcc, v11, v15, vcc
	s_mov_b64 s[68:69], 0
.LBB27_116:                             ;   Parent Loop BB27_3 Depth=1
                                        ;     Parent Loop BB27_110 Depth=2
                                        ; =>    This Inner Loop Header: Depth=3
	global_load_dwordx2 v[16:17], v[12:13], off
	v_add_co_u32_e32 v12, vcc, 0x200, v12
	v_add_u32_e32 v10, 64, v10
	v_addc_co_u32_e32 v13, vcc, 0, v13, vcc
	v_cmp_ge_i32_e32 vcc, v10, v6
	s_or_b64 s[68:69], vcc, s[68:69]
	s_waitcnt vmcnt(0)
	global_store_dwordx2 v[14:15], v[16:17], off
	v_add_co_u32_e32 v14, vcc, 0x200, v14
	v_addc_co_u32_e32 v15, vcc, 0, v15, vcc
	s_andn2_b64 exec, exec, s[68:69]
	s_cbranch_execnz .LBB27_116
.LBB27_117:                             ;   in Loop: Header=BB27_110 Depth=2
	s_or_b64 exec, exec, s[64:65]
	s_and_b64 exec, exec, s[12:13]
	s_cbranch_execz .LBB27_109
; %bb.118:                              ;   in Loop: Header=BB27_110 Depth=2
	v_lshlrev_b64 v[10:11], 3, v[8:9]
	v_mov_b32_e32 v6, s59
	v_add_co_u32_e32 v12, vcc, s58, v10
	v_addc_co_u32_e32 v13, vcc, v6, v11, vcc
	global_load_dwordx2 v[12:13], v[12:13], off
	v_mov_b32_e32 v6, s57
	v_add_co_u32_e32 v10, vcc, s56, v10
	v_addc_co_u32_e32 v11, vcc, v6, v11, vcc
	s_waitcnt vmcnt(0)
	global_store_dwordx2 v[10:11], v[12:13], off
	s_branch .LBB27_109
.LBB27_119:                             ;   in Loop: Header=BB27_3 Depth=1
	s_or_b64 exec, exec, s[14:15]
	s_mov_b64 s[16:17], -1
	s_mov_b64 s[14:15], -1
	s_and_b64 vcc, exec, s[60:61]
	s_cbranch_vccz .LBB27_129
; %bb.120:                              ;   in Loop: Header=BB27_3 Depth=1
	s_and_b64 vcc, exec, s[76:77]
                                        ; implicit-def: $sgpr64_sgpr65
	s_cbranch_vccz .LBB27_126
; %bb.121:                              ;   in Loop: Header=BB27_3 Depth=1
	v_readlane_b32 s52, v48, 10
	v_readlane_b32 s53, v48, 11
	s_and_b64 vcc, exec, s[52:53]
                                        ; implicit-def: $sgpr64_sgpr65
	s_cbranch_vccz .LBB27_123
; %bb.122:                              ;   in Loop: Header=BB27_3 Depth=1
	v_readlane_b32 s80, v48, 0
	v_readlane_b32 s82, v48, 2
	;; [unrolled: 1-line block ×3, first 2 shown]
	v_cmp_ge_f64_e32 vcc, s[82:83], v[2:3]
	v_readlane_b32 s81, v48, 1
	s_mov_b64 s[14:15], 0
	s_and_b64 s[64:65], vcc, exec
.LBB27_123:                             ;   in Loop: Header=BB27_3 Depth=1
	s_andn2_b64 vcc, exec, s[14:15]
	s_cbranch_vccnz .LBB27_125
; %bb.124:                              ;   in Loop: Header=BB27_3 Depth=1
	v_readlane_b32 s80, v48, 0
	v_readlane_b32 s82, v48, 2
	v_readlane_b32 s83, v48, 3
	v_cmp_ge_f64_e32 vcc, s[82:83], v[4:5]
	s_andn2_b64 s[14:15], s[64:65], exec
	s_and_b64 s[52:53], vcc, exec
	s_or_b64 s[64:65], s[14:15], s[52:53]
	v_readlane_b32 s81, v48, 1
.LBB27_125:                             ;   in Loop: Header=BB27_3 Depth=1
	s_mov_b64 s[14:15], 0
.LBB27_126:                             ;   in Loop: Header=BB27_3 Depth=1
	s_andn2_b64 vcc, exec, s[14:15]
	s_cbranch_vccnz .LBB27_128
; %bb.127:                              ;   in Loop: Header=BB27_3 Depth=1
	v_readlane_b32 s80, v48, 0
	v_readlane_b32 s82, v48, 2
	;; [unrolled: 1-line block ×3, first 2 shown]
	v_cmp_ge_f64_e32 vcc, s[82:83], v[4:5]
	v_cmp_ge_f64_e64 s[14:15], s[82:83], v[2:3]
	s_and_b64 s[14:15], vcc, s[14:15]
	s_andn2_b64 s[52:53], s[64:65], exec
	s_and_b64 s[14:15], s[14:15], exec
	s_or_b64 s[64:65], s[52:53], s[14:15]
	v_readlane_b32 s81, v48, 1
.LBB27_128:                             ;   in Loop: Header=BB27_3 Depth=1
	s_xor_b64 s[14:15], s[64:65], -1
.LBB27_129:                             ;   in Loop: Header=BB27_3 Depth=1
	v_mov_b32_e32 v6, s54
	s_and_saveexec_b64 s[52:53], s[14:15]
	s_cbranch_execz .LBB27_2
; %bb.130:                              ;   in Loop: Header=BB27_3 Depth=1
	s_add_i32 s54, s54, 1
	s_cmp_eq_u32 s54, s63
	s_cselect_b64 s[14:15], -1, 0
	v_mov_b32_e32 v6, s63
	s_orn2_b64 s[16:17], s[14:15], exec
	s_branch .LBB27_2
.LBB27_131:
	s_or_b64 exec, exec, s[74:75]
	v_readlane_b32 s20, v48, 6
	v_readlane_b32 s21, v48, 7
	;; [unrolled: 1-line block ×4, first 2 shown]
.LBB27_132:
	v_readlane_b32 s0, v48, 4
	v_readlane_b32 s1, v48, 5
	s_or_b64 exec, exec, s[0:1]
	s_andn2_b64 vcc, exec, s[60:61]
	s_cbranch_vccnz .LBB27_147
; %bb.133:
	v_mov_b32_dpp v7, v6 row_shr:1 row_mask:0xf bank_mask:0xf
	v_max_i32_e32 v6, v6, v7
	v_cmp_eq_u32_e32 vcc, 63, v30
	s_nop 0
	v_mov_b32_dpp v7, v6 row_shr:2 row_mask:0xf bank_mask:0xf
	v_max_i32_e32 v6, v6, v7
	s_nop 1
	v_mov_b32_dpp v7, v6 row_shr:4 row_mask:0xf bank_mask:0xe
	v_max_i32_e32 v6, v6, v7
	;; [unrolled: 3-line block ×3, first 2 shown]
	s_nop 1
	v_mov_b32_dpp v7, v6 row_bcast:15 row_mask:0xa bank_mask:0xf
	v_max_i32_e32 v6, v6, v7
	s_nop 1
	v_mov_b32_dpp v7, v6 row_bcast:31 row_mask:0xc bank_mask:0xf
	s_and_saveexec_b64 s[0:1], vcc
	s_cbranch_execz .LBB27_135
; %bb.134:
	v_lshlrev_b32_e32 v1, 2, v1
	v_max_i32_e32 v6, v6, v7
	ds_write_b32 v1, v6 offset:128
.LBB27_135:
	s_or_b64 exec, exec, s[0:1]
	v_cmp_gt_u32_e32 vcc, 8, v0
	v_lshlrev_b32_e32 v1, 2, v0
	s_waitcnt lgkmcnt(0)
	s_barrier
	s_and_saveexec_b64 s[0:1], vcc
	s_cbranch_execz .LBB27_137
; %bb.136:
	ds_read2_b32 v[6:7], v1 offset0:32 offset1:40
	s_waitcnt lgkmcnt(0)
	v_max_i32_e32 v6, v6, v7
	ds_write_b32 v1, v6 offset:128
.LBB27_137:
	s_or_b64 exec, exec, s[0:1]
	v_cmp_gt_u32_e32 vcc, 4, v0
	s_waitcnt lgkmcnt(0)
	s_barrier
	s_and_saveexec_b64 s[0:1], vcc
	s_cbranch_execz .LBB27_139
; %bb.138:
	ds_read2_b32 v[6:7], v1 offset0:32 offset1:36
	s_waitcnt lgkmcnt(0)
	v_max_i32_e32 v6, v6, v7
	ds_write_b32 v1, v6 offset:128
.LBB27_139:
	s_or_b64 exec, exec, s[0:1]
	v_cmp_gt_u32_e32 vcc, 2, v0
	s_waitcnt lgkmcnt(0)
	s_barrier
	s_and_saveexec_b64 s[0:1], vcc
	s_cbranch_execz .LBB27_141
; %bb.140:
	ds_read2_b32 v[6:7], v1 offset0:32 offset1:34
	s_waitcnt lgkmcnt(0)
	v_max_i32_e32 v6, v6, v7
	ds_write_b32 v1, v6 offset:128
.LBB27_141:
	s_or_b64 exec, exec, s[0:1]
	v_cmp_eq_u32_e32 vcc, 0, v0
	s_waitcnt lgkmcnt(0)
	s_barrier
	s_and_saveexec_b64 s[0:1], vcc
	s_cbranch_execz .LBB27_143
; %bb.142:
	v_mov_b32_e32 v1, 0
	ds_read_b64 v[6:7], v1 offset:128
	s_waitcnt lgkmcnt(0)
	v_max_i32_e32 v6, v6, v7
	ds_write_b32 v1, v6 offset:128
.LBB27_143:
	s_or_b64 exec, exec, s[0:1]
	s_waitcnt lgkmcnt(0)
	s_barrier
	s_and_saveexec_b64 s[0:1], vcc
	s_cbranch_execz .LBB27_146
; %bb.144:
	v_mbcnt_lo_u32_b32 v1, exec_lo, 0
	v_mbcnt_hi_u32_b32 v1, exec_hi, v1
	v_cmp_eq_u32_e32 vcc, 0, v1
	s_and_b64 exec, exec, vcc
	s_cbranch_execz .LBB27_146
; %bb.145:
	v_mov_b32_e32 v1, 0
	ds_read_b32 v6, v1 offset:128
	v_readlane_b32 s4, v48, 0
	v_readlane_b32 s5, v48, 1
	;; [unrolled: 1-line block ×4, first 2 shown]
	s_waitcnt lgkmcnt(0)
	v_add_u32_e32 v6, 1, v6
	s_nop 0
	global_atomic_smax v1, v6, s[4:5]
.LBB27_146:
	s_or_b64 exec, exec, s[0:1]
.LBB27_147:
	v_cmp_eq_u32_e32 vcc, 0, v0
	s_mov_b32 s0, 0
	s_and_b64 s[2:3], vcc, s[34:35]
	s_and_saveexec_b64 s[4:5], s[2:3]
	s_cbranch_execz .LBB27_152
; %bb.148:
	v_mov_b32_e32 v0, 0
	global_load_dwordx2 v[6:7], v0, s[20:21] glc
	s_brev_b32 s1, 1
	s_mov_b64 s[6:7], 0
                                        ; implicit-def: $sgpr8_sgpr9
                                        ; implicit-def: $sgpr10_sgpr11
	s_waitcnt vmcnt(0)
	v_cmp_eq_u64_e64 s[12:13], s[0:1], v[6:7]
	v_cmp_eq_f64_e64 s[0:1], 0, v[4:5]
	s_branch .LBB27_150
.LBB27_149:                             ;   in Loop: Header=BB27_150 Depth=1
	s_or_b64 exec, exec, s[14:15]
	s_and_b64 s[2:3], exec, s[8:9]
	s_or_b64 s[6:7], s[2:3], s[6:7]
	s_andn2_b64 s[2:3], s[12:13], exec
	s_and_b64 s[12:13], s[10:11], exec
	s_or_b64 s[12:13], s[2:3], s[12:13]
	s_andn2_b64 exec, exec, s[6:7]
	s_cbranch_execz .LBB27_152
.LBB27_150:                             ; =>This Inner Loop Header: Depth=1
	v_cmp_lt_f64_e64 s[2:3], v[6:7], v[4:5]
	s_and_b64 s[14:15], s[0:1], s[12:13]
	s_or_b64 s[2:3], s[2:3], s[14:15]
	s_andn2_b64 s[10:11], s[10:11], exec
	s_or_b64 s[8:9], s[8:9], exec
	s_and_saveexec_b64 s[14:15], s[2:3]
	s_cbranch_execz .LBB27_149
; %bb.151:                              ;   in Loop: Header=BB27_150 Depth=1
	global_atomic_cmpswap_x2 v[8:9], v0, v[4:7], s[20:21] glc
	s_andn2_b64 s[8:9], s[8:9], exec
	s_andn2_b64 s[10:11], s[10:11], exec
                                        ; implicit-def: $sgpr12_sgpr13
	s_waitcnt vmcnt(0)
	v_cmp_eq_u64_e64 s[2:3], v[8:9], v[6:7]
	v_cndmask_b32_e64 v7, v9, v7, s[2:3]
	v_cndmask_b32_e64 v6, v8, v6, s[2:3]
	s_and_b64 s[2:3], s[2:3], exec
	v_cmp_class_f64_e64 s[16:17], v[6:7], 32
	s_or_b64 s[8:9], s[8:9], s[2:3]
	s_and_b64 s[2:3], s[16:17], exec
	s_or_b64 s[10:11], s[10:11], s[2:3]
	v_pk_mov_b32 v[6:7], v[8:9], v[8:9] op_sel:[0,1]
	s_branch .LBB27_149
.LBB27_152:
	s_or_b64 exec, exec, s[4:5]
	s_and_b64 s[0:1], vcc, s[18:19]
	s_and_saveexec_b64 s[2:3], s[0:1]
	s_cbranch_execz .LBB27_157
; %bb.153:
	v_mov_b32_e32 v0, 0
	global_load_dwordx2 v[4:5], v0, s[22:23] glc
	s_mov_b32 s0, 0
	s_brev_b32 s1, 1
	s_mov_b64 s[2:3], 0
	v_cmp_eq_f64_e32 vcc, 0, v[2:3]
                                        ; implicit-def: $sgpr4_sgpr5
                                        ; implicit-def: $sgpr6_sgpr7
	s_waitcnt vmcnt(0)
	v_cmp_eq_u64_e64 s[8:9], s[0:1], v[4:5]
	s_branch .LBB27_155
.LBB27_154:                             ;   in Loop: Header=BB27_155 Depth=1
	s_or_b64 exec, exec, s[10:11]
	s_and_b64 s[0:1], exec, s[4:5]
	s_or_b64 s[2:3], s[0:1], s[2:3]
	s_andn2_b64 s[0:1], s[8:9], exec
	s_and_b64 s[8:9], s[6:7], exec
	s_or_b64 s[8:9], s[0:1], s[8:9]
	s_andn2_b64 exec, exec, s[2:3]
	s_cbranch_execz .LBB27_157
.LBB27_155:                             ; =>This Inner Loop Header: Depth=1
	v_cmp_lt_f64_e64 s[0:1], v[4:5], v[2:3]
	s_and_b64 s[10:11], vcc, s[8:9]
	s_or_b64 s[0:1], s[0:1], s[10:11]
	s_andn2_b64 s[6:7], s[6:7], exec
	s_or_b64 s[4:5], s[4:5], exec
	s_and_saveexec_b64 s[10:11], s[0:1]
	s_cbranch_execz .LBB27_154
; %bb.156:                              ;   in Loop: Header=BB27_155 Depth=1
	global_atomic_cmpswap_x2 v[6:7], v0, v[2:5], s[22:23] glc
	s_andn2_b64 s[4:5], s[4:5], exec
	s_andn2_b64 s[6:7], s[6:7], exec
                                        ; implicit-def: $sgpr8_sgpr9
	s_waitcnt vmcnt(0)
	v_cmp_eq_u64_e64 s[0:1], v[6:7], v[4:5]
	v_cndmask_b32_e64 v5, v7, v5, s[0:1]
	v_cndmask_b32_e64 v4, v6, v4, s[0:1]
	s_and_b64 s[0:1], s[0:1], exec
	v_cmp_class_f64_e64 s[12:13], v[4:5], 32
	s_or_b64 s[4:5], s[4:5], s[0:1]
	s_and_b64 s[0:1], s[12:13], exec
	s_or_b64 s[6:7], s[6:7], s[0:1]
	v_pk_mov_b32 v[4:5], v[6:7], v[6:7] op_sel:[0,1]
	s_branch .LBB27_154
.LBB27_157:
	s_endpgm
	.section	.rodata,"a",@progbits
	.p2align	6, 0x0
	.amdhsa_kernel _ZN9rocsparseL6kernelILi1024ELi64EdiiEEvbbbT3_PS1_NS_15floating_traitsIT1_E6data_tES1_T2_PKS7_S9_PKS1_PKS4_21rocsparse_index_base_S9_S9_SB_PS4_SF_SE_S9_S9_SB_SF_SF_SE_SF_SF_PS6_SG_PKS6_
		.amdhsa_group_segment_fixed_size 192
		.amdhsa_private_segment_fixed_size 0
		.amdhsa_kernarg_size 208
		.amdhsa_user_sgpr_count 6
		.amdhsa_user_sgpr_private_segment_buffer 1
		.amdhsa_user_sgpr_dispatch_ptr 0
		.amdhsa_user_sgpr_queue_ptr 0
		.amdhsa_user_sgpr_kernarg_segment_ptr 1
		.amdhsa_user_sgpr_dispatch_id 0
		.amdhsa_user_sgpr_flat_scratch_init 0
		.amdhsa_user_sgpr_kernarg_preload_length 0
		.amdhsa_user_sgpr_kernarg_preload_offset 0
		.amdhsa_user_sgpr_private_segment_size 0
		.amdhsa_uses_dynamic_stack 0
		.amdhsa_system_sgpr_private_segment_wavefront_offset 0
		.amdhsa_system_sgpr_workgroup_id_x 1
		.amdhsa_system_sgpr_workgroup_id_y 0
		.amdhsa_system_sgpr_workgroup_id_z 0
		.amdhsa_system_sgpr_workgroup_info 0
		.amdhsa_system_vgpr_workitem_id 0
		.amdhsa_next_free_vgpr 49
		.amdhsa_next_free_sgpr 96
		.amdhsa_accum_offset 52
		.amdhsa_reserve_vcc 1
		.amdhsa_reserve_flat_scratch 0
		.amdhsa_float_round_mode_32 0
		.amdhsa_float_round_mode_16_64 0
		.amdhsa_float_denorm_mode_32 3
		.amdhsa_float_denorm_mode_16_64 3
		.amdhsa_dx10_clamp 1
		.amdhsa_ieee_mode 1
		.amdhsa_fp16_overflow 0
		.amdhsa_tg_split 0
		.amdhsa_exception_fp_ieee_invalid_op 0
		.amdhsa_exception_fp_denorm_src 0
		.amdhsa_exception_fp_ieee_div_zero 0
		.amdhsa_exception_fp_ieee_overflow 0
		.amdhsa_exception_fp_ieee_underflow 0
		.amdhsa_exception_fp_ieee_inexact 0
		.amdhsa_exception_int_div_zero 0
	.end_amdhsa_kernel
	.section	.text._ZN9rocsparseL6kernelILi1024ELi64EdiiEEvbbbT3_PS1_NS_15floating_traitsIT1_E6data_tES1_T2_PKS7_S9_PKS1_PKS4_21rocsparse_index_base_S9_S9_SB_PS4_SF_SE_S9_S9_SB_SF_SF_SE_SF_SF_PS6_SG_PKS6_,"axG",@progbits,_ZN9rocsparseL6kernelILi1024ELi64EdiiEEvbbbT3_PS1_NS_15floating_traitsIT1_E6data_tES1_T2_PKS7_S9_PKS1_PKS4_21rocsparse_index_base_S9_S9_SB_PS4_SF_SE_S9_S9_SB_SF_SF_SE_SF_SF_PS6_SG_PKS6_,comdat
.Lfunc_end27:
	.size	_ZN9rocsparseL6kernelILi1024ELi64EdiiEEvbbbT3_PS1_NS_15floating_traitsIT1_E6data_tES1_T2_PKS7_S9_PKS1_PKS4_21rocsparse_index_base_S9_S9_SB_PS4_SF_SE_S9_S9_SB_SF_SF_SE_SF_SF_PS6_SG_PKS6_, .Lfunc_end27-_ZN9rocsparseL6kernelILi1024ELi64EdiiEEvbbbT3_PS1_NS_15floating_traitsIT1_E6data_tES1_T2_PKS7_S9_PKS1_PKS4_21rocsparse_index_base_S9_S9_SB_PS4_SF_SE_S9_S9_SB_SF_SF_SE_SF_SF_PS6_SG_PKS6_
                                        ; -- End function
	.section	.AMDGPU.csdata,"",@progbits
; Kernel info:
; codeLenInByte = 5540
; NumSgprs: 100
; NumVgprs: 49
; NumAgprs: 0
; TotalNumVgprs: 49
; ScratchSize: 0
; MemoryBound: 1
; FloatMode: 240
; IeeeMode: 1
; LDSByteSize: 192 bytes/workgroup (compile time only)
; SGPRBlocks: 12
; VGPRBlocks: 6
; NumSGPRsForWavesPerEU: 100
; NumVGPRsForWavesPerEU: 49
; AccumOffset: 52
; Occupancy: 8
; WaveLimiterHint : 1
; COMPUTE_PGM_RSRC2:SCRATCH_EN: 0
; COMPUTE_PGM_RSRC2:USER_SGPR: 6
; COMPUTE_PGM_RSRC2:TRAP_HANDLER: 0
; COMPUTE_PGM_RSRC2:TGID_X_EN: 1
; COMPUTE_PGM_RSRC2:TGID_Y_EN: 0
; COMPUTE_PGM_RSRC2:TGID_Z_EN: 0
; COMPUTE_PGM_RSRC2:TIDIG_COMP_CNT: 0
; COMPUTE_PGM_RSRC3_GFX90A:ACCUM_OFFSET: 12
; COMPUTE_PGM_RSRC3_GFX90A:TG_SPLIT: 0
	.section	.text._ZN9rocsparseL14kernel_freerunILi1024ELi1E21rocsparse_complex_numIfEiiEEvT3_S3_T2_PKS4_S6_PKS3_PKT1_21rocsparse_index_base_S6_S6_S8_PS9_SD_SC_S6_S6_S8_SD_SD_SC_SD_SD_,"axG",@progbits,_ZN9rocsparseL14kernel_freerunILi1024ELi1E21rocsparse_complex_numIfEiiEEvT3_S3_T2_PKS4_S6_PKS3_PKT1_21rocsparse_index_base_S6_S6_S8_PS9_SD_SC_S6_S6_S8_SD_SD_SC_SD_SD_,comdat
	.globl	_ZN9rocsparseL14kernel_freerunILi1024ELi1E21rocsparse_complex_numIfEiiEEvT3_S3_T2_PKS4_S6_PKS3_PKT1_21rocsparse_index_base_S6_S6_S8_PS9_SD_SC_S6_S6_S8_SD_SD_SC_SD_SD_ ; -- Begin function _ZN9rocsparseL14kernel_freerunILi1024ELi1E21rocsparse_complex_numIfEiiEEvT3_S3_T2_PKS4_S6_PKS3_PKT1_21rocsparse_index_base_S6_S6_S8_PS9_SD_SC_S6_S6_S8_SD_SD_SC_SD_SD_
	.p2align	8
	.type	_ZN9rocsparseL14kernel_freerunILi1024ELi1E21rocsparse_complex_numIfEiiEEvT3_S3_T2_PKS4_S6_PKS3_PKT1_21rocsparse_index_base_S6_S6_S8_PS9_SD_SC_S6_S6_S8_SD_SD_SC_SD_SD_,@function
_ZN9rocsparseL14kernel_freerunILi1024ELi1E21rocsparse_complex_numIfEiiEEvT3_S3_T2_PKS4_S6_PKS3_PKT1_21rocsparse_index_base_S6_S6_S8_PS9_SD_SC_S6_S6_S8_SD_SD_SC_SD_SD_: ; @_ZN9rocsparseL14kernel_freerunILi1024ELi1E21rocsparse_complex_numIfEiiEEvT3_S3_T2_PKS4_S6_PKS3_PKT1_21rocsparse_index_base_S6_S6_S8_PS9_SD_SC_S6_S6_S8_SD_SD_SC_SD_SD_
; %bb.0:
	s_load_dwordx2 s[10:11], s[4:5], 0x0
	s_lshl_b32 s65, s6, 10
	v_or_b32_e32 v0, s65, v0
	s_mov_b32 s33, 0
	s_waitcnt lgkmcnt(0)
	s_cmp_gt_i32 s10, 0
	v_cmp_gt_i32_e32 vcc, s11, v0
	s_cselect_b64 s[0:1], -1, 0
	s_and_b64 s[0:1], vcc, s[0:1]
	s_and_saveexec_b64 s[2:3], s[0:1]
	s_cbranch_execz .LBB28_68
; %bb.1:
	s_load_dwordx8 s[12:19], s[4:5], 0x38
	s_load_dwordx8 s[20:27], s[4:5], 0x10
	v_ashrrev_i32_e32 v1, 31, v0
	v_lshlrev_b64 v[2:3], 2, v[0:1]
	s_addk_i32 s65, 0x400
	s_waitcnt lgkmcnt(0)
	v_mov_b32_e32 v1, s15
	v_add_co_u32_e32 v4, vcc, s14, v2
	v_addc_co_u32_e32 v5, vcc, v1, v3, vcc
	global_load_dword v6, v[4:5], off
	v_mov_b32_e32 v1, s13
	v_add_co_u32_e32 v4, vcc, s12, v2
	v_addc_co_u32_e32 v5, vcc, v1, v3, vcc
	global_load_dword v7, v[4:5], off
	v_mov_b32_e32 v1, s21
	v_add_co_u32_e32 v4, vcc, s20, v2
	v_addc_co_u32_e32 v5, vcc, v1, v3, vcc
	v_mov_b32_e32 v1, s23
	v_add_co_u32_e32 v2, vcc, s22, v2
	v_addc_co_u32_e32 v3, vcc, v1, v3, vcc
	global_load_dword v4, v[4:5], off
	v_mov_b32_e32 v8, s17
	global_load_dword v3, v[2:3], off
	s_load_dwordx4 s[20:23], s[4:5], 0x98
	s_load_dwordx8 s[36:43], s[4:5], 0x68
	s_load_dword s62, s[4:5], 0x30
	s_load_dwordx2 s[28:29], s[4:5], 0x58
	s_load_dword s63, s[4:5], 0x60
	s_load_dwordx2 s[30:31], s[4:5], 0x88
	s_load_dword s64, s[4:5], 0x90
	v_mov_b32_e32 v9, s19
	s_mov_b32 s66, 0xf800000
	v_mov_b32_e32 v1, 0x260
	s_movk_i32 s67, 0x1f8
	v_cmp_gt_u32_e64 s[0:1], s65, v0
	s_waitcnt vmcnt(2) lgkmcnt(0)
	v_subrev_u32_e32 v2, s63, v7
	v_sub_u32_e32 v20, v6, v7
	v_cmp_lt_i32_e64 s[4:5], 0, v20
	s_waitcnt vmcnt(1)
	v_subrev_u32_e32 v21, s62, v4
	s_waitcnt vmcnt(0)
	v_subrev_u32_e32 v22, s62, v3
	v_cmp_lt_i32_e64 s[2:3], v4, v3
	v_ashrrev_i32_e32 v3, 31, v2
	v_lshlrev_b64 v[4:5], 2, v[2:3]
	v_lshlrev_b64 v[6:7], 3, v[2:3]
	v_add_co_u32_e32 v3, vcc, s16, v4
	v_addc_co_u32_e32 v23, vcc, v8, v5, vcc
	v_add_co_u32_e32 v24, vcc, s18, v6
	v_addc_co_u32_e32 v25, vcc, v9, v7, vcc
	v_mov_b32_e32 v5, 0
	s_branch .LBB28_3
.LBB28_2:                               ;   in Loop: Header=BB28_3 Depth=1
	s_or_b64 exec, exec, s[6:7]
	s_add_i32 s33, s33, 1
	s_cmp_eq_u32 s33, s10
	s_cbranch_scc1 .LBB28_68
.LBB28_3:                               ; =>This Loop Header: Depth=1
                                        ;     Child Loop BB28_6 Depth 2
                                        ;       Child Loop BB28_10 Depth 3
                                        ;       Child Loop BB28_40 Depth 3
	;; [unrolled: 1-line block ×3, first 2 shown]
                                        ;     Child Loop BB28_61 Depth 2
                                        ;       Child Loop BB28_64 Depth 3
                                        ;       Child Loop BB28_67 Depth 3
	s_and_saveexec_b64 s[34:35], s[2:3]
	s_cbranch_execz .LBB28_57
; %bb.4:                                ;   in Loop: Header=BB28_3 Depth=1
	s_mov_b64 s[44:45], 0
	v_mov_b32_e32 v6, v21
	s_branch .LBB28_6
.LBB28_5:                               ;   in Loop: Header=BB28_6 Depth=2
	s_or_b64 exec, exec, s[8:9]
	v_add_u32_e32 v6, 1, v6
	v_cmp_ge_i32_e32 vcc, v6, v22
	s_or_b64 s[44:45], vcc, s[44:45]
	s_andn2_b64 exec, exec, s[44:45]
	s_cbranch_execz .LBB28_57
.LBB28_6:                               ;   Parent Loop BB28_3 Depth=1
                                        ; =>  This Loop Header: Depth=2
                                        ;       Child Loop BB28_10 Depth 3
                                        ;       Child Loop BB28_40 Depth 3
	;; [unrolled: 1-line block ×3, first 2 shown]
	v_ashrrev_i32_e32 v7, 31, v6
	v_lshlrev_b64 v[8:9], 2, v[6:7]
	v_mov_b32_e32 v4, s25
	v_add_co_u32_e32 v8, vcc, s24, v8
	v_addc_co_u32_e32 v9, vcc, v4, v9, vcc
	global_load_dword v4, v[8:9], off
	v_mov_b32_e32 v13, s37
	v_mov_b32_e32 v14, s39
	s_waitcnt vmcnt(0)
	v_subrev_u32_e32 v10, s62, v4
	v_ashrrev_i32_e32 v11, 31, v10
	v_lshlrev_b64 v[8:9], 2, v[10:11]
	v_add_co_u32_e32 v12, vcc, s36, v8
	v_addc_co_u32_e32 v13, vcc, v13, v9, vcc
	v_add_co_u32_e32 v8, vcc, s38, v8
	v_addc_co_u32_e32 v9, vcc, v14, v9, vcc
	global_load_dword v13, v[12:13], off
	s_nop 0
	global_load_dword v14, v[8:9], off
	v_mov_b32_e32 v9, 0
	v_mov_b32_e32 v4, 0
	;; [unrolled: 1-line block ×3, first 2 shown]
	s_waitcnt vmcnt(1)
	v_subrev_u32_e32 v12, s64, v13
	s_waitcnt vmcnt(0)
	v_sub_u32_e32 v26, v14, v13
	v_mov_b32_e32 v14, 0
	s_and_saveexec_b64 s[6:7], s[4:5]
	s_cbranch_execz .LBB28_14
; %bb.7:                                ;   in Loop: Header=BB28_6 Depth=2
	v_ashrrev_i32_e32 v13, 31, v12
	v_lshlrev_b64 v[8:9], 2, v[12:13]
	v_mov_b32_e32 v4, s41
	v_add_co_u32_e32 v16, vcc, s40, v8
	v_addc_co_u32_e32 v17, vcc, v4, v9, vcc
	v_lshlrev_b64 v[8:9], 3, v[12:13]
	v_mov_b32_e32 v4, s43
	v_add_co_u32_e32 v13, vcc, s42, v8
	v_mov_b32_e32 v14, 0
	v_mov_b32_e32 v8, 0
	v_addc_co_u32_e32 v18, vcc, v4, v9, vcc
	s_mov_b64 s[8:9], 0
	v_mov_b32_e32 v4, v14
	v_mov_b32_e32 v9, v8
                                        ; implicit-def: $sgpr46_sgpr47
	s_branch .LBB28_10
.LBB28_8:                               ;   in Loop: Header=BB28_10 Depth=3
	s_or_b64 exec, exec, s[50:51]
	v_cmp_le_i32_e32 vcc, v19, v27
	v_addc_co_u32_e32 v4, vcc, 0, v4, vcc
	v_cmp_ge_i32_e32 vcc, v19, v27
	v_addc_co_u32_e32 v14, vcc, 0, v14, vcc
	v_cmp_ge_i32_e32 vcc, v4, v20
	s_andn2_b64 s[46:47], s[46:47], exec
	s_and_b64 s[50:51], vcc, exec
	s_or_b64 s[46:47], s[46:47], s[50:51]
.LBB28_9:                               ;   in Loop: Header=BB28_10 Depth=3
	s_or_b64 exec, exec, s[48:49]
	s_and_b64 s[48:49], exec, s[46:47]
	s_or_b64 s[8:9], s[48:49], s[8:9]
	s_andn2_b64 exec, exec, s[8:9]
	s_cbranch_execz .LBB28_13
.LBB28_10:                              ;   Parent Loop BB28_3 Depth=1
                                        ;     Parent Loop BB28_6 Depth=2
                                        ; =>    This Inner Loop Header: Depth=3
	v_cmp_lt_i32_e32 vcc, v14, v26
	s_or_b64 s[46:47], s[46:47], exec
	s_and_saveexec_b64 s[48:49], vcc
	s_cbranch_execz .LBB28_9
; %bb.11:                               ;   in Loop: Header=BB28_10 Depth=3
	v_lshlrev_b64 v[28:29], 2, v[4:5]
	v_add_co_u32_e32 v28, vcc, v3, v28
	v_addc_co_u32_e32 v29, vcc, v23, v29, vcc
	v_mov_b32_e32 v15, v5
	global_load_dword v19, v[28:29], off
	v_lshlrev_b64 v[28:29], 2, v[14:15]
	v_add_co_u32_e32 v28, vcc, v16, v28
	v_addc_co_u32_e32 v29, vcc, v17, v29, vcc
	global_load_dword v27, v[28:29], off
	s_waitcnt vmcnt(1)
	v_subrev_u32_e32 v19, s63, v19
	s_waitcnt vmcnt(0)
	v_subrev_u32_e32 v27, s64, v27
	v_cmp_eq_u32_e32 vcc, v19, v27
	s_and_saveexec_b64 s[50:51], vcc
	s_cbranch_execz .LBB28_8
; %bb.12:                               ;   in Loop: Header=BB28_10 Depth=3
	v_lshlrev_b64 v[28:29], 3, v[4:5]
	v_add_co_u32_e32 v28, vcc, v24, v28
	v_addc_co_u32_e32 v29, vcc, v25, v29, vcc
	v_lshlrev_b64 v[30:31], 3, v[14:15]
	v_add_co_u32_e32 v30, vcc, v13, v30
	v_addc_co_u32_e32 v31, vcc, v18, v31, vcc
	global_load_dwordx2 v[30:31], v[30:31], off
	s_nop 0
	global_load_dwordx2 v[28:29], v[28:29], off
	s_waitcnt vmcnt(0)
	v_pk_fma_f32 v[8:9], v[28:29], v[30:31], v[8:9] op_sel_hi:[1,0,1]
	v_pk_fma_f32 v[8:9], v[28:29], v[30:31], v[8:9] op_sel:[1,1,0] op_sel_hi:[0,1,1] neg_lo:[1,0,0]
	s_branch .LBB28_8
.LBB28_13:                              ;   in Loop: Header=BB28_6 Depth=2
	s_or_b64 exec, exec, s[8:9]
.LBB28_14:                              ;   in Loop: Header=BB28_6 Depth=2
	s_or_b64 exec, exec, s[6:7]
	v_lshlrev_b64 v[16:17], 3, v[6:7]
	v_mov_b32_e32 v7, s27
	v_add_co_u32_e32 v16, vcc, s26, v16
	v_addc_co_u32_e32 v17, vcc, v7, v17, vcc
	global_load_dwordx2 v[16:17], v[16:17], off
	v_cmp_le_i32_e64 s[6:7], v0, v10
	v_cmp_gt_i32_e32 vcc, v0, v10
	s_waitcnt vmcnt(0)
	v_pk_add_f32 v[8:9], v[16:17], v[8:9] neg_lo:[0,1] neg_hi:[0,1]
	s_and_saveexec_b64 s[46:47], vcc
	s_cbranch_execz .LBB28_24
; %bb.15:                               ;   in Loop: Header=BB28_6 Depth=2
	v_lshlrev_b64 v[16:17], 3, v[10:11]
	v_mov_b32_e32 v7, s21
	v_add_co_u32_e32 v16, vcc, s20, v16
	v_addc_co_u32_e32 v17, vcc, v7, v17, vcc
	global_load_dwordx2 v[16:17], v[16:17], off
                                        ; implicit-def: $vgpr15
	s_waitcnt vmcnt(0)
	v_cmp_gt_f32_e32 vcc, 0, v16
	v_cndmask_b32_e64 v7, v16, -v16, vcc
	v_cmp_gt_f32_e32 vcc, 0, v17
	v_cndmask_b32_e64 v13, v17, -v17, vcc
	v_cmp_ngt_f32_e32 vcc, v7, v13
	s_and_saveexec_b64 s[8:9], vcc
	s_xor_b64 s[48:49], exec, s[8:9]
	s_cbranch_execz .LBB28_19
; %bb.16:                               ;   in Loop: Header=BB28_6 Depth=2
	v_cmp_neq_f32_e32 vcc, 0, v17
	v_mov_b32_e32 v15, 0
	s_and_saveexec_b64 s[50:51], vcc
	s_cbranch_execz .LBB28_18
; %bb.17:                               ;   in Loop: Header=BB28_6 Depth=2
	v_div_scale_f32 v15, s[8:9], v13, v13, v7
	v_rcp_f32_e32 v18, v15
	v_div_scale_f32 v19, vcc, v7, v13, v7
	v_fma_f32 v27, -v15, v18, 1.0
	v_fmac_f32_e32 v18, v27, v18
	v_mul_f32_e32 v27, v19, v18
	v_fma_f32 v28, -v15, v27, v19
	v_fmac_f32_e32 v27, v28, v18
	v_fma_f32 v15, -v15, v27, v19
	v_div_fmas_f32 v15, v15, v18, v27
	v_div_fixup_f32 v7, v15, v13, v7
	v_fma_f32 v7, v7, v7, 1.0
	v_mul_f32_e32 v15, 0x4f800000, v7
	v_cmp_gt_f32_e32 vcc, s66, v7
	v_cndmask_b32_e32 v7, v7, v15, vcc
	v_sqrt_f32_e32 v15, v7
	v_add_u32_e32 v18, -1, v15
	v_fma_f32 v19, -v18, v15, v7
	v_cmp_ge_f32_e64 s[8:9], 0, v19
	v_add_u32_e32 v19, 1, v15
	v_cndmask_b32_e64 v18, v15, v18, s[8:9]
	v_fma_f32 v15, -v19, v15, v7
	v_cmp_lt_f32_e64 s[8:9], 0, v15
	v_cndmask_b32_e64 v15, v18, v19, s[8:9]
	v_mul_f32_e32 v18, 0x37800000, v15
	v_cndmask_b32_e32 v15, v15, v18, vcc
	v_cmp_class_f32_e32 vcc, v7, v1
	v_cndmask_b32_e32 v7, v15, v7, vcc
	v_mul_f32_e32 v15, v13, v7
.LBB28_18:                              ;   in Loop: Header=BB28_6 Depth=2
	s_or_b64 exec, exec, s[50:51]
                                        ; implicit-def: $vgpr7
                                        ; implicit-def: $vgpr13
.LBB28_19:                              ;   in Loop: Header=BB28_6 Depth=2
	s_andn2_saveexec_b64 s[48:49], s[48:49]
	s_cbranch_execz .LBB28_21
; %bb.20:                               ;   in Loop: Header=BB28_6 Depth=2
	v_div_scale_f32 v15, s[8:9], v7, v7, v13
	v_rcp_f32_e32 v18, v15
	v_div_scale_f32 v19, vcc, v13, v7, v13
	v_fma_f32 v27, -v15, v18, 1.0
	v_fmac_f32_e32 v18, v27, v18
	v_mul_f32_e32 v27, v19, v18
	v_fma_f32 v28, -v15, v27, v19
	v_fmac_f32_e32 v27, v28, v18
	v_fma_f32 v15, -v15, v27, v19
	v_div_fmas_f32 v15, v15, v18, v27
	v_div_fixup_f32 v13, v15, v7, v13
	v_fma_f32 v13, v13, v13, 1.0
	v_mul_f32_e32 v15, 0x4f800000, v13
	v_cmp_gt_f32_e32 vcc, s66, v13
	v_cndmask_b32_e32 v13, v13, v15, vcc
	v_sqrt_f32_e32 v15, v13
	v_add_u32_e32 v18, -1, v15
	v_fma_f32 v19, -v18, v15, v13
	v_cmp_ge_f32_e64 s[8:9], 0, v19
	v_add_u32_e32 v19, 1, v15
	v_cndmask_b32_e64 v18, v15, v18, s[8:9]
	v_fma_f32 v15, -v19, v15, v13
	v_cmp_lt_f32_e64 s[8:9], 0, v15
	v_cndmask_b32_e64 v15, v18, v19, s[8:9]
	v_mul_f32_e32 v18, 0x37800000, v15
	v_cndmask_b32_e32 v15, v15, v18, vcc
	v_cmp_class_f32_e32 vcc, v13, v1
	v_cndmask_b32_e32 v13, v15, v13, vcc
	v_mul_f32_e32 v15, v7, v13
.LBB28_21:                              ;   in Loop: Header=BB28_6 Depth=2
	s_or_b64 exec, exec, s[48:49]
	v_cmp_lt_f32_e32 vcc, 0, v15
	v_mov_b32_e32 v19, 0
	v_mov_b32_e32 v18, 0
	s_and_saveexec_b64 s[8:9], vcc
	s_cbranch_execz .LBB28_23
; %bb.22:                               ;   in Loop: Header=BB28_6 Depth=2
	v_mul_f32_e32 v7, v17, v17
	v_fmac_f32_e32 v7, v16, v16
	v_div_scale_f32 v13, s[48:49], v7, v7, 1.0
	v_rcp_f32_e32 v15, v13
	v_div_scale_f32 v18, vcc, 1.0, v7, 1.0
	v_xor_b32_e32 v29, 0x80000000, v8
	v_fma_f32 v19, -v13, v15, 1.0
	v_fmac_f32_e32 v15, v19, v15
	v_mul_f32_e32 v19, v18, v15
	v_fma_f32 v27, -v13, v19, v18
	v_fmac_f32_e32 v19, v27, v15
	v_fma_f32 v13, -v13, v19, v18
	v_mov_b32_e32 v28, v9
	v_div_fmas_f32 v13, v13, v15, v19
	v_pk_mul_f32 v[28:29], v[28:29], v[16:17] op_sel:[0,1]
	v_div_fixup_f32 v18, v13, v7, 1.0
	v_pk_fma_f32 v[8:9], v[8:9], v[16:17], v[28:29] op_sel_hi:[1,0,1]
	v_pk_mul_f32 v[18:19], v[8:9], v[18:19] op_sel_hi:[1,0]
.LBB28_23:                              ;   in Loop: Header=BB28_6 Depth=2
	s_or_b64 exec, exec, s[8:9]
	v_mov_b32_e32 v9, v19
	v_mov_b32_e32 v8, v18
.LBB28_24:                              ;   in Loop: Header=BB28_6 Depth=2
	s_or_b64 exec, exec, s[46:47]
	v_cmp_gt_f32_e32 vcc, 0, v8
	v_cndmask_b32_e64 v7, v8, -v8, vcc
	v_cmp_gt_f32_e32 vcc, 0, v9
	v_cndmask_b32_e64 v13, v9, -v9, vcc
	v_cmp_ngt_f32_e32 vcc, v7, v13
                                        ; implicit-def: $vgpr15
	s_and_saveexec_b64 s[8:9], vcc
	s_xor_b64 s[46:47], exec, s[8:9]
	s_cbranch_execnz .LBB28_27
; %bb.25:                               ;   in Loop: Header=BB28_6 Depth=2
	s_andn2_saveexec_b64 s[46:47], s[46:47]
	s_cbranch_execnz .LBB28_30
.LBB28_26:                              ;   in Loop: Header=BB28_6 Depth=2
	s_or_b64 exec, exec, s[46:47]
	v_cmp_class_f32_e64 s[46:47], v15, s67
	s_and_saveexec_b64 s[8:9], s[46:47]
	s_cbranch_execz .LBB28_5
	s_branch .LBB28_31
.LBB28_27:                              ;   in Loop: Header=BB28_6 Depth=2
	v_cmp_neq_f32_e32 vcc, 0, v9
	v_mov_b32_e32 v15, 0
	s_and_saveexec_b64 s[48:49], vcc
	s_cbranch_execz .LBB28_29
; %bb.28:                               ;   in Loop: Header=BB28_6 Depth=2
	v_div_scale_f32 v15, s[8:9], v13, v13, v7
	v_rcp_f32_e32 v16, v15
	v_div_scale_f32 v17, vcc, v7, v13, v7
	v_fma_f32 v18, -v15, v16, 1.0
	v_fmac_f32_e32 v16, v18, v16
	v_mul_f32_e32 v18, v17, v16
	v_fma_f32 v19, -v15, v18, v17
	v_fmac_f32_e32 v18, v19, v16
	v_fma_f32 v15, -v15, v18, v17
	v_div_fmas_f32 v15, v15, v16, v18
	v_div_fixup_f32 v7, v15, v13, v7
	v_fma_f32 v7, v7, v7, 1.0
	v_mul_f32_e32 v15, 0x4f800000, v7
	v_cmp_gt_f32_e32 vcc, s66, v7
	v_cndmask_b32_e32 v7, v7, v15, vcc
	v_sqrt_f32_e32 v15, v7
	v_add_u32_e32 v16, -1, v15
	v_fma_f32 v17, -v16, v15, v7
	v_cmp_ge_f32_e64 s[8:9], 0, v17
	v_add_u32_e32 v17, 1, v15
	v_cndmask_b32_e64 v16, v15, v16, s[8:9]
	v_fma_f32 v15, -v17, v15, v7
	v_cmp_lt_f32_e64 s[8:9], 0, v15
	v_cndmask_b32_e64 v15, v16, v17, s[8:9]
	v_mul_f32_e32 v16, 0x37800000, v15
	v_cndmask_b32_e32 v15, v15, v16, vcc
	v_cmp_class_f32_e32 vcc, v7, v1
	v_cndmask_b32_e32 v7, v15, v7, vcc
	v_mul_f32_e32 v15, v13, v7
.LBB28_29:                              ;   in Loop: Header=BB28_6 Depth=2
	s_or_b64 exec, exec, s[48:49]
                                        ; implicit-def: $vgpr7
                                        ; implicit-def: $vgpr13
	s_andn2_saveexec_b64 s[46:47], s[46:47]
	s_cbranch_execz .LBB28_26
.LBB28_30:                              ;   in Loop: Header=BB28_6 Depth=2
	v_div_scale_f32 v15, s[8:9], v7, v7, v13
	v_rcp_f32_e32 v16, v15
	v_div_scale_f32 v17, vcc, v13, v7, v13
	v_fma_f32 v18, -v15, v16, 1.0
	v_fmac_f32_e32 v16, v18, v16
	v_mul_f32_e32 v18, v17, v16
	v_fma_f32 v19, -v15, v18, v17
	v_fmac_f32_e32 v18, v19, v16
	v_fma_f32 v15, -v15, v18, v17
	v_div_fmas_f32 v15, v15, v16, v18
	v_div_fixup_f32 v13, v15, v7, v13
	v_fma_f32 v13, v13, v13, 1.0
	v_mul_f32_e32 v15, 0x4f800000, v13
	v_cmp_gt_f32_e32 vcc, s66, v13
	v_cndmask_b32_e32 v13, v13, v15, vcc
	v_sqrt_f32_e32 v15, v13
	v_add_u32_e32 v16, -1, v15
	v_fma_f32 v17, -v16, v15, v13
	v_cmp_ge_f32_e64 s[8:9], 0, v17
	v_add_u32_e32 v17, 1, v15
	v_cndmask_b32_e64 v16, v15, v16, s[8:9]
	v_fma_f32 v15, -v17, v15, v13
	v_cmp_lt_f32_e64 s[8:9], 0, v15
	v_cndmask_b32_e64 v15, v16, v17, s[8:9]
	v_mul_f32_e32 v16, 0x37800000, v15
	v_cndmask_b32_e32 v15, v15, v16, vcc
	v_cmp_class_f32_e32 vcc, v13, v1
	v_cndmask_b32_e32 v13, v15, v13, vcc
	v_mul_f32_e32 v15, v7, v13
	s_or_b64 exec, exec, s[46:47]
	v_cmp_class_f32_e64 s[46:47], v15, s67
	s_and_saveexec_b64 s[8:9], s[46:47]
	s_cbranch_execz .LBB28_5
.LBB28_31:                              ;   in Loop: Header=BB28_6 Depth=2
	s_mov_b64 s[46:47], 0
                                        ; implicit-def: $vgpr16_vgpr17
	s_and_saveexec_b64 s[48:49], s[6:7]
	s_xor_b64 s[6:7], exec, s[48:49]
	s_cbranch_execnz .LBB28_34
; %bb.32:                               ;   in Loop: Header=BB28_6 Depth=2
	s_andn2_saveexec_b64 s[6:7], s[6:7]
	s_cbranch_execnz .LBB28_47
.LBB28_33:                              ;   in Loop: Header=BB28_6 Depth=2
	s_or_b64 exec, exec, s[6:7]
	s_and_b64 exec, exec, s[46:47]
	s_cbranch_execz .LBB28_5
	s_branch .LBB28_56
.LBB28_34:                              ;   in Loop: Header=BB28_6 Depth=2
	v_cmp_ge_i32_e32 vcc, v0, v10
                                        ; implicit-def: $vgpr16_vgpr17
	s_and_saveexec_b64 s[48:49], vcc
	s_xor_b64 s[48:49], exec, s[48:49]
; %bb.35:                               ;   in Loop: Header=BB28_6 Depth=2
	v_lshlrev_b64 v[10:11], 3, v[10:11]
	v_mov_b32_e32 v4, s23
	v_add_co_u32_e32 v16, vcc, s22, v10
	s_mov_b64 s[46:47], exec
	v_addc_co_u32_e32 v17, vcc, v4, v11, vcc
                                        ; implicit-def: $vgpr14
                                        ; implicit-def: $vgpr26
                                        ; implicit-def: $vgpr12
; %bb.36:                               ;   in Loop: Header=BB28_6 Depth=2
	s_andn2_saveexec_b64 s[48:49], s[48:49]
	s_cbranch_execz .LBB28_46
; %bb.37:                               ;   in Loop: Header=BB28_6 Depth=2
	v_cmp_lt_i32_e32 vcc, v14, v26
	s_mov_b64 s[52:53], s[46:47]
                                        ; implicit-def: $vgpr16_vgpr17
	s_and_saveexec_b64 s[50:51], vcc
	s_cbranch_execz .LBB28_45
; %bb.38:                               ;   in Loop: Header=BB28_6 Depth=2
	s_mov_b64 s[54:55], 0
                                        ; implicit-def: $sgpr52_sgpr53
                                        ; implicit-def: $sgpr58_sgpr59
                                        ; implicit-def: $sgpr56_sgpr57
	s_branch .LBB28_40
.LBB28_39:                              ;   in Loop: Header=BB28_40 Depth=3
	s_or_b64 exec, exec, s[60:61]
	s_and_b64 s[60:61], exec, s[58:59]
	s_or_b64 s[54:55], s[60:61], s[54:55]
	s_andn2_b64 s[52:53], s[52:53], exec
	s_and_b64 s[60:61], s[56:57], exec
	s_or_b64 s[52:53], s[52:53], s[60:61]
	s_andn2_b64 exec, exec, s[54:55]
	s_cbranch_execz .LBB28_42
.LBB28_40:                              ;   Parent Loop BB28_3 Depth=1
                                        ;     Parent Loop BB28_6 Depth=2
                                        ; =>    This Inner Loop Header: Depth=3
	v_add_u32_e32 v10, v12, v14
	v_ashrrev_i32_e32 v11, 31, v10
	v_lshlrev_b64 v[16:17], 2, v[10:11]
	v_mov_b32_e32 v4, s41
	v_add_co_u32_e32 v16, vcc, s40, v16
	v_addc_co_u32_e32 v17, vcc, v4, v17, vcc
	global_load_dword v4, v[16:17], off
	s_or_b64 s[56:57], s[56:57], exec
	s_or_b64 s[58:59], s[58:59], exec
	s_waitcnt vmcnt(0)
	v_subrev_u32_e32 v4, s64, v4
	v_cmp_ne_u32_e32 vcc, v4, v0
	s_and_saveexec_b64 s[60:61], vcc
	s_cbranch_execz .LBB28_39
; %bb.41:                               ;   in Loop: Header=BB28_40 Depth=3
	v_add_u32_e32 v14, 1, v14
	v_cmp_ge_i32_e32 vcc, v14, v26
	s_andn2_b64 s[58:59], s[58:59], exec
	s_and_b64 s[68:69], vcc, exec
	s_andn2_b64 s[56:57], s[56:57], exec
	s_or_b64 s[58:59], s[58:59], s[68:69]
	s_branch .LBB28_39
.LBB28_42:                              ;   in Loop: Header=BB28_6 Depth=2
	s_or_b64 exec, exec, s[54:55]
	s_mov_b64 s[54:55], s[46:47]
                                        ; implicit-def: $vgpr16_vgpr17
	s_and_saveexec_b64 s[56:57], s[52:53]
	s_xor_b64 s[52:53], exec, s[56:57]
; %bb.43:                               ;   in Loop: Header=BB28_6 Depth=2
	v_lshlrev_b64 v[10:11], 3, v[10:11]
	v_mov_b32_e32 v4, s31
	v_add_co_u32_e32 v16, vcc, s30, v10
	v_addc_co_u32_e32 v17, vcc, v4, v11, vcc
	s_or_b64 s[54:55], s[46:47], exec
; %bb.44:                               ;   in Loop: Header=BB28_6 Depth=2
	s_or_b64 exec, exec, s[52:53]
	s_andn2_b64 s[52:53], s[46:47], exec
	s_and_b64 s[54:55], s[54:55], exec
	s_or_b64 s[52:53], s[52:53], s[54:55]
.LBB28_45:                              ;   in Loop: Header=BB28_6 Depth=2
	s_or_b64 exec, exec, s[50:51]
	s_andn2_b64 s[46:47], s[46:47], exec
	s_and_b64 s[50:51], s[52:53], exec
	s_or_b64 s[46:47], s[46:47], s[50:51]
.LBB28_46:                              ;   in Loop: Header=BB28_6 Depth=2
	s_or_b64 exec, exec, s[48:49]
	s_and_b64 s[46:47], s[46:47], exec
                                        ; implicit-def: $vgpr10_vgpr11
	s_andn2_saveexec_b64 s[6:7], s[6:7]
	s_cbranch_execz .LBB28_33
.LBB28_47:                              ;   in Loop: Header=BB28_6 Depth=2
	v_cmp_lt_i32_e32 vcc, v4, v20
	s_mov_b64 s[50:51], s[46:47]
                                        ; implicit-def: $vgpr16_vgpr17
	s_and_saveexec_b64 s[48:49], vcc
	s_cbranch_execz .LBB28_55
; %bb.48:                               ;   in Loop: Header=BB28_6 Depth=2
	s_mov_b64 s[52:53], 0
                                        ; implicit-def: $sgpr50_sgpr51
                                        ; implicit-def: $sgpr56_sgpr57
                                        ; implicit-def: $sgpr54_sgpr55
	s_branch .LBB28_50
.LBB28_49:                              ;   in Loop: Header=BB28_50 Depth=3
	s_or_b64 exec, exec, s[58:59]
	s_and_b64 s[58:59], exec, s[56:57]
	s_or_b64 s[52:53], s[58:59], s[52:53]
	s_andn2_b64 s[50:51], s[50:51], exec
	s_and_b64 s[58:59], s[54:55], exec
	s_or_b64 s[50:51], s[50:51], s[58:59]
	s_andn2_b64 exec, exec, s[52:53]
	s_cbranch_execz .LBB28_52
.LBB28_50:                              ;   Parent Loop BB28_3 Depth=1
                                        ;     Parent Loop BB28_6 Depth=2
                                        ; =>    This Inner Loop Header: Depth=3
	v_add_u32_e32 v12, v2, v4
	v_ashrrev_i32_e32 v13, 31, v12
	v_lshlrev_b64 v[14:15], 2, v[12:13]
	v_mov_b32_e32 v7, s17
	v_add_co_u32_e32 v14, vcc, s16, v14
	v_addc_co_u32_e32 v15, vcc, v7, v15, vcc
	global_load_dword v7, v[14:15], off
	s_or_b64 s[54:55], s[54:55], exec
	s_or_b64 s[56:57], s[56:57], exec
	s_waitcnt vmcnt(0)
	v_subrev_u32_e32 v7, s63, v7
	v_cmp_ne_u32_e32 vcc, v7, v10
	s_and_saveexec_b64 s[58:59], vcc
	s_cbranch_execz .LBB28_49
; %bb.51:                               ;   in Loop: Header=BB28_50 Depth=3
	v_add_u32_e32 v4, 1, v4
	v_cmp_ge_i32_e32 vcc, v4, v20
	s_andn2_b64 s[56:57], s[56:57], exec
	s_and_b64 s[60:61], vcc, exec
	s_andn2_b64 s[54:55], s[54:55], exec
	s_or_b64 s[56:57], s[56:57], s[60:61]
	s_branch .LBB28_49
.LBB28_52:                              ;   in Loop: Header=BB28_6 Depth=2
	s_or_b64 exec, exec, s[52:53]
	s_mov_b64 s[52:53], s[46:47]
                                        ; implicit-def: $vgpr16_vgpr17
	s_and_saveexec_b64 s[54:55], s[50:51]
	s_xor_b64 s[50:51], exec, s[54:55]
; %bb.53:                               ;   in Loop: Header=BB28_6 Depth=2
	v_lshlrev_b64 v[10:11], 3, v[12:13]
	v_mov_b32_e32 v4, s29
	v_add_co_u32_e32 v16, vcc, s28, v10
	v_addc_co_u32_e32 v17, vcc, v4, v11, vcc
	s_or_b64 s[52:53], s[46:47], exec
; %bb.54:                               ;   in Loop: Header=BB28_6 Depth=2
	s_or_b64 exec, exec, s[50:51]
	s_andn2_b64 s[50:51], s[46:47], exec
	s_and_b64 s[52:53], s[52:53], exec
	s_or_b64 s[50:51], s[50:51], s[52:53]
.LBB28_55:                              ;   in Loop: Header=BB28_6 Depth=2
	s_or_b64 exec, exec, s[48:49]
	s_andn2_b64 s[46:47], s[46:47], exec
	s_and_b64 s[48:49], s[50:51], exec
	s_or_b64 s[46:47], s[46:47], s[48:49]
	s_or_b64 exec, exec, s[6:7]
	s_and_b64 exec, exec, s[46:47]
	s_cbranch_execz .LBB28_5
.LBB28_56:                              ;   in Loop: Header=BB28_6 Depth=2
	global_store_dwordx2 v[16:17], v[8:9], off
	s_branch .LBB28_5
.LBB28_57:                              ;   in Loop: Header=BB28_3 Depth=1
	s_or_b64 exec, exec, s[34:35]
	s_and_saveexec_b64 s[6:7], s[0:1]
	s_cbranch_execz .LBB28_2
; %bb.58:                               ;   in Loop: Header=BB28_3 Depth=1
	s_mov_b64 s[8:9], 0
	v_mov_b32_e32 v6, v0
	s_branch .LBB28_61
.LBB28_59:                              ;   in Loop: Header=BB28_61 Depth=2
	s_or_b64 exec, exec, s[44:45]
	v_lshlrev_b64 v[8:9], 3, v[6:7]
	v_mov_b32_e32 v4, s23
	v_add_co_u32_e32 v10, vcc, s22, v8
	v_addc_co_u32_e32 v11, vcc, v4, v9, vcc
	global_load_dwordx2 v[10:11], v[10:11], off
	v_mov_b32_e32 v4, s21
	v_add_co_u32_e32 v8, vcc, s20, v8
	v_addc_co_u32_e32 v9, vcc, v4, v9, vcc
	s_waitcnt vmcnt(0)
	global_store_dwordx2 v[8:9], v[10:11], off
.LBB28_60:                              ;   in Loop: Header=BB28_61 Depth=2
	s_or_b64 exec, exec, s[34:35]
	v_add_u32_e32 v6, 0x400, v6
	v_cmp_le_u32_e32 vcc, s65, v6
	s_or_b64 s[8:9], vcc, s[8:9]
	s_andn2_b64 exec, exec, s[8:9]
	s_cbranch_execz .LBB28_2
.LBB28_61:                              ;   Parent Loop BB28_3 Depth=1
                                        ; =>  This Loop Header: Depth=2
                                        ;       Child Loop BB28_64 Depth 3
                                        ;       Child Loop BB28_67 Depth 3
	v_cmp_gt_i32_e32 vcc, s11, v6
	s_and_saveexec_b64 s[34:35], vcc
	s_cbranch_execz .LBB28_60
; %bb.62:                               ;   in Loop: Header=BB28_61 Depth=2
	v_ashrrev_i32_e32 v7, 31, v6
	v_lshlrev_b64 v[8:9], 2, v[6:7]
	v_mov_b32_e32 v4, s13
	v_add_co_u32_e32 v10, vcc, s12, v8
	v_addc_co_u32_e32 v11, vcc, v4, v9, vcc
	v_mov_b32_e32 v4, s15
	v_add_co_u32_e32 v12, vcc, s14, v8
	v_addc_co_u32_e32 v13, vcc, v4, v9, vcc
	global_load_dword v10, v[10:11], off
	s_nop 0
	global_load_dword v4, v[12:13], off
	s_waitcnt vmcnt(0)
	v_cmp_lt_i32_e32 vcc, v10, v4
	s_and_saveexec_b64 s[44:45], vcc
	s_cbranch_execz .LBB28_65
; %bb.63:                               ;   in Loop: Header=BB28_61 Depth=2
	v_subrev_u32_e32 v10, s63, v10
	v_ashrrev_i32_e32 v11, 31, v10
	v_lshlrev_b64 v[14:15], 3, v[10:11]
	v_mov_b32_e32 v11, s29
	v_add_co_u32_e32 v12, vcc, s28, v14
	v_addc_co_u32_e32 v13, vcc, v11, v15, vcc
	v_mov_b32_e32 v11, s19
	v_add_co_u32_e32 v14, vcc, s18, v14
	v_subrev_u32_e32 v4, s63, v4
	v_addc_co_u32_e32 v15, vcc, v11, v15, vcc
	s_mov_b64 s[46:47], 0
.LBB28_64:                              ;   Parent Loop BB28_3 Depth=1
                                        ;     Parent Loop BB28_61 Depth=2
                                        ; =>    This Inner Loop Header: Depth=3
	global_load_dwordx2 v[16:17], v[12:13], off
	v_add_co_u32_e32 v12, vcc, 8, v12
	v_add_u32_e32 v10, 1, v10
	v_addc_co_u32_e32 v13, vcc, 0, v13, vcc
	v_cmp_ge_i32_e32 vcc, v10, v4
	s_or_b64 s[46:47], vcc, s[46:47]
	s_waitcnt vmcnt(0)
	global_store_dwordx2 v[14:15], v[16:17], off
	v_add_co_u32_e32 v14, vcc, 8, v14
	v_addc_co_u32_e32 v15, vcc, 0, v15, vcc
	s_andn2_b64 exec, exec, s[46:47]
	s_cbranch_execnz .LBB28_64
.LBB28_65:                              ;   in Loop: Header=BB28_61 Depth=2
	s_or_b64 exec, exec, s[44:45]
	v_mov_b32_e32 v4, s37
	v_add_co_u32_e32 v10, vcc, s36, v8
	v_addc_co_u32_e32 v11, vcc, v4, v9, vcc
	v_mov_b32_e32 v4, s39
	v_add_co_u32_e32 v8, vcc, s38, v8
	v_addc_co_u32_e32 v9, vcc, v4, v9, vcc
	global_load_dword v10, v[10:11], off
	s_nop 0
	global_load_dword v4, v[8:9], off
	s_waitcnt vmcnt(0)
	v_cmp_lt_i32_e32 vcc, v10, v4
	s_and_saveexec_b64 s[44:45], vcc
	s_cbranch_execz .LBB28_59
; %bb.66:                               ;   in Loop: Header=BB28_61 Depth=2
	v_subrev_u32_e32 v8, s64, v10
	v_ashrrev_i32_e32 v9, 31, v8
	v_lshlrev_b64 v[12:13], 3, v[8:9]
	v_mov_b32_e32 v9, s31
	v_add_co_u32_e32 v10, vcc, s30, v12
	v_addc_co_u32_e32 v11, vcc, v9, v13, vcc
	v_mov_b32_e32 v9, s43
	v_add_co_u32_e32 v12, vcc, s42, v12
	v_subrev_u32_e32 v4, s64, v4
	v_addc_co_u32_e32 v13, vcc, v9, v13, vcc
	s_mov_b64 s[46:47], 0
.LBB28_67:                              ;   Parent Loop BB28_3 Depth=1
                                        ;     Parent Loop BB28_61 Depth=2
                                        ; =>    This Inner Loop Header: Depth=3
	global_load_dwordx2 v[14:15], v[10:11], off
	v_add_co_u32_e32 v10, vcc, 8, v10
	v_add_u32_e32 v8, 1, v8
	v_addc_co_u32_e32 v11, vcc, 0, v11, vcc
	v_cmp_ge_i32_e32 vcc, v8, v4
	s_or_b64 s[46:47], vcc, s[46:47]
	s_waitcnt vmcnt(0)
	global_store_dwordx2 v[12:13], v[14:15], off
	v_add_co_u32_e32 v12, vcc, 8, v12
	v_addc_co_u32_e32 v13, vcc, 0, v13, vcc
	s_andn2_b64 exec, exec, s[46:47]
	s_cbranch_execnz .LBB28_67
	s_branch .LBB28_59
.LBB28_68:
	s_endpgm
	.section	.rodata,"a",@progbits
	.p2align	6, 0x0
	.amdhsa_kernel _ZN9rocsparseL14kernel_freerunILi1024ELi1E21rocsparse_complex_numIfEiiEEvT3_S3_T2_PKS4_S6_PKS3_PKT1_21rocsparse_index_base_S6_S6_S8_PS9_SD_SC_S6_S6_S8_SD_SD_SC_SD_SD_
		.amdhsa_group_segment_fixed_size 0
		.amdhsa_private_segment_fixed_size 0
		.amdhsa_kernarg_size 168
		.amdhsa_user_sgpr_count 6
		.amdhsa_user_sgpr_private_segment_buffer 1
		.amdhsa_user_sgpr_dispatch_ptr 0
		.amdhsa_user_sgpr_queue_ptr 0
		.amdhsa_user_sgpr_kernarg_segment_ptr 1
		.amdhsa_user_sgpr_dispatch_id 0
		.amdhsa_user_sgpr_flat_scratch_init 0
		.amdhsa_user_sgpr_kernarg_preload_length 0
		.amdhsa_user_sgpr_kernarg_preload_offset 0
		.amdhsa_user_sgpr_private_segment_size 0
		.amdhsa_uses_dynamic_stack 0
		.amdhsa_system_sgpr_private_segment_wavefront_offset 0
		.amdhsa_system_sgpr_workgroup_id_x 1
		.amdhsa_system_sgpr_workgroup_id_y 0
		.amdhsa_system_sgpr_workgroup_id_z 0
		.amdhsa_system_sgpr_workgroup_info 0
		.amdhsa_system_vgpr_workitem_id 0
		.amdhsa_next_free_vgpr 32
		.amdhsa_next_free_sgpr 70
		.amdhsa_accum_offset 32
		.amdhsa_reserve_vcc 1
		.amdhsa_reserve_flat_scratch 0
		.amdhsa_float_round_mode_32 0
		.amdhsa_float_round_mode_16_64 0
		.amdhsa_float_denorm_mode_32 3
		.amdhsa_float_denorm_mode_16_64 3
		.amdhsa_dx10_clamp 1
		.amdhsa_ieee_mode 1
		.amdhsa_fp16_overflow 0
		.amdhsa_tg_split 0
		.amdhsa_exception_fp_ieee_invalid_op 0
		.amdhsa_exception_fp_denorm_src 0
		.amdhsa_exception_fp_ieee_div_zero 0
		.amdhsa_exception_fp_ieee_overflow 0
		.amdhsa_exception_fp_ieee_underflow 0
		.amdhsa_exception_fp_ieee_inexact 0
		.amdhsa_exception_int_div_zero 0
	.end_amdhsa_kernel
	.section	.text._ZN9rocsparseL14kernel_freerunILi1024ELi1E21rocsparse_complex_numIfEiiEEvT3_S3_T2_PKS4_S6_PKS3_PKT1_21rocsparse_index_base_S6_S6_S8_PS9_SD_SC_S6_S6_S8_SD_SD_SC_SD_SD_,"axG",@progbits,_ZN9rocsparseL14kernel_freerunILi1024ELi1E21rocsparse_complex_numIfEiiEEvT3_S3_T2_PKS4_S6_PKS3_PKT1_21rocsparse_index_base_S6_S6_S8_PS9_SD_SC_S6_S6_S8_SD_SD_SC_SD_SD_,comdat
.Lfunc_end28:
	.size	_ZN9rocsparseL14kernel_freerunILi1024ELi1E21rocsparse_complex_numIfEiiEEvT3_S3_T2_PKS4_S6_PKS3_PKT1_21rocsparse_index_base_S6_S6_S8_PS9_SD_SC_S6_S6_S8_SD_SD_SC_SD_SD_, .Lfunc_end28-_ZN9rocsparseL14kernel_freerunILi1024ELi1E21rocsparse_complex_numIfEiiEEvT3_S3_T2_PKS4_S6_PKS3_PKT1_21rocsparse_index_base_S6_S6_S8_PS9_SD_SC_S6_S6_S8_SD_SD_SC_SD_SD_
                                        ; -- End function
	.section	.AMDGPU.csdata,"",@progbits
; Kernel info:
; codeLenInByte = 3036
; NumSgprs: 74
; NumVgprs: 32
; NumAgprs: 0
; TotalNumVgprs: 32
; ScratchSize: 0
; MemoryBound: 0
; FloatMode: 240
; IeeeMode: 1
; LDSByteSize: 0 bytes/workgroup (compile time only)
; SGPRBlocks: 9
; VGPRBlocks: 3
; NumSGPRsForWavesPerEU: 74
; NumVGPRsForWavesPerEU: 32
; AccumOffset: 32
; Occupancy: 8
; WaveLimiterHint : 1
; COMPUTE_PGM_RSRC2:SCRATCH_EN: 0
; COMPUTE_PGM_RSRC2:USER_SGPR: 6
; COMPUTE_PGM_RSRC2:TRAP_HANDLER: 0
; COMPUTE_PGM_RSRC2:TGID_X_EN: 1
; COMPUTE_PGM_RSRC2:TGID_Y_EN: 0
; COMPUTE_PGM_RSRC2:TGID_Z_EN: 0
; COMPUTE_PGM_RSRC2:TIDIG_COMP_CNT: 0
; COMPUTE_PGM_RSRC3_GFX90A:ACCUM_OFFSET: 7
; COMPUTE_PGM_RSRC3_GFX90A:TG_SPLIT: 0
	.section	.text._ZN9rocsparseL14kernel_freerunILi1024ELi2E21rocsparse_complex_numIfEiiEEvT3_S3_T2_PKS4_S6_PKS3_PKT1_21rocsparse_index_base_S6_S6_S8_PS9_SD_SC_S6_S6_S8_SD_SD_SC_SD_SD_,"axG",@progbits,_ZN9rocsparseL14kernel_freerunILi1024ELi2E21rocsparse_complex_numIfEiiEEvT3_S3_T2_PKS4_S6_PKS3_PKT1_21rocsparse_index_base_S6_S6_S8_PS9_SD_SC_S6_S6_S8_SD_SD_SC_SD_SD_,comdat
	.globl	_ZN9rocsparseL14kernel_freerunILi1024ELi2E21rocsparse_complex_numIfEiiEEvT3_S3_T2_PKS4_S6_PKS3_PKT1_21rocsparse_index_base_S6_S6_S8_PS9_SD_SC_S6_S6_S8_SD_SD_SC_SD_SD_ ; -- Begin function _ZN9rocsparseL14kernel_freerunILi1024ELi2E21rocsparse_complex_numIfEiiEEvT3_S3_T2_PKS4_S6_PKS3_PKT1_21rocsparse_index_base_S6_S6_S8_PS9_SD_SC_S6_S6_S8_SD_SD_SC_SD_SD_
	.p2align	8
	.type	_ZN9rocsparseL14kernel_freerunILi1024ELi2E21rocsparse_complex_numIfEiiEEvT3_S3_T2_PKS4_S6_PKS3_PKT1_21rocsparse_index_base_S6_S6_S8_PS9_SD_SC_S6_S6_S8_SD_SD_SC_SD_SD_,@function
_ZN9rocsparseL14kernel_freerunILi1024ELi2E21rocsparse_complex_numIfEiiEEvT3_S3_T2_PKS4_S6_PKS3_PKT1_21rocsparse_index_base_S6_S6_S8_PS9_SD_SC_S6_S6_S8_SD_SD_SC_SD_SD_: ; @_ZN9rocsparseL14kernel_freerunILi1024ELi2E21rocsparse_complex_numIfEiiEEvT3_S3_T2_PKS4_S6_PKS3_PKT1_21rocsparse_index_base_S6_S6_S8_PS9_SD_SC_S6_S6_S8_SD_SD_SC_SD_SD_
; %bb.0:
	s_load_dwordx2 s[10:11], s[4:5], 0x0
	v_lshrrev_b32_e32 v1, 1, v0
	s_lshl_b32 s71, s6, 10
	v_or_b32_e32 v20, s71, v1
	s_mov_b32 s33, 0
	s_waitcnt lgkmcnt(0)
	s_cmp_gt_i32 s10, 0
	v_cmp_gt_i32_e32 vcc, s11, v20
	s_cselect_b64 s[0:1], -1, 0
	s_and_b64 s[0:1], vcc, s[0:1]
	s_and_saveexec_b64 s[2:3], s[0:1]
	s_cbranch_execz .LBB29_72
; %bb.1:
	s_load_dwordx4 s[28:31], s[4:5], 0x98
	s_load_dwordx8 s[12:19], s[4:5], 0x68
	s_load_dwordx8 s[20:27], s[4:5], 0x38
	;; [unrolled: 1-line block ×3, first 2 shown]
	s_load_dword s68, s[4:5], 0x30
	s_load_dwordx2 s[34:35], s[4:5], 0x58
	s_load_dword s69, s[4:5], 0x60
	s_load_dwordx2 s[44:45], s[4:5], 0x88
	s_load_dword s70, s[4:5], 0x90
	v_and_b32_e32 v0, 1, v0
	s_addk_i32 s71, 0x400
	s_waitcnt lgkmcnt(0)
	v_subrev_u32_e32 v21, s68, v0
	v_cmp_gt_u32_e64 s[0:1], s71, v20
	v_subrev_u32_e32 v22, s69, v0
	v_subrev_u32_e32 v23, s70, v0
	v_cmp_eq_u32_e64 s[2:3], 0, v0
	s_mov_b32 s72, 0xf800000
	v_mov_b32_e32 v24, 0x260
	s_movk_i32 s73, 0x1f8
	v_mov_b32_e32 v1, 0
	s_branch .LBB29_3
.LBB29_2:                               ;   in Loop: Header=BB29_3 Depth=1
	s_or_b64 exec, exec, s[4:5]
	s_add_i32 s33, s33, 1
	s_cmp_eq_u32 s33, s10
	s_cbranch_scc1 .LBB29_72
.LBB29_3:                               ; =>This Loop Header: Depth=1
                                        ;     Child Loop BB29_5 Depth 2
                                        ;       Child Loop BB29_9 Depth 3
                                        ;         Child Loop BB29_13 Depth 4
                                        ;         Child Loop BB29_43 Depth 4
	;; [unrolled: 1-line block ×3, first 2 shown]
                                        ;     Child Loop BB29_63 Depth 2
                                        ;       Child Loop BB29_66 Depth 3
                                        ;       Child Loop BB29_69 Depth 3
	s_mov_b32 s4, 0
	s_mov_b64 s[46:47], -1
	s_branch .LBB29_5
.LBB29_4:                               ;   in Loop: Header=BB29_5 Depth=2
	s_or_b64 exec, exec, s[48:49]
	s_xor_b64 s[6:7], s[46:47], -1
	s_movk_i32 s4, 0x200
	s_mov_b64 s[46:47], 0
	s_and_b64 vcc, exec, s[6:7]
	s_cbranch_vccnz .LBB29_60
.LBB29_5:                               ;   Parent Loop BB29_3 Depth=1
                                        ; =>  This Loop Header: Depth=2
                                        ;       Child Loop BB29_9 Depth 3
                                        ;         Child Loop BB29_13 Depth 4
                                        ;         Child Loop BB29_43 Depth 4
	;; [unrolled: 1-line block ×3, first 2 shown]
	v_or_b32_e32 v2, s4, v20
	v_cmp_gt_i32_e32 vcc, s11, v2
	s_and_saveexec_b64 s[48:49], vcc
	s_cbranch_execz .LBB29_4
; %bb.6:                                ;   in Loop: Header=BB29_5 Depth=2
	v_ashrrev_i32_e32 v3, 31, v2
	v_lshlrev_b64 v[6:7], 2, v[2:3]
	v_mov_b32_e32 v0, s37
	v_add_co_u32_e32 v4, vcc, s36, v6
	v_addc_co_u32_e32 v5, vcc, v0, v7, vcc
	global_load_dword v0, v[4:5], off
	v_mov_b32_e32 v3, s39
	v_add_co_u32_e32 v4, vcc, s38, v6
	v_addc_co_u32_e32 v5, vcc, v3, v7, vcc
	global_load_dword v3, v[4:5], off
	s_waitcnt vmcnt(1)
	v_add_u32_e32 v4, v21, v0
	s_waitcnt vmcnt(0)
	v_subrev_u32_e32 v3, s68, v3
	v_cmp_lt_i32_e32 vcc, v4, v3
	s_and_b64 exec, exec, vcc
	s_cbranch_execz .LBB29_4
; %bb.7:                                ;   in Loop: Header=BB29_5 Depth=2
	v_mov_b32_e32 v0, s23
	v_add_co_u32_e32 v8, vcc, s22, v6
	v_addc_co_u32_e32 v9, vcc, v0, v7, vcc
	v_mov_b32_e32 v0, s21
	v_add_co_u32_e32 v6, vcc, s20, v6
	v_addc_co_u32_e32 v7, vcc, v0, v7, vcc
	global_load_dword v0, v[6:7], off
	global_load_dword v5, v[8:9], off
	v_mov_b32_e32 v12, s25
	v_mov_b32_e32 v13, s27
	s_mov_b64 s[50:51], 0
	s_waitcnt vmcnt(1)
	v_subrev_u32_e32 v6, s69, v0
	v_ashrrev_i32_e32 v7, 31, v6
	v_lshlrev_b64 v[8:9], 2, v[6:7]
	v_lshlrev_b64 v[10:11], 3, v[6:7]
	v_add_co_u32_e32 v7, vcc, s24, v8
	v_addc_co_u32_e32 v26, vcc, v12, v9, vcc
	s_waitcnt vmcnt(0)
	v_sub_u32_e32 v25, v5, v0
	v_add_co_u32_e32 v27, vcc, s26, v10
	v_cmp_lt_i32_e64 s[4:5], 0, v25
	v_addc_co_u32_e32 v28, vcc, v13, v11, vcc
	s_branch .LBB29_9
.LBB29_8:                               ;   in Loop: Header=BB29_9 Depth=3
	s_or_b64 exec, exec, s[8:9]
	v_add_u32_e32 v4, 2, v4
	v_cmp_ge_i32_e32 vcc, v4, v3
	s_or_b64 s[50:51], vcc, s[50:51]
	s_andn2_b64 exec, exec, s[50:51]
	s_cbranch_execz .LBB29_4
.LBB29_9:                               ;   Parent Loop BB29_3 Depth=1
                                        ;     Parent Loop BB29_5 Depth=2
                                        ; =>    This Loop Header: Depth=3
                                        ;         Child Loop BB29_13 Depth 4
                                        ;         Child Loop BB29_43 Depth 4
	;; [unrolled: 1-line block ×3, first 2 shown]
	v_ashrrev_i32_e32 v5, 31, v4
	v_lshlrev_b64 v[8:9], 2, v[4:5]
	v_mov_b32_e32 v0, s41
	v_add_co_u32_e32 v8, vcc, s40, v8
	v_addc_co_u32_e32 v9, vcc, v0, v9, vcc
	global_load_dword v0, v[8:9], off
	v_mov_b32_e32 v13, s13
	v_mov_b32_e32 v14, s15
	s_waitcnt vmcnt(0)
	v_subrev_u32_e32 v10, s68, v0
	v_ashrrev_i32_e32 v11, 31, v10
	v_lshlrev_b64 v[8:9], 2, v[10:11]
	v_add_co_u32_e32 v12, vcc, s12, v8
	v_addc_co_u32_e32 v13, vcc, v13, v9, vcc
	v_add_co_u32_e32 v8, vcc, s14, v8
	v_addc_co_u32_e32 v9, vcc, v14, v9, vcc
	global_load_dword v13, v[12:13], off
	s_nop 0
	global_load_dword v14, v[8:9], off
	v_mov_b32_e32 v9, 0
	v_mov_b32_e32 v0, 0
	;; [unrolled: 1-line block ×3, first 2 shown]
	s_waitcnt vmcnt(1)
	v_subrev_u32_e32 v12, s70, v13
	s_waitcnt vmcnt(0)
	v_sub_u32_e32 v29, v14, v13
	v_mov_b32_e32 v14, 0
	s_and_saveexec_b64 s[6:7], s[4:5]
	s_cbranch_execz .LBB29_17
; %bb.10:                               ;   in Loop: Header=BB29_9 Depth=3
	v_ashrrev_i32_e32 v13, 31, v12
	v_lshlrev_b64 v[8:9], 2, v[12:13]
	v_mov_b32_e32 v0, s17
	v_add_co_u32_e32 v16, vcc, s16, v8
	v_addc_co_u32_e32 v17, vcc, v0, v9, vcc
	v_lshlrev_b64 v[8:9], 3, v[12:13]
	v_mov_b32_e32 v0, s19
	v_add_co_u32_e32 v13, vcc, s18, v8
	v_mov_b32_e32 v14, 0
	v_mov_b32_e32 v8, 0
	v_addc_co_u32_e32 v18, vcc, v0, v9, vcc
	s_mov_b64 s[8:9], 0
	v_mov_b32_e32 v0, v14
	v_mov_b32_e32 v9, v8
                                        ; implicit-def: $sgpr52_sgpr53
	s_branch .LBB29_13
.LBB29_11:                              ;   in Loop: Header=BB29_13 Depth=4
	s_or_b64 exec, exec, s[56:57]
	v_cmp_le_i32_e32 vcc, v19, v30
	v_addc_co_u32_e32 v0, vcc, 0, v0, vcc
	v_cmp_ge_i32_e32 vcc, v19, v30
	v_addc_co_u32_e32 v14, vcc, 0, v14, vcc
	v_cmp_ge_i32_e32 vcc, v0, v25
	s_andn2_b64 s[52:53], s[52:53], exec
	s_and_b64 s[56:57], vcc, exec
	s_or_b64 s[52:53], s[52:53], s[56:57]
.LBB29_12:                              ;   in Loop: Header=BB29_13 Depth=4
	s_or_b64 exec, exec, s[54:55]
	s_and_b64 s[54:55], exec, s[52:53]
	s_or_b64 s[8:9], s[54:55], s[8:9]
	s_andn2_b64 exec, exec, s[8:9]
	s_cbranch_execz .LBB29_16
.LBB29_13:                              ;   Parent Loop BB29_3 Depth=1
                                        ;     Parent Loop BB29_5 Depth=2
                                        ;       Parent Loop BB29_9 Depth=3
                                        ; =>      This Inner Loop Header: Depth=4
	v_cmp_lt_i32_e32 vcc, v14, v29
	s_or_b64 s[52:53], s[52:53], exec
	s_and_saveexec_b64 s[54:55], vcc
	s_cbranch_execz .LBB29_12
; %bb.14:                               ;   in Loop: Header=BB29_13 Depth=4
	v_lshlrev_b64 v[30:31], 2, v[0:1]
	v_add_co_u32_e32 v30, vcc, v7, v30
	v_addc_co_u32_e32 v31, vcc, v26, v31, vcc
	v_mov_b32_e32 v15, v1
	global_load_dword v19, v[30:31], off
	v_lshlrev_b64 v[30:31], 2, v[14:15]
	v_add_co_u32_e32 v30, vcc, v16, v30
	v_addc_co_u32_e32 v31, vcc, v17, v31, vcc
	global_load_dword v30, v[30:31], off
	s_waitcnt vmcnt(1)
	v_subrev_u32_e32 v19, s69, v19
	s_waitcnt vmcnt(0)
	v_subrev_u32_e32 v30, s70, v30
	v_cmp_eq_u32_e32 vcc, v19, v30
	s_and_saveexec_b64 s[56:57], vcc
	s_cbranch_execz .LBB29_11
; %bb.15:                               ;   in Loop: Header=BB29_13 Depth=4
	v_lshlrev_b64 v[32:33], 3, v[0:1]
	v_add_co_u32_e32 v32, vcc, v27, v32
	v_addc_co_u32_e32 v33, vcc, v28, v33, vcc
	v_lshlrev_b64 v[34:35], 3, v[14:15]
	v_add_co_u32_e32 v34, vcc, v13, v34
	v_addc_co_u32_e32 v35, vcc, v18, v35, vcc
	global_load_dwordx2 v[34:35], v[34:35], off
	s_nop 0
	global_load_dwordx2 v[32:33], v[32:33], off
	s_waitcnt vmcnt(0)
	v_pk_fma_f32 v[8:9], v[32:33], v[34:35], v[8:9] op_sel_hi:[1,0,1]
	v_pk_fma_f32 v[8:9], v[32:33], v[34:35], v[8:9] op_sel:[1,1,0] op_sel_hi:[0,1,1] neg_lo:[1,0,0]
	s_branch .LBB29_11
.LBB29_16:                              ;   in Loop: Header=BB29_9 Depth=3
	s_or_b64 exec, exec, s[8:9]
.LBB29_17:                              ;   in Loop: Header=BB29_9 Depth=3
	s_or_b64 exec, exec, s[6:7]
	v_lshlrev_b64 v[16:17], 3, v[4:5]
	v_mov_b32_e32 v5, s43
	v_add_co_u32_e32 v16, vcc, s42, v16
	v_addc_co_u32_e32 v17, vcc, v5, v17, vcc
	global_load_dwordx2 v[16:17], v[16:17], off
	v_cmp_le_i32_e64 s[6:7], v2, v10
	v_cmp_gt_i32_e32 vcc, v2, v10
	s_waitcnt vmcnt(0)
	v_pk_add_f32 v[8:9], v[16:17], v[8:9] neg_lo:[0,1] neg_hi:[0,1]
	s_and_saveexec_b64 s[52:53], vcc
	s_cbranch_execz .LBB29_27
; %bb.18:                               ;   in Loop: Header=BB29_9 Depth=3
	v_lshlrev_b64 v[16:17], 3, v[10:11]
	v_mov_b32_e32 v5, s29
	v_add_co_u32_e32 v16, vcc, s28, v16
	v_addc_co_u32_e32 v17, vcc, v5, v17, vcc
	global_load_dwordx2 v[16:17], v[16:17], off
                                        ; implicit-def: $vgpr15
	s_waitcnt vmcnt(0)
	v_cmp_gt_f32_e32 vcc, 0, v16
	v_cndmask_b32_e64 v5, v16, -v16, vcc
	v_cmp_gt_f32_e32 vcc, 0, v17
	v_cndmask_b32_e64 v13, v17, -v17, vcc
	v_cmp_ngt_f32_e32 vcc, v5, v13
	s_and_saveexec_b64 s[8:9], vcc
	s_xor_b64 s[54:55], exec, s[8:9]
	s_cbranch_execz .LBB29_22
; %bb.19:                               ;   in Loop: Header=BB29_9 Depth=3
	v_cmp_neq_f32_e32 vcc, 0, v17
	v_mov_b32_e32 v15, 0
	s_and_saveexec_b64 s[56:57], vcc
	s_cbranch_execz .LBB29_21
; %bb.20:                               ;   in Loop: Header=BB29_9 Depth=3
	v_div_scale_f32 v15, s[8:9], v13, v13, v5
	v_rcp_f32_e32 v18, v15
	v_div_scale_f32 v19, vcc, v5, v13, v5
	v_fma_f32 v30, -v15, v18, 1.0
	v_fmac_f32_e32 v18, v30, v18
	v_mul_f32_e32 v30, v19, v18
	v_fma_f32 v31, -v15, v30, v19
	v_fmac_f32_e32 v30, v31, v18
	v_fma_f32 v15, -v15, v30, v19
	v_div_fmas_f32 v15, v15, v18, v30
	v_div_fixup_f32 v5, v15, v13, v5
	v_fma_f32 v5, v5, v5, 1.0
	v_mul_f32_e32 v15, 0x4f800000, v5
	v_cmp_gt_f32_e32 vcc, s72, v5
	v_cndmask_b32_e32 v5, v5, v15, vcc
	v_sqrt_f32_e32 v15, v5
	v_add_u32_e32 v18, -1, v15
	v_fma_f32 v19, -v18, v15, v5
	v_cmp_ge_f32_e64 s[8:9], 0, v19
	v_add_u32_e32 v19, 1, v15
	v_cndmask_b32_e64 v18, v15, v18, s[8:9]
	v_fma_f32 v15, -v19, v15, v5
	v_cmp_lt_f32_e64 s[8:9], 0, v15
	v_cndmask_b32_e64 v15, v18, v19, s[8:9]
	v_mul_f32_e32 v18, 0x37800000, v15
	v_cndmask_b32_e32 v15, v15, v18, vcc
	v_cmp_class_f32_e32 vcc, v5, v24
	v_cndmask_b32_e32 v5, v15, v5, vcc
	v_mul_f32_e32 v15, v13, v5
.LBB29_21:                              ;   in Loop: Header=BB29_9 Depth=3
	s_or_b64 exec, exec, s[56:57]
                                        ; implicit-def: $vgpr5
                                        ; implicit-def: $vgpr13
.LBB29_22:                              ;   in Loop: Header=BB29_9 Depth=3
	s_andn2_saveexec_b64 s[54:55], s[54:55]
	s_cbranch_execz .LBB29_24
; %bb.23:                               ;   in Loop: Header=BB29_9 Depth=3
	v_div_scale_f32 v15, s[8:9], v5, v5, v13
	v_rcp_f32_e32 v18, v15
	v_div_scale_f32 v19, vcc, v13, v5, v13
	v_fma_f32 v30, -v15, v18, 1.0
	v_fmac_f32_e32 v18, v30, v18
	v_mul_f32_e32 v30, v19, v18
	v_fma_f32 v31, -v15, v30, v19
	v_fmac_f32_e32 v30, v31, v18
	v_fma_f32 v15, -v15, v30, v19
	v_div_fmas_f32 v15, v15, v18, v30
	v_div_fixup_f32 v13, v15, v5, v13
	v_fma_f32 v13, v13, v13, 1.0
	v_mul_f32_e32 v15, 0x4f800000, v13
	v_cmp_gt_f32_e32 vcc, s72, v13
	v_cndmask_b32_e32 v13, v13, v15, vcc
	v_sqrt_f32_e32 v15, v13
	v_add_u32_e32 v18, -1, v15
	v_fma_f32 v19, -v18, v15, v13
	v_cmp_ge_f32_e64 s[8:9], 0, v19
	v_add_u32_e32 v19, 1, v15
	v_cndmask_b32_e64 v18, v15, v18, s[8:9]
	v_fma_f32 v15, -v19, v15, v13
	v_cmp_lt_f32_e64 s[8:9], 0, v15
	v_cndmask_b32_e64 v15, v18, v19, s[8:9]
	v_mul_f32_e32 v18, 0x37800000, v15
	v_cndmask_b32_e32 v15, v15, v18, vcc
	v_cmp_class_f32_e32 vcc, v13, v24
	v_cndmask_b32_e32 v13, v15, v13, vcc
	v_mul_f32_e32 v15, v5, v13
.LBB29_24:                              ;   in Loop: Header=BB29_9 Depth=3
	s_or_b64 exec, exec, s[54:55]
	v_cmp_lt_f32_e32 vcc, 0, v15
	v_mov_b32_e32 v19, 0
	v_mov_b32_e32 v18, 0
	s_and_saveexec_b64 s[8:9], vcc
	s_cbranch_execz .LBB29_26
; %bb.25:                               ;   in Loop: Header=BB29_9 Depth=3
	v_mul_f32_e32 v5, v17, v17
	v_fmac_f32_e32 v5, v16, v16
	v_div_scale_f32 v13, s[54:55], v5, v5, 1.0
	v_rcp_f32_e32 v15, v13
	v_div_scale_f32 v18, vcc, 1.0, v5, 1.0
	v_xor_b32_e32 v31, 0x80000000, v8
	v_fma_f32 v19, -v13, v15, 1.0
	v_fmac_f32_e32 v15, v19, v15
	v_mul_f32_e32 v19, v18, v15
	v_fma_f32 v30, -v13, v19, v18
	v_fmac_f32_e32 v19, v30, v15
	v_fma_f32 v13, -v13, v19, v18
	v_mov_b32_e32 v30, v9
	v_div_fmas_f32 v13, v13, v15, v19
	v_pk_mul_f32 v[30:31], v[30:31], v[16:17] op_sel:[0,1]
	v_div_fixup_f32 v18, v13, v5, 1.0
	v_pk_fma_f32 v[8:9], v[8:9], v[16:17], v[30:31] op_sel_hi:[1,0,1]
	v_pk_mul_f32 v[18:19], v[8:9], v[18:19] op_sel_hi:[1,0]
.LBB29_26:                              ;   in Loop: Header=BB29_9 Depth=3
	s_or_b64 exec, exec, s[8:9]
	v_mov_b32_e32 v9, v19
	v_mov_b32_e32 v8, v18
.LBB29_27:                              ;   in Loop: Header=BB29_9 Depth=3
	s_or_b64 exec, exec, s[52:53]
	v_cmp_gt_f32_e32 vcc, 0, v8
	v_cndmask_b32_e64 v5, v8, -v8, vcc
	v_cmp_gt_f32_e32 vcc, 0, v9
	v_cndmask_b32_e64 v13, v9, -v9, vcc
	v_cmp_ngt_f32_e32 vcc, v5, v13
                                        ; implicit-def: $vgpr15
	s_and_saveexec_b64 s[8:9], vcc
	s_xor_b64 s[52:53], exec, s[8:9]
	s_cbranch_execnz .LBB29_30
; %bb.28:                               ;   in Loop: Header=BB29_9 Depth=3
	s_andn2_saveexec_b64 s[52:53], s[52:53]
	s_cbranch_execnz .LBB29_33
.LBB29_29:                              ;   in Loop: Header=BB29_9 Depth=3
	s_or_b64 exec, exec, s[52:53]
	v_cmp_class_f32_e64 s[52:53], v15, s73
	s_and_saveexec_b64 s[8:9], s[52:53]
	s_cbranch_execz .LBB29_8
	s_branch .LBB29_34
.LBB29_30:                              ;   in Loop: Header=BB29_9 Depth=3
	v_cmp_neq_f32_e32 vcc, 0, v9
	v_mov_b32_e32 v15, 0
	s_and_saveexec_b64 s[54:55], vcc
	s_cbranch_execz .LBB29_32
; %bb.31:                               ;   in Loop: Header=BB29_9 Depth=3
	v_div_scale_f32 v15, s[8:9], v13, v13, v5
	v_rcp_f32_e32 v16, v15
	v_div_scale_f32 v17, vcc, v5, v13, v5
	v_fma_f32 v18, -v15, v16, 1.0
	v_fmac_f32_e32 v16, v18, v16
	v_mul_f32_e32 v18, v17, v16
	v_fma_f32 v19, -v15, v18, v17
	v_fmac_f32_e32 v18, v19, v16
	v_fma_f32 v15, -v15, v18, v17
	v_div_fmas_f32 v15, v15, v16, v18
	v_div_fixup_f32 v5, v15, v13, v5
	v_fma_f32 v5, v5, v5, 1.0
	v_mul_f32_e32 v15, 0x4f800000, v5
	v_cmp_gt_f32_e32 vcc, s72, v5
	v_cndmask_b32_e32 v5, v5, v15, vcc
	v_sqrt_f32_e32 v15, v5
	v_add_u32_e32 v16, -1, v15
	v_fma_f32 v17, -v16, v15, v5
	v_cmp_ge_f32_e64 s[8:9], 0, v17
	v_add_u32_e32 v17, 1, v15
	v_cndmask_b32_e64 v16, v15, v16, s[8:9]
	v_fma_f32 v15, -v17, v15, v5
	v_cmp_lt_f32_e64 s[8:9], 0, v15
	v_cndmask_b32_e64 v15, v16, v17, s[8:9]
	v_mul_f32_e32 v16, 0x37800000, v15
	v_cndmask_b32_e32 v15, v15, v16, vcc
	v_cmp_class_f32_e32 vcc, v5, v24
	v_cndmask_b32_e32 v5, v15, v5, vcc
	v_mul_f32_e32 v15, v13, v5
.LBB29_32:                              ;   in Loop: Header=BB29_9 Depth=3
	s_or_b64 exec, exec, s[54:55]
                                        ; implicit-def: $vgpr5
                                        ; implicit-def: $vgpr13
	s_andn2_saveexec_b64 s[52:53], s[52:53]
	s_cbranch_execz .LBB29_29
.LBB29_33:                              ;   in Loop: Header=BB29_9 Depth=3
	v_div_scale_f32 v15, s[8:9], v5, v5, v13
	v_rcp_f32_e32 v16, v15
	v_div_scale_f32 v17, vcc, v13, v5, v13
	v_fma_f32 v18, -v15, v16, 1.0
	v_fmac_f32_e32 v16, v18, v16
	v_mul_f32_e32 v18, v17, v16
	v_fma_f32 v19, -v15, v18, v17
	v_fmac_f32_e32 v18, v19, v16
	v_fma_f32 v15, -v15, v18, v17
	v_div_fmas_f32 v15, v15, v16, v18
	v_div_fixup_f32 v13, v15, v5, v13
	v_fma_f32 v13, v13, v13, 1.0
	v_mul_f32_e32 v15, 0x4f800000, v13
	v_cmp_gt_f32_e32 vcc, s72, v13
	v_cndmask_b32_e32 v13, v13, v15, vcc
	v_sqrt_f32_e32 v15, v13
	v_add_u32_e32 v16, -1, v15
	v_fma_f32 v17, -v16, v15, v13
	v_cmp_ge_f32_e64 s[8:9], 0, v17
	v_add_u32_e32 v17, 1, v15
	v_cndmask_b32_e64 v16, v15, v16, s[8:9]
	v_fma_f32 v15, -v17, v15, v13
	v_cmp_lt_f32_e64 s[8:9], 0, v15
	v_cndmask_b32_e64 v15, v16, v17, s[8:9]
	v_mul_f32_e32 v16, 0x37800000, v15
	v_cndmask_b32_e32 v15, v15, v16, vcc
	v_cmp_class_f32_e32 vcc, v13, v24
	v_cndmask_b32_e32 v13, v15, v13, vcc
	v_mul_f32_e32 v15, v5, v13
	s_or_b64 exec, exec, s[52:53]
	v_cmp_class_f32_e64 s[52:53], v15, s73
	s_and_saveexec_b64 s[8:9], s[52:53]
	s_cbranch_execz .LBB29_8
.LBB29_34:                              ;   in Loop: Header=BB29_9 Depth=3
	s_mov_b64 s[52:53], 0
                                        ; implicit-def: $vgpr16_vgpr17
	s_and_saveexec_b64 s[54:55], s[6:7]
	s_xor_b64 s[6:7], exec, s[54:55]
	s_cbranch_execnz .LBB29_37
; %bb.35:                               ;   in Loop: Header=BB29_9 Depth=3
	s_andn2_saveexec_b64 s[6:7], s[6:7]
	s_cbranch_execnz .LBB29_50
.LBB29_36:                              ;   in Loop: Header=BB29_9 Depth=3
	s_or_b64 exec, exec, s[6:7]
	s_and_b64 exec, exec, s[52:53]
	s_cbranch_execz .LBB29_8
	s_branch .LBB29_59
.LBB29_37:                              ;   in Loop: Header=BB29_9 Depth=3
	v_cmp_ge_i32_e32 vcc, v2, v10
                                        ; implicit-def: $vgpr16_vgpr17
	s_and_saveexec_b64 s[54:55], vcc
	s_xor_b64 s[54:55], exec, s[54:55]
; %bb.38:                               ;   in Loop: Header=BB29_9 Depth=3
	v_lshlrev_b64 v[10:11], 3, v[10:11]
	v_mov_b32_e32 v0, s31
	v_add_co_u32_e32 v16, vcc, s30, v10
	s_mov_b64 s[52:53], exec
	v_addc_co_u32_e32 v17, vcc, v0, v11, vcc
                                        ; implicit-def: $vgpr14
                                        ; implicit-def: $vgpr29
                                        ; implicit-def: $vgpr12
; %bb.39:                               ;   in Loop: Header=BB29_9 Depth=3
	s_andn2_saveexec_b64 s[54:55], s[54:55]
	s_cbranch_execz .LBB29_49
; %bb.40:                               ;   in Loop: Header=BB29_9 Depth=3
	v_cmp_lt_i32_e32 vcc, v14, v29
	s_mov_b64 s[58:59], s[52:53]
                                        ; implicit-def: $vgpr16_vgpr17
	s_and_saveexec_b64 s[56:57], vcc
	s_cbranch_execz .LBB29_48
; %bb.41:                               ;   in Loop: Header=BB29_9 Depth=3
	s_mov_b64 s[60:61], 0
                                        ; implicit-def: $sgpr58_sgpr59
                                        ; implicit-def: $sgpr64_sgpr65
                                        ; implicit-def: $sgpr62_sgpr63
	s_branch .LBB29_43
.LBB29_42:                              ;   in Loop: Header=BB29_43 Depth=4
	s_or_b64 exec, exec, s[66:67]
	s_and_b64 s[66:67], exec, s[64:65]
	s_or_b64 s[60:61], s[66:67], s[60:61]
	s_andn2_b64 s[58:59], s[58:59], exec
	s_and_b64 s[66:67], s[62:63], exec
	s_or_b64 s[58:59], s[58:59], s[66:67]
	s_andn2_b64 exec, exec, s[60:61]
	s_cbranch_execz .LBB29_45
.LBB29_43:                              ;   Parent Loop BB29_3 Depth=1
                                        ;     Parent Loop BB29_5 Depth=2
                                        ;       Parent Loop BB29_9 Depth=3
                                        ; =>      This Inner Loop Header: Depth=4
	v_add_u32_e32 v10, v12, v14
	v_ashrrev_i32_e32 v11, 31, v10
	v_lshlrev_b64 v[16:17], 2, v[10:11]
	v_mov_b32_e32 v0, s17
	v_add_co_u32_e32 v16, vcc, s16, v16
	v_addc_co_u32_e32 v17, vcc, v0, v17, vcc
	global_load_dword v0, v[16:17], off
	s_or_b64 s[62:63], s[62:63], exec
	s_or_b64 s[64:65], s[64:65], exec
	s_waitcnt vmcnt(0)
	v_subrev_u32_e32 v0, s70, v0
	v_cmp_ne_u32_e32 vcc, v0, v2
	s_and_saveexec_b64 s[66:67], vcc
	s_cbranch_execz .LBB29_42
; %bb.44:                               ;   in Loop: Header=BB29_43 Depth=4
	v_add_u32_e32 v14, 1, v14
	v_cmp_ge_i32_e32 vcc, v14, v29
	s_andn2_b64 s[64:65], s[64:65], exec
	s_and_b64 s[74:75], vcc, exec
	s_andn2_b64 s[62:63], s[62:63], exec
	s_or_b64 s[64:65], s[64:65], s[74:75]
	s_branch .LBB29_42
.LBB29_45:                              ;   in Loop: Header=BB29_9 Depth=3
	s_or_b64 exec, exec, s[60:61]
	s_mov_b64 s[60:61], s[52:53]
                                        ; implicit-def: $vgpr16_vgpr17
	s_and_saveexec_b64 s[62:63], s[58:59]
	s_xor_b64 s[58:59], exec, s[62:63]
; %bb.46:                               ;   in Loop: Header=BB29_9 Depth=3
	v_lshlrev_b64 v[10:11], 3, v[10:11]
	v_mov_b32_e32 v0, s45
	v_add_co_u32_e32 v16, vcc, s44, v10
	v_addc_co_u32_e32 v17, vcc, v0, v11, vcc
	s_or_b64 s[60:61], s[52:53], exec
; %bb.47:                               ;   in Loop: Header=BB29_9 Depth=3
	s_or_b64 exec, exec, s[58:59]
	s_andn2_b64 s[58:59], s[52:53], exec
	s_and_b64 s[60:61], s[60:61], exec
	s_or_b64 s[58:59], s[58:59], s[60:61]
.LBB29_48:                              ;   in Loop: Header=BB29_9 Depth=3
	s_or_b64 exec, exec, s[56:57]
	s_andn2_b64 s[52:53], s[52:53], exec
	s_and_b64 s[56:57], s[58:59], exec
	s_or_b64 s[52:53], s[52:53], s[56:57]
.LBB29_49:                              ;   in Loop: Header=BB29_9 Depth=3
	s_or_b64 exec, exec, s[54:55]
	s_and_b64 s[52:53], s[52:53], exec
                                        ; implicit-def: $vgpr10_vgpr11
	s_andn2_saveexec_b64 s[6:7], s[6:7]
	s_cbranch_execz .LBB29_36
.LBB29_50:                              ;   in Loop: Header=BB29_9 Depth=3
	v_cmp_lt_i32_e32 vcc, v0, v25
	s_mov_b64 s[56:57], s[52:53]
                                        ; implicit-def: $vgpr16_vgpr17
	s_and_saveexec_b64 s[54:55], vcc
	s_cbranch_execz .LBB29_58
; %bb.51:                               ;   in Loop: Header=BB29_9 Depth=3
	s_mov_b64 s[58:59], 0
                                        ; implicit-def: $sgpr56_sgpr57
                                        ; implicit-def: $sgpr62_sgpr63
                                        ; implicit-def: $sgpr60_sgpr61
	s_branch .LBB29_53
.LBB29_52:                              ;   in Loop: Header=BB29_53 Depth=4
	s_or_b64 exec, exec, s[64:65]
	s_and_b64 s[64:65], exec, s[62:63]
	s_or_b64 s[58:59], s[64:65], s[58:59]
	s_andn2_b64 s[56:57], s[56:57], exec
	s_and_b64 s[64:65], s[60:61], exec
	s_or_b64 s[56:57], s[56:57], s[64:65]
	s_andn2_b64 exec, exec, s[58:59]
	s_cbranch_execz .LBB29_55
.LBB29_53:                              ;   Parent Loop BB29_3 Depth=1
                                        ;     Parent Loop BB29_5 Depth=2
                                        ;       Parent Loop BB29_9 Depth=3
                                        ; =>      This Inner Loop Header: Depth=4
	v_add_u32_e32 v12, v6, v0
	v_ashrrev_i32_e32 v13, 31, v12
	v_lshlrev_b64 v[14:15], 2, v[12:13]
	v_mov_b32_e32 v5, s25
	v_add_co_u32_e32 v14, vcc, s24, v14
	v_addc_co_u32_e32 v15, vcc, v5, v15, vcc
	global_load_dword v5, v[14:15], off
	s_or_b64 s[60:61], s[60:61], exec
	s_or_b64 s[62:63], s[62:63], exec
	s_waitcnt vmcnt(0)
	v_subrev_u32_e32 v5, s69, v5
	v_cmp_ne_u32_e32 vcc, v5, v10
	s_and_saveexec_b64 s[64:65], vcc
	s_cbranch_execz .LBB29_52
; %bb.54:                               ;   in Loop: Header=BB29_53 Depth=4
	v_add_u32_e32 v0, 1, v0
	v_cmp_ge_i32_e32 vcc, v0, v25
	s_andn2_b64 s[62:63], s[62:63], exec
	s_and_b64 s[66:67], vcc, exec
	s_andn2_b64 s[60:61], s[60:61], exec
	s_or_b64 s[62:63], s[62:63], s[66:67]
	s_branch .LBB29_52
.LBB29_55:                              ;   in Loop: Header=BB29_9 Depth=3
	s_or_b64 exec, exec, s[58:59]
	s_mov_b64 s[58:59], s[52:53]
                                        ; implicit-def: $vgpr16_vgpr17
	s_and_saveexec_b64 s[60:61], s[56:57]
	s_xor_b64 s[56:57], exec, s[60:61]
; %bb.56:                               ;   in Loop: Header=BB29_9 Depth=3
	v_lshlrev_b64 v[10:11], 3, v[12:13]
	v_mov_b32_e32 v0, s35
	v_add_co_u32_e32 v16, vcc, s34, v10
	v_addc_co_u32_e32 v17, vcc, v0, v11, vcc
	s_or_b64 s[58:59], s[52:53], exec
; %bb.57:                               ;   in Loop: Header=BB29_9 Depth=3
	s_or_b64 exec, exec, s[56:57]
	s_andn2_b64 s[56:57], s[52:53], exec
	s_and_b64 s[58:59], s[58:59], exec
	s_or_b64 s[56:57], s[56:57], s[58:59]
.LBB29_58:                              ;   in Loop: Header=BB29_9 Depth=3
	s_or_b64 exec, exec, s[54:55]
	s_andn2_b64 s[52:53], s[52:53], exec
	s_and_b64 s[54:55], s[56:57], exec
	s_or_b64 s[52:53], s[52:53], s[54:55]
	s_or_b64 exec, exec, s[6:7]
	s_and_b64 exec, exec, s[52:53]
	s_cbranch_execz .LBB29_8
.LBB29_59:                              ;   in Loop: Header=BB29_9 Depth=3
	global_store_dwordx2 v[16:17], v[8:9], off
	s_branch .LBB29_8
.LBB29_60:                              ;   in Loop: Header=BB29_3 Depth=1
	s_and_saveexec_b64 s[4:5], s[0:1]
	s_cbranch_execz .LBB29_2
; %bb.61:                               ;   in Loop: Header=BB29_3 Depth=1
	s_mov_b64 s[6:7], 0
	v_mov_b32_e32 v2, v20
	s_branch .LBB29_63
.LBB29_62:                              ;   in Loop: Header=BB29_63 Depth=2
	s_or_b64 exec, exec, s[8:9]
	v_add_u32_e32 v2, 0x200, v2
	v_cmp_le_u32_e32 vcc, s71, v2
	s_or_b64 s[6:7], vcc, s[6:7]
	s_andn2_b64 exec, exec, s[6:7]
	s_cbranch_execz .LBB29_2
.LBB29_63:                              ;   Parent Loop BB29_3 Depth=1
                                        ; =>  This Loop Header: Depth=2
                                        ;       Child Loop BB29_66 Depth 3
                                        ;       Child Loop BB29_69 Depth 3
	v_cmp_gt_i32_e32 vcc, s11, v2
	s_and_saveexec_b64 s[8:9], vcc
	s_cbranch_execz .LBB29_62
; %bb.64:                               ;   in Loop: Header=BB29_63 Depth=2
	v_ashrrev_i32_e32 v3, 31, v2
	v_lshlrev_b64 v[4:5], 2, v[2:3]
	v_mov_b32_e32 v0, s21
	v_add_co_u32_e32 v6, vcc, s20, v4
	v_addc_co_u32_e32 v7, vcc, v0, v5, vcc
	global_load_dword v0, v[6:7], off
	v_mov_b32_e32 v7, s23
	v_add_co_u32_e32 v6, vcc, s22, v4
	v_addc_co_u32_e32 v7, vcc, v7, v5, vcc
	global_load_dword v7, v[6:7], off
	s_waitcnt vmcnt(1)
	v_add_u32_e32 v6, v22, v0
	s_waitcnt vmcnt(0)
	v_subrev_u32_e32 v0, s69, v7
	v_cmp_lt_i32_e32 vcc, v6, v0
	s_and_saveexec_b64 s[46:47], vcc
	s_cbranch_execz .LBB29_67
; %bb.65:                               ;   in Loop: Header=BB29_63 Depth=2
	v_ashrrev_i32_e32 v7, 31, v6
	v_lshlrev_b64 v[10:11], 3, v[6:7]
	v_mov_b32_e32 v7, s35
	v_add_co_u32_e32 v8, vcc, s34, v10
	v_addc_co_u32_e32 v9, vcc, v7, v11, vcc
	v_mov_b32_e32 v7, s27
	v_add_co_u32_e32 v10, vcc, s26, v10
	v_addc_co_u32_e32 v11, vcc, v7, v11, vcc
	s_mov_b64 s[48:49], 0
.LBB29_66:                              ;   Parent Loop BB29_3 Depth=1
                                        ;     Parent Loop BB29_63 Depth=2
                                        ; =>    This Inner Loop Header: Depth=3
	global_load_dwordx2 v[12:13], v[8:9], off
	v_add_co_u32_e32 v8, vcc, 16, v8
	v_add_u32_e32 v6, 2, v6
	v_addc_co_u32_e32 v9, vcc, 0, v9, vcc
	v_cmp_ge_i32_e32 vcc, v6, v0
	s_or_b64 s[48:49], vcc, s[48:49]
	s_waitcnt vmcnt(0)
	global_store_dwordx2 v[10:11], v[12:13], off
	v_add_co_u32_e32 v10, vcc, 16, v10
	v_addc_co_u32_e32 v11, vcc, 0, v11, vcc
	s_andn2_b64 exec, exec, s[48:49]
	s_cbranch_execnz .LBB29_66
.LBB29_67:                              ;   in Loop: Header=BB29_63 Depth=2
	s_or_b64 exec, exec, s[46:47]
	v_mov_b32_e32 v0, s13
	v_add_co_u32_e32 v6, vcc, s12, v4
	v_addc_co_u32_e32 v7, vcc, v0, v5, vcc
	global_load_dword v0, v[6:7], off
	v_mov_b32_e32 v6, s15
	v_add_co_u32_e32 v4, vcc, s14, v4
	v_addc_co_u32_e32 v5, vcc, v6, v5, vcc
	global_load_dword v5, v[4:5], off
	s_waitcnt vmcnt(1)
	v_add_u32_e32 v4, v23, v0
	s_waitcnt vmcnt(0)
	v_subrev_u32_e32 v0, s70, v5
	v_cmp_lt_i32_e32 vcc, v4, v0
	s_and_saveexec_b64 s[46:47], vcc
	s_cbranch_execz .LBB29_70
; %bb.68:                               ;   in Loop: Header=BB29_63 Depth=2
	v_ashrrev_i32_e32 v5, 31, v4
	v_lshlrev_b64 v[8:9], 3, v[4:5]
	v_mov_b32_e32 v5, s45
	v_add_co_u32_e32 v6, vcc, s44, v8
	v_addc_co_u32_e32 v7, vcc, v5, v9, vcc
	v_mov_b32_e32 v5, s19
	v_add_co_u32_e32 v8, vcc, s18, v8
	v_addc_co_u32_e32 v9, vcc, v5, v9, vcc
	s_mov_b64 s[48:49], 0
.LBB29_69:                              ;   Parent Loop BB29_3 Depth=1
                                        ;     Parent Loop BB29_63 Depth=2
                                        ; =>    This Inner Loop Header: Depth=3
	global_load_dwordx2 v[10:11], v[6:7], off
	v_add_co_u32_e32 v6, vcc, 16, v6
	v_add_u32_e32 v4, 2, v4
	v_addc_co_u32_e32 v7, vcc, 0, v7, vcc
	v_cmp_ge_i32_e32 vcc, v4, v0
	s_or_b64 s[48:49], vcc, s[48:49]
	s_waitcnt vmcnt(0)
	global_store_dwordx2 v[8:9], v[10:11], off
	v_add_co_u32_e32 v8, vcc, 16, v8
	v_addc_co_u32_e32 v9, vcc, 0, v9, vcc
	s_andn2_b64 exec, exec, s[48:49]
	s_cbranch_execnz .LBB29_69
.LBB29_70:                              ;   in Loop: Header=BB29_63 Depth=2
	s_or_b64 exec, exec, s[46:47]
	s_and_b64 exec, exec, s[2:3]
	s_cbranch_execz .LBB29_62
; %bb.71:                               ;   in Loop: Header=BB29_63 Depth=2
	v_lshlrev_b64 v[4:5], 3, v[2:3]
	v_mov_b32_e32 v0, s31
	v_add_co_u32_e32 v6, vcc, s30, v4
	v_addc_co_u32_e32 v7, vcc, v0, v5, vcc
	global_load_dwordx2 v[6:7], v[6:7], off
	v_mov_b32_e32 v0, s29
	v_add_co_u32_e32 v4, vcc, s28, v4
	v_addc_co_u32_e32 v5, vcc, v0, v5, vcc
	s_waitcnt vmcnt(0)
	global_store_dwordx2 v[4:5], v[6:7], off
	s_branch .LBB29_62
.LBB29_72:
	s_endpgm
	.section	.rodata,"a",@progbits
	.p2align	6, 0x0
	.amdhsa_kernel _ZN9rocsparseL14kernel_freerunILi1024ELi2E21rocsparse_complex_numIfEiiEEvT3_S3_T2_PKS4_S6_PKS3_PKT1_21rocsparse_index_base_S6_S6_S8_PS9_SD_SC_S6_S6_S8_SD_SD_SC_SD_SD_
		.amdhsa_group_segment_fixed_size 0
		.amdhsa_private_segment_fixed_size 0
		.amdhsa_kernarg_size 168
		.amdhsa_user_sgpr_count 6
		.amdhsa_user_sgpr_private_segment_buffer 1
		.amdhsa_user_sgpr_dispatch_ptr 0
		.amdhsa_user_sgpr_queue_ptr 0
		.amdhsa_user_sgpr_kernarg_segment_ptr 1
		.amdhsa_user_sgpr_dispatch_id 0
		.amdhsa_user_sgpr_flat_scratch_init 0
		.amdhsa_user_sgpr_kernarg_preload_length 0
		.amdhsa_user_sgpr_kernarg_preload_offset 0
		.amdhsa_user_sgpr_private_segment_size 0
		.amdhsa_uses_dynamic_stack 0
		.amdhsa_system_sgpr_private_segment_wavefront_offset 0
		.amdhsa_system_sgpr_workgroup_id_x 1
		.amdhsa_system_sgpr_workgroup_id_y 0
		.amdhsa_system_sgpr_workgroup_id_z 0
		.amdhsa_system_sgpr_workgroup_info 0
		.amdhsa_system_vgpr_workitem_id 0
		.amdhsa_next_free_vgpr 36
		.amdhsa_next_free_sgpr 76
		.amdhsa_accum_offset 36
		.amdhsa_reserve_vcc 1
		.amdhsa_reserve_flat_scratch 0
		.amdhsa_float_round_mode_32 0
		.amdhsa_float_round_mode_16_64 0
		.amdhsa_float_denorm_mode_32 3
		.amdhsa_float_denorm_mode_16_64 3
		.amdhsa_dx10_clamp 1
		.amdhsa_ieee_mode 1
		.amdhsa_fp16_overflow 0
		.amdhsa_tg_split 0
		.amdhsa_exception_fp_ieee_invalid_op 0
		.amdhsa_exception_fp_denorm_src 0
		.amdhsa_exception_fp_ieee_div_zero 0
		.amdhsa_exception_fp_ieee_overflow 0
		.amdhsa_exception_fp_ieee_underflow 0
		.amdhsa_exception_fp_ieee_inexact 0
		.amdhsa_exception_int_div_zero 0
	.end_amdhsa_kernel
	.section	.text._ZN9rocsparseL14kernel_freerunILi1024ELi2E21rocsparse_complex_numIfEiiEEvT3_S3_T2_PKS4_S6_PKS3_PKT1_21rocsparse_index_base_S6_S6_S8_PS9_SD_SC_S6_S6_S8_SD_SD_SC_SD_SD_,"axG",@progbits,_ZN9rocsparseL14kernel_freerunILi1024ELi2E21rocsparse_complex_numIfEiiEEvT3_S3_T2_PKS4_S6_PKS3_PKT1_21rocsparse_index_base_S6_S6_S8_PS9_SD_SC_S6_S6_S8_SD_SD_SC_SD_SD_,comdat
.Lfunc_end29:
	.size	_ZN9rocsparseL14kernel_freerunILi1024ELi2E21rocsparse_complex_numIfEiiEEvT3_S3_T2_PKS4_S6_PKS3_PKT1_21rocsparse_index_base_S6_S6_S8_PS9_SD_SC_S6_S6_S8_SD_SD_SC_SD_SD_, .Lfunc_end29-_ZN9rocsparseL14kernel_freerunILi1024ELi2E21rocsparse_complex_numIfEiiEEvT3_S3_T2_PKS4_S6_PKS3_PKT1_21rocsparse_index_base_S6_S6_S8_PS9_SD_SC_S6_S6_S8_SD_SD_SC_SD_SD_
                                        ; -- End function
	.section	.AMDGPU.csdata,"",@progbits
; Kernel info:
; codeLenInByte = 3116
; NumSgprs: 80
; NumVgprs: 36
; NumAgprs: 0
; TotalNumVgprs: 36
; ScratchSize: 0
; MemoryBound: 0
; FloatMode: 240
; IeeeMode: 1
; LDSByteSize: 0 bytes/workgroup (compile time only)
; SGPRBlocks: 9
; VGPRBlocks: 4
; NumSGPRsForWavesPerEU: 80
; NumVGPRsForWavesPerEU: 36
; AccumOffset: 36
; Occupancy: 8
; WaveLimiterHint : 1
; COMPUTE_PGM_RSRC2:SCRATCH_EN: 0
; COMPUTE_PGM_RSRC2:USER_SGPR: 6
; COMPUTE_PGM_RSRC2:TRAP_HANDLER: 0
; COMPUTE_PGM_RSRC2:TGID_X_EN: 1
; COMPUTE_PGM_RSRC2:TGID_Y_EN: 0
; COMPUTE_PGM_RSRC2:TGID_Z_EN: 0
; COMPUTE_PGM_RSRC2:TIDIG_COMP_CNT: 0
; COMPUTE_PGM_RSRC3_GFX90A:ACCUM_OFFSET: 8
; COMPUTE_PGM_RSRC3_GFX90A:TG_SPLIT: 0
	.section	.text._ZN9rocsparseL14kernel_freerunILi1024ELi4E21rocsparse_complex_numIfEiiEEvT3_S3_T2_PKS4_S6_PKS3_PKT1_21rocsparse_index_base_S6_S6_S8_PS9_SD_SC_S6_S6_S8_SD_SD_SC_SD_SD_,"axG",@progbits,_ZN9rocsparseL14kernel_freerunILi1024ELi4E21rocsparse_complex_numIfEiiEEvT3_S3_T2_PKS4_S6_PKS3_PKT1_21rocsparse_index_base_S6_S6_S8_PS9_SD_SC_S6_S6_S8_SD_SD_SC_SD_SD_,comdat
	.globl	_ZN9rocsparseL14kernel_freerunILi1024ELi4E21rocsparse_complex_numIfEiiEEvT3_S3_T2_PKS4_S6_PKS3_PKT1_21rocsparse_index_base_S6_S6_S8_PS9_SD_SC_S6_S6_S8_SD_SD_SC_SD_SD_ ; -- Begin function _ZN9rocsparseL14kernel_freerunILi1024ELi4E21rocsparse_complex_numIfEiiEEvT3_S3_T2_PKS4_S6_PKS3_PKT1_21rocsparse_index_base_S6_S6_S8_PS9_SD_SC_S6_S6_S8_SD_SD_SC_SD_SD_
	.p2align	8
	.type	_ZN9rocsparseL14kernel_freerunILi1024ELi4E21rocsparse_complex_numIfEiiEEvT3_S3_T2_PKS4_S6_PKS3_PKT1_21rocsparse_index_base_S6_S6_S8_PS9_SD_SC_S6_S6_S8_SD_SD_SC_SD_SD_,@function
_ZN9rocsparseL14kernel_freerunILi1024ELi4E21rocsparse_complex_numIfEiiEEvT3_S3_T2_PKS4_S6_PKS3_PKT1_21rocsparse_index_base_S6_S6_S8_PS9_SD_SC_S6_S6_S8_SD_SD_SC_SD_SD_: ; @_ZN9rocsparseL14kernel_freerunILi1024ELi4E21rocsparse_complex_numIfEiiEEvT3_S3_T2_PKS4_S6_PKS3_PKT1_21rocsparse_index_base_S6_S6_S8_PS9_SD_SC_S6_S6_S8_SD_SD_SC_SD_SD_
; %bb.0:
	s_load_dwordx2 s[10:11], s[4:5], 0x0
	v_lshrrev_b32_e32 v1, 2, v0
	s_lshl_b32 s69, s6, 10
	v_or_b32_e32 v20, s69, v1
	s_mov_b32 s33, 0
	s_waitcnt lgkmcnt(0)
	s_cmp_gt_i32 s10, 0
	v_cmp_gt_i32_e32 vcc, s11, v20
	s_cselect_b64 s[0:1], -1, 0
	s_and_b64 s[0:1], vcc, s[0:1]
	s_and_saveexec_b64 s[2:3], s[0:1]
	s_cbranch_execz .LBB30_72
; %bb.1:
	s_load_dwordx4 s[28:31], s[4:5], 0x98
	s_load_dwordx8 s[12:19], s[4:5], 0x68
	s_load_dwordx8 s[20:27], s[4:5], 0x38
	;; [unrolled: 1-line block ×3, first 2 shown]
	s_load_dword s66, s[4:5], 0x30
	s_load_dwordx2 s[34:35], s[4:5], 0x58
	s_load_dword s67, s[4:5], 0x60
	s_load_dwordx2 s[44:45], s[4:5], 0x88
	s_load_dword s68, s[4:5], 0x90
	v_and_b32_e32 v0, 3, v0
	s_addk_i32 s69, 0x400
	s_waitcnt lgkmcnt(0)
	v_subrev_u32_e32 v21, s66, v0
	v_cmp_gt_u32_e64 s[0:1], s69, v20
	v_subrev_u32_e32 v22, s67, v0
	v_subrev_u32_e32 v23, s68, v0
	v_cmp_eq_u32_e64 s[2:3], 0, v0
	s_mov_b32 s70, 0xf800000
	v_mov_b32_e32 v24, 0x260
	s_movk_i32 s71, 0x1f8
	v_mov_b32_e32 v1, 0
	s_branch .LBB30_3
.LBB30_2:                               ;   in Loop: Header=BB30_3 Depth=1
	s_or_b64 exec, exec, s[4:5]
	s_add_i32 s33, s33, 1
	s_cmp_eq_u32 s33, s10
	s_cbranch_scc1 .LBB30_72
.LBB30_3:                               ; =>This Loop Header: Depth=1
                                        ;     Child Loop BB30_5 Depth 2
                                        ;       Child Loop BB30_9 Depth 3
                                        ;         Child Loop BB30_13 Depth 4
                                        ;         Child Loop BB30_43 Depth 4
	;; [unrolled: 1-line block ×3, first 2 shown]
                                        ;     Child Loop BB30_63 Depth 2
                                        ;       Child Loop BB30_66 Depth 3
                                        ;       Child Loop BB30_69 Depth 3
	s_mov_b32 s72, 0
	s_branch .LBB30_5
.LBB30_4:                               ;   in Loop: Header=BB30_5 Depth=2
	s_or_b64 exec, exec, s[46:47]
	s_add_i32 s72, s72, 1
	s_cmp_eq_u32 s72, 4
	s_cbranch_scc1 .LBB30_60
.LBB30_5:                               ;   Parent Loop BB30_3 Depth=1
                                        ; =>  This Loop Header: Depth=2
                                        ;       Child Loop BB30_9 Depth 3
                                        ;         Child Loop BB30_13 Depth 4
                                        ;         Child Loop BB30_43 Depth 4
	;; [unrolled: 1-line block ×3, first 2 shown]
	v_lshl_add_u32 v2, s72, 8, v20
	v_cmp_gt_i32_e32 vcc, s11, v2
	s_and_saveexec_b64 s[46:47], vcc
	s_cbranch_execz .LBB30_4
; %bb.6:                                ;   in Loop: Header=BB30_5 Depth=2
	v_ashrrev_i32_e32 v3, 31, v2
	v_lshlrev_b64 v[6:7], 2, v[2:3]
	v_mov_b32_e32 v0, s37
	v_add_co_u32_e32 v4, vcc, s36, v6
	v_addc_co_u32_e32 v5, vcc, v0, v7, vcc
	global_load_dword v0, v[4:5], off
	v_mov_b32_e32 v3, s39
	v_add_co_u32_e32 v4, vcc, s38, v6
	v_addc_co_u32_e32 v5, vcc, v3, v7, vcc
	global_load_dword v3, v[4:5], off
	s_waitcnt vmcnt(1)
	v_add_u32_e32 v4, v21, v0
	s_waitcnt vmcnt(0)
	v_subrev_u32_e32 v3, s66, v3
	v_cmp_lt_i32_e32 vcc, v4, v3
	s_and_b64 exec, exec, vcc
	s_cbranch_execz .LBB30_4
; %bb.7:                                ;   in Loop: Header=BB30_5 Depth=2
	v_mov_b32_e32 v0, s23
	v_add_co_u32_e32 v8, vcc, s22, v6
	v_addc_co_u32_e32 v9, vcc, v0, v7, vcc
	v_mov_b32_e32 v0, s21
	v_add_co_u32_e32 v6, vcc, s20, v6
	v_addc_co_u32_e32 v7, vcc, v0, v7, vcc
	global_load_dword v0, v[6:7], off
	global_load_dword v5, v[8:9], off
	v_mov_b32_e32 v12, s25
	v_mov_b32_e32 v13, s27
	s_mov_b64 s[48:49], 0
	s_waitcnt vmcnt(1)
	v_subrev_u32_e32 v6, s67, v0
	v_ashrrev_i32_e32 v7, 31, v6
	v_lshlrev_b64 v[8:9], 2, v[6:7]
	v_lshlrev_b64 v[10:11], 3, v[6:7]
	v_add_co_u32_e32 v7, vcc, s24, v8
	v_addc_co_u32_e32 v26, vcc, v12, v9, vcc
	s_waitcnt vmcnt(0)
	v_sub_u32_e32 v25, v5, v0
	v_add_co_u32_e32 v27, vcc, s26, v10
	v_cmp_lt_i32_e64 s[4:5], 0, v25
	v_addc_co_u32_e32 v28, vcc, v13, v11, vcc
	s_branch .LBB30_9
.LBB30_8:                               ;   in Loop: Header=BB30_9 Depth=3
	s_or_b64 exec, exec, s[8:9]
	v_add_u32_e32 v4, 4, v4
	v_cmp_ge_i32_e32 vcc, v4, v3
	s_or_b64 s[48:49], vcc, s[48:49]
	s_andn2_b64 exec, exec, s[48:49]
	s_cbranch_execz .LBB30_4
.LBB30_9:                               ;   Parent Loop BB30_3 Depth=1
                                        ;     Parent Loop BB30_5 Depth=2
                                        ; =>    This Loop Header: Depth=3
                                        ;         Child Loop BB30_13 Depth 4
                                        ;         Child Loop BB30_43 Depth 4
	;; [unrolled: 1-line block ×3, first 2 shown]
	v_ashrrev_i32_e32 v5, 31, v4
	v_lshlrev_b64 v[8:9], 2, v[4:5]
	v_mov_b32_e32 v0, s41
	v_add_co_u32_e32 v8, vcc, s40, v8
	v_addc_co_u32_e32 v9, vcc, v0, v9, vcc
	global_load_dword v0, v[8:9], off
	v_mov_b32_e32 v13, s13
	v_mov_b32_e32 v14, s15
	s_waitcnt vmcnt(0)
	v_subrev_u32_e32 v10, s66, v0
	v_ashrrev_i32_e32 v11, 31, v10
	v_lshlrev_b64 v[8:9], 2, v[10:11]
	v_add_co_u32_e32 v12, vcc, s12, v8
	v_addc_co_u32_e32 v13, vcc, v13, v9, vcc
	v_add_co_u32_e32 v8, vcc, s14, v8
	v_addc_co_u32_e32 v9, vcc, v14, v9, vcc
	global_load_dword v13, v[12:13], off
	s_nop 0
	global_load_dword v14, v[8:9], off
	v_mov_b32_e32 v9, 0
	v_mov_b32_e32 v0, 0
	;; [unrolled: 1-line block ×3, first 2 shown]
	s_waitcnt vmcnt(1)
	v_subrev_u32_e32 v12, s68, v13
	s_waitcnt vmcnt(0)
	v_sub_u32_e32 v29, v14, v13
	v_mov_b32_e32 v14, 0
	s_and_saveexec_b64 s[6:7], s[4:5]
	s_cbranch_execz .LBB30_17
; %bb.10:                               ;   in Loop: Header=BB30_9 Depth=3
	v_ashrrev_i32_e32 v13, 31, v12
	v_lshlrev_b64 v[8:9], 2, v[12:13]
	v_mov_b32_e32 v0, s17
	v_add_co_u32_e32 v16, vcc, s16, v8
	v_addc_co_u32_e32 v17, vcc, v0, v9, vcc
	v_lshlrev_b64 v[8:9], 3, v[12:13]
	v_mov_b32_e32 v0, s19
	v_add_co_u32_e32 v13, vcc, s18, v8
	v_mov_b32_e32 v14, 0
	v_mov_b32_e32 v8, 0
	v_addc_co_u32_e32 v18, vcc, v0, v9, vcc
	s_mov_b64 s[8:9], 0
	v_mov_b32_e32 v0, v14
	v_mov_b32_e32 v9, v8
                                        ; implicit-def: $sgpr50_sgpr51
	s_branch .LBB30_13
.LBB30_11:                              ;   in Loop: Header=BB30_13 Depth=4
	s_or_b64 exec, exec, s[54:55]
	v_cmp_le_i32_e32 vcc, v19, v30
	v_addc_co_u32_e32 v0, vcc, 0, v0, vcc
	v_cmp_ge_i32_e32 vcc, v19, v30
	v_addc_co_u32_e32 v14, vcc, 0, v14, vcc
	v_cmp_ge_i32_e32 vcc, v0, v25
	s_andn2_b64 s[50:51], s[50:51], exec
	s_and_b64 s[54:55], vcc, exec
	s_or_b64 s[50:51], s[50:51], s[54:55]
.LBB30_12:                              ;   in Loop: Header=BB30_13 Depth=4
	s_or_b64 exec, exec, s[52:53]
	s_and_b64 s[52:53], exec, s[50:51]
	s_or_b64 s[8:9], s[52:53], s[8:9]
	s_andn2_b64 exec, exec, s[8:9]
	s_cbranch_execz .LBB30_16
.LBB30_13:                              ;   Parent Loop BB30_3 Depth=1
                                        ;     Parent Loop BB30_5 Depth=2
                                        ;       Parent Loop BB30_9 Depth=3
                                        ; =>      This Inner Loop Header: Depth=4
	v_cmp_lt_i32_e32 vcc, v14, v29
	s_or_b64 s[50:51], s[50:51], exec
	s_and_saveexec_b64 s[52:53], vcc
	s_cbranch_execz .LBB30_12
; %bb.14:                               ;   in Loop: Header=BB30_13 Depth=4
	v_lshlrev_b64 v[30:31], 2, v[0:1]
	v_add_co_u32_e32 v30, vcc, v7, v30
	v_addc_co_u32_e32 v31, vcc, v26, v31, vcc
	v_mov_b32_e32 v15, v1
	global_load_dword v19, v[30:31], off
	v_lshlrev_b64 v[30:31], 2, v[14:15]
	v_add_co_u32_e32 v30, vcc, v16, v30
	v_addc_co_u32_e32 v31, vcc, v17, v31, vcc
	global_load_dword v30, v[30:31], off
	s_waitcnt vmcnt(1)
	v_subrev_u32_e32 v19, s67, v19
	s_waitcnt vmcnt(0)
	v_subrev_u32_e32 v30, s68, v30
	v_cmp_eq_u32_e32 vcc, v19, v30
	s_and_saveexec_b64 s[54:55], vcc
	s_cbranch_execz .LBB30_11
; %bb.15:                               ;   in Loop: Header=BB30_13 Depth=4
	v_lshlrev_b64 v[32:33], 3, v[0:1]
	v_add_co_u32_e32 v32, vcc, v27, v32
	v_addc_co_u32_e32 v33, vcc, v28, v33, vcc
	v_lshlrev_b64 v[34:35], 3, v[14:15]
	v_add_co_u32_e32 v34, vcc, v13, v34
	v_addc_co_u32_e32 v35, vcc, v18, v35, vcc
	global_load_dwordx2 v[34:35], v[34:35], off
	s_nop 0
	global_load_dwordx2 v[32:33], v[32:33], off
	s_waitcnt vmcnt(0)
	v_pk_fma_f32 v[8:9], v[32:33], v[34:35], v[8:9] op_sel_hi:[1,0,1]
	v_pk_fma_f32 v[8:9], v[32:33], v[34:35], v[8:9] op_sel:[1,1,0] op_sel_hi:[0,1,1] neg_lo:[1,0,0]
	s_branch .LBB30_11
.LBB30_16:                              ;   in Loop: Header=BB30_9 Depth=3
	s_or_b64 exec, exec, s[8:9]
.LBB30_17:                              ;   in Loop: Header=BB30_9 Depth=3
	s_or_b64 exec, exec, s[6:7]
	v_lshlrev_b64 v[16:17], 3, v[4:5]
	v_mov_b32_e32 v5, s43
	v_add_co_u32_e32 v16, vcc, s42, v16
	v_addc_co_u32_e32 v17, vcc, v5, v17, vcc
	global_load_dwordx2 v[16:17], v[16:17], off
	v_cmp_le_i32_e64 s[6:7], v2, v10
	v_cmp_gt_i32_e32 vcc, v2, v10
	s_waitcnt vmcnt(0)
	v_pk_add_f32 v[8:9], v[16:17], v[8:9] neg_lo:[0,1] neg_hi:[0,1]
	s_and_saveexec_b64 s[50:51], vcc
	s_cbranch_execz .LBB30_27
; %bb.18:                               ;   in Loop: Header=BB30_9 Depth=3
	v_lshlrev_b64 v[16:17], 3, v[10:11]
	v_mov_b32_e32 v5, s29
	v_add_co_u32_e32 v16, vcc, s28, v16
	v_addc_co_u32_e32 v17, vcc, v5, v17, vcc
	global_load_dwordx2 v[16:17], v[16:17], off
                                        ; implicit-def: $vgpr15
	s_waitcnt vmcnt(0)
	v_cmp_gt_f32_e32 vcc, 0, v16
	v_cndmask_b32_e64 v5, v16, -v16, vcc
	v_cmp_gt_f32_e32 vcc, 0, v17
	v_cndmask_b32_e64 v13, v17, -v17, vcc
	v_cmp_ngt_f32_e32 vcc, v5, v13
	s_and_saveexec_b64 s[8:9], vcc
	s_xor_b64 s[52:53], exec, s[8:9]
	s_cbranch_execz .LBB30_22
; %bb.19:                               ;   in Loop: Header=BB30_9 Depth=3
	v_cmp_neq_f32_e32 vcc, 0, v17
	v_mov_b32_e32 v15, 0
	s_and_saveexec_b64 s[54:55], vcc
	s_cbranch_execz .LBB30_21
; %bb.20:                               ;   in Loop: Header=BB30_9 Depth=3
	v_div_scale_f32 v15, s[8:9], v13, v13, v5
	v_rcp_f32_e32 v18, v15
	v_div_scale_f32 v19, vcc, v5, v13, v5
	v_fma_f32 v30, -v15, v18, 1.0
	v_fmac_f32_e32 v18, v30, v18
	v_mul_f32_e32 v30, v19, v18
	v_fma_f32 v31, -v15, v30, v19
	v_fmac_f32_e32 v30, v31, v18
	v_fma_f32 v15, -v15, v30, v19
	v_div_fmas_f32 v15, v15, v18, v30
	v_div_fixup_f32 v5, v15, v13, v5
	v_fma_f32 v5, v5, v5, 1.0
	v_mul_f32_e32 v15, 0x4f800000, v5
	v_cmp_gt_f32_e32 vcc, s70, v5
	v_cndmask_b32_e32 v5, v5, v15, vcc
	v_sqrt_f32_e32 v15, v5
	v_add_u32_e32 v18, -1, v15
	v_fma_f32 v19, -v18, v15, v5
	v_cmp_ge_f32_e64 s[8:9], 0, v19
	v_add_u32_e32 v19, 1, v15
	v_cndmask_b32_e64 v18, v15, v18, s[8:9]
	v_fma_f32 v15, -v19, v15, v5
	v_cmp_lt_f32_e64 s[8:9], 0, v15
	v_cndmask_b32_e64 v15, v18, v19, s[8:9]
	v_mul_f32_e32 v18, 0x37800000, v15
	v_cndmask_b32_e32 v15, v15, v18, vcc
	v_cmp_class_f32_e32 vcc, v5, v24
	v_cndmask_b32_e32 v5, v15, v5, vcc
	v_mul_f32_e32 v15, v13, v5
.LBB30_21:                              ;   in Loop: Header=BB30_9 Depth=3
	s_or_b64 exec, exec, s[54:55]
                                        ; implicit-def: $vgpr5
                                        ; implicit-def: $vgpr13
.LBB30_22:                              ;   in Loop: Header=BB30_9 Depth=3
	s_andn2_saveexec_b64 s[52:53], s[52:53]
	s_cbranch_execz .LBB30_24
; %bb.23:                               ;   in Loop: Header=BB30_9 Depth=3
	v_div_scale_f32 v15, s[8:9], v5, v5, v13
	v_rcp_f32_e32 v18, v15
	v_div_scale_f32 v19, vcc, v13, v5, v13
	v_fma_f32 v30, -v15, v18, 1.0
	v_fmac_f32_e32 v18, v30, v18
	v_mul_f32_e32 v30, v19, v18
	v_fma_f32 v31, -v15, v30, v19
	v_fmac_f32_e32 v30, v31, v18
	v_fma_f32 v15, -v15, v30, v19
	v_div_fmas_f32 v15, v15, v18, v30
	v_div_fixup_f32 v13, v15, v5, v13
	v_fma_f32 v13, v13, v13, 1.0
	v_mul_f32_e32 v15, 0x4f800000, v13
	v_cmp_gt_f32_e32 vcc, s70, v13
	v_cndmask_b32_e32 v13, v13, v15, vcc
	v_sqrt_f32_e32 v15, v13
	v_add_u32_e32 v18, -1, v15
	v_fma_f32 v19, -v18, v15, v13
	v_cmp_ge_f32_e64 s[8:9], 0, v19
	v_add_u32_e32 v19, 1, v15
	v_cndmask_b32_e64 v18, v15, v18, s[8:9]
	v_fma_f32 v15, -v19, v15, v13
	v_cmp_lt_f32_e64 s[8:9], 0, v15
	v_cndmask_b32_e64 v15, v18, v19, s[8:9]
	v_mul_f32_e32 v18, 0x37800000, v15
	v_cndmask_b32_e32 v15, v15, v18, vcc
	v_cmp_class_f32_e32 vcc, v13, v24
	v_cndmask_b32_e32 v13, v15, v13, vcc
	v_mul_f32_e32 v15, v5, v13
.LBB30_24:                              ;   in Loop: Header=BB30_9 Depth=3
	s_or_b64 exec, exec, s[52:53]
	v_cmp_lt_f32_e32 vcc, 0, v15
	v_mov_b32_e32 v19, 0
	v_mov_b32_e32 v18, 0
	s_and_saveexec_b64 s[8:9], vcc
	s_cbranch_execz .LBB30_26
; %bb.25:                               ;   in Loop: Header=BB30_9 Depth=3
	v_mul_f32_e32 v5, v17, v17
	v_fmac_f32_e32 v5, v16, v16
	v_div_scale_f32 v13, s[52:53], v5, v5, 1.0
	v_rcp_f32_e32 v15, v13
	v_div_scale_f32 v18, vcc, 1.0, v5, 1.0
	v_xor_b32_e32 v31, 0x80000000, v8
	v_fma_f32 v19, -v13, v15, 1.0
	v_fmac_f32_e32 v15, v19, v15
	v_mul_f32_e32 v19, v18, v15
	v_fma_f32 v30, -v13, v19, v18
	v_fmac_f32_e32 v19, v30, v15
	v_fma_f32 v13, -v13, v19, v18
	v_mov_b32_e32 v30, v9
	v_div_fmas_f32 v13, v13, v15, v19
	v_pk_mul_f32 v[30:31], v[30:31], v[16:17] op_sel:[0,1]
	v_div_fixup_f32 v18, v13, v5, 1.0
	v_pk_fma_f32 v[8:9], v[8:9], v[16:17], v[30:31] op_sel_hi:[1,0,1]
	v_pk_mul_f32 v[18:19], v[8:9], v[18:19] op_sel_hi:[1,0]
.LBB30_26:                              ;   in Loop: Header=BB30_9 Depth=3
	s_or_b64 exec, exec, s[8:9]
	v_mov_b32_e32 v9, v19
	v_mov_b32_e32 v8, v18
.LBB30_27:                              ;   in Loop: Header=BB30_9 Depth=3
	s_or_b64 exec, exec, s[50:51]
	v_cmp_gt_f32_e32 vcc, 0, v8
	v_cndmask_b32_e64 v5, v8, -v8, vcc
	v_cmp_gt_f32_e32 vcc, 0, v9
	v_cndmask_b32_e64 v13, v9, -v9, vcc
	v_cmp_ngt_f32_e32 vcc, v5, v13
                                        ; implicit-def: $vgpr15
	s_and_saveexec_b64 s[8:9], vcc
	s_xor_b64 s[50:51], exec, s[8:9]
	s_cbranch_execnz .LBB30_30
; %bb.28:                               ;   in Loop: Header=BB30_9 Depth=3
	s_andn2_saveexec_b64 s[50:51], s[50:51]
	s_cbranch_execnz .LBB30_33
.LBB30_29:                              ;   in Loop: Header=BB30_9 Depth=3
	s_or_b64 exec, exec, s[50:51]
	v_cmp_class_f32_e64 s[50:51], v15, s71
	s_and_saveexec_b64 s[8:9], s[50:51]
	s_cbranch_execz .LBB30_8
	s_branch .LBB30_34
.LBB30_30:                              ;   in Loop: Header=BB30_9 Depth=3
	v_cmp_neq_f32_e32 vcc, 0, v9
	v_mov_b32_e32 v15, 0
	s_and_saveexec_b64 s[52:53], vcc
	s_cbranch_execz .LBB30_32
; %bb.31:                               ;   in Loop: Header=BB30_9 Depth=3
	v_div_scale_f32 v15, s[8:9], v13, v13, v5
	v_rcp_f32_e32 v16, v15
	v_div_scale_f32 v17, vcc, v5, v13, v5
	v_fma_f32 v18, -v15, v16, 1.0
	v_fmac_f32_e32 v16, v18, v16
	v_mul_f32_e32 v18, v17, v16
	v_fma_f32 v19, -v15, v18, v17
	v_fmac_f32_e32 v18, v19, v16
	v_fma_f32 v15, -v15, v18, v17
	v_div_fmas_f32 v15, v15, v16, v18
	v_div_fixup_f32 v5, v15, v13, v5
	v_fma_f32 v5, v5, v5, 1.0
	v_mul_f32_e32 v15, 0x4f800000, v5
	v_cmp_gt_f32_e32 vcc, s70, v5
	v_cndmask_b32_e32 v5, v5, v15, vcc
	v_sqrt_f32_e32 v15, v5
	v_add_u32_e32 v16, -1, v15
	v_fma_f32 v17, -v16, v15, v5
	v_cmp_ge_f32_e64 s[8:9], 0, v17
	v_add_u32_e32 v17, 1, v15
	v_cndmask_b32_e64 v16, v15, v16, s[8:9]
	v_fma_f32 v15, -v17, v15, v5
	v_cmp_lt_f32_e64 s[8:9], 0, v15
	v_cndmask_b32_e64 v15, v16, v17, s[8:9]
	v_mul_f32_e32 v16, 0x37800000, v15
	v_cndmask_b32_e32 v15, v15, v16, vcc
	v_cmp_class_f32_e32 vcc, v5, v24
	v_cndmask_b32_e32 v5, v15, v5, vcc
	v_mul_f32_e32 v15, v13, v5
.LBB30_32:                              ;   in Loop: Header=BB30_9 Depth=3
	s_or_b64 exec, exec, s[52:53]
                                        ; implicit-def: $vgpr5
                                        ; implicit-def: $vgpr13
	s_andn2_saveexec_b64 s[50:51], s[50:51]
	s_cbranch_execz .LBB30_29
.LBB30_33:                              ;   in Loop: Header=BB30_9 Depth=3
	v_div_scale_f32 v15, s[8:9], v5, v5, v13
	v_rcp_f32_e32 v16, v15
	v_div_scale_f32 v17, vcc, v13, v5, v13
	v_fma_f32 v18, -v15, v16, 1.0
	v_fmac_f32_e32 v16, v18, v16
	v_mul_f32_e32 v18, v17, v16
	v_fma_f32 v19, -v15, v18, v17
	v_fmac_f32_e32 v18, v19, v16
	v_fma_f32 v15, -v15, v18, v17
	v_div_fmas_f32 v15, v15, v16, v18
	v_div_fixup_f32 v13, v15, v5, v13
	v_fma_f32 v13, v13, v13, 1.0
	v_mul_f32_e32 v15, 0x4f800000, v13
	v_cmp_gt_f32_e32 vcc, s70, v13
	v_cndmask_b32_e32 v13, v13, v15, vcc
	v_sqrt_f32_e32 v15, v13
	v_add_u32_e32 v16, -1, v15
	v_fma_f32 v17, -v16, v15, v13
	v_cmp_ge_f32_e64 s[8:9], 0, v17
	v_add_u32_e32 v17, 1, v15
	v_cndmask_b32_e64 v16, v15, v16, s[8:9]
	v_fma_f32 v15, -v17, v15, v13
	v_cmp_lt_f32_e64 s[8:9], 0, v15
	v_cndmask_b32_e64 v15, v16, v17, s[8:9]
	v_mul_f32_e32 v16, 0x37800000, v15
	v_cndmask_b32_e32 v15, v15, v16, vcc
	v_cmp_class_f32_e32 vcc, v13, v24
	v_cndmask_b32_e32 v13, v15, v13, vcc
	v_mul_f32_e32 v15, v5, v13
	s_or_b64 exec, exec, s[50:51]
	v_cmp_class_f32_e64 s[50:51], v15, s71
	s_and_saveexec_b64 s[8:9], s[50:51]
	s_cbranch_execz .LBB30_8
.LBB30_34:                              ;   in Loop: Header=BB30_9 Depth=3
	s_mov_b64 s[50:51], 0
                                        ; implicit-def: $vgpr16_vgpr17
	s_and_saveexec_b64 s[52:53], s[6:7]
	s_xor_b64 s[6:7], exec, s[52:53]
	s_cbranch_execnz .LBB30_37
; %bb.35:                               ;   in Loop: Header=BB30_9 Depth=3
	s_andn2_saveexec_b64 s[6:7], s[6:7]
	s_cbranch_execnz .LBB30_50
.LBB30_36:                              ;   in Loop: Header=BB30_9 Depth=3
	s_or_b64 exec, exec, s[6:7]
	s_and_b64 exec, exec, s[50:51]
	s_cbranch_execz .LBB30_8
	s_branch .LBB30_59
.LBB30_37:                              ;   in Loop: Header=BB30_9 Depth=3
	v_cmp_ge_i32_e32 vcc, v2, v10
                                        ; implicit-def: $vgpr16_vgpr17
	s_and_saveexec_b64 s[52:53], vcc
	s_xor_b64 s[52:53], exec, s[52:53]
; %bb.38:                               ;   in Loop: Header=BB30_9 Depth=3
	v_lshlrev_b64 v[10:11], 3, v[10:11]
	v_mov_b32_e32 v0, s31
	v_add_co_u32_e32 v16, vcc, s30, v10
	s_mov_b64 s[50:51], exec
	v_addc_co_u32_e32 v17, vcc, v0, v11, vcc
                                        ; implicit-def: $vgpr14
                                        ; implicit-def: $vgpr29
                                        ; implicit-def: $vgpr12
; %bb.39:                               ;   in Loop: Header=BB30_9 Depth=3
	s_andn2_saveexec_b64 s[52:53], s[52:53]
	s_cbranch_execz .LBB30_49
; %bb.40:                               ;   in Loop: Header=BB30_9 Depth=3
	v_cmp_lt_i32_e32 vcc, v14, v29
	s_mov_b64 s[56:57], s[50:51]
                                        ; implicit-def: $vgpr16_vgpr17
	s_and_saveexec_b64 s[54:55], vcc
	s_cbranch_execz .LBB30_48
; %bb.41:                               ;   in Loop: Header=BB30_9 Depth=3
	s_mov_b64 s[58:59], 0
                                        ; implicit-def: $sgpr56_sgpr57
                                        ; implicit-def: $sgpr62_sgpr63
                                        ; implicit-def: $sgpr60_sgpr61
	s_branch .LBB30_43
.LBB30_42:                              ;   in Loop: Header=BB30_43 Depth=4
	s_or_b64 exec, exec, s[64:65]
	s_and_b64 s[64:65], exec, s[62:63]
	s_or_b64 s[58:59], s[64:65], s[58:59]
	s_andn2_b64 s[56:57], s[56:57], exec
	s_and_b64 s[64:65], s[60:61], exec
	s_or_b64 s[56:57], s[56:57], s[64:65]
	s_andn2_b64 exec, exec, s[58:59]
	s_cbranch_execz .LBB30_45
.LBB30_43:                              ;   Parent Loop BB30_3 Depth=1
                                        ;     Parent Loop BB30_5 Depth=2
                                        ;       Parent Loop BB30_9 Depth=3
                                        ; =>      This Inner Loop Header: Depth=4
	v_add_u32_e32 v10, v12, v14
	v_ashrrev_i32_e32 v11, 31, v10
	v_lshlrev_b64 v[16:17], 2, v[10:11]
	v_mov_b32_e32 v0, s17
	v_add_co_u32_e32 v16, vcc, s16, v16
	v_addc_co_u32_e32 v17, vcc, v0, v17, vcc
	global_load_dword v0, v[16:17], off
	s_or_b64 s[60:61], s[60:61], exec
	s_or_b64 s[62:63], s[62:63], exec
	s_waitcnt vmcnt(0)
	v_subrev_u32_e32 v0, s68, v0
	v_cmp_ne_u32_e32 vcc, v0, v2
	s_and_saveexec_b64 s[64:65], vcc
	s_cbranch_execz .LBB30_42
; %bb.44:                               ;   in Loop: Header=BB30_43 Depth=4
	v_add_u32_e32 v14, 1, v14
	v_cmp_ge_i32_e32 vcc, v14, v29
	s_andn2_b64 s[62:63], s[62:63], exec
	s_and_b64 s[74:75], vcc, exec
	s_andn2_b64 s[60:61], s[60:61], exec
	s_or_b64 s[62:63], s[62:63], s[74:75]
	s_branch .LBB30_42
.LBB30_45:                              ;   in Loop: Header=BB30_9 Depth=3
	s_or_b64 exec, exec, s[58:59]
	s_mov_b64 s[58:59], s[50:51]
                                        ; implicit-def: $vgpr16_vgpr17
	s_and_saveexec_b64 s[60:61], s[56:57]
	s_xor_b64 s[56:57], exec, s[60:61]
; %bb.46:                               ;   in Loop: Header=BB30_9 Depth=3
	v_lshlrev_b64 v[10:11], 3, v[10:11]
	v_mov_b32_e32 v0, s45
	v_add_co_u32_e32 v16, vcc, s44, v10
	v_addc_co_u32_e32 v17, vcc, v0, v11, vcc
	s_or_b64 s[58:59], s[50:51], exec
; %bb.47:                               ;   in Loop: Header=BB30_9 Depth=3
	s_or_b64 exec, exec, s[56:57]
	s_andn2_b64 s[56:57], s[50:51], exec
	s_and_b64 s[58:59], s[58:59], exec
	s_or_b64 s[56:57], s[56:57], s[58:59]
.LBB30_48:                              ;   in Loop: Header=BB30_9 Depth=3
	s_or_b64 exec, exec, s[54:55]
	s_andn2_b64 s[50:51], s[50:51], exec
	s_and_b64 s[54:55], s[56:57], exec
	s_or_b64 s[50:51], s[50:51], s[54:55]
.LBB30_49:                              ;   in Loop: Header=BB30_9 Depth=3
	s_or_b64 exec, exec, s[52:53]
	s_and_b64 s[50:51], s[50:51], exec
                                        ; implicit-def: $vgpr10_vgpr11
	s_andn2_saveexec_b64 s[6:7], s[6:7]
	s_cbranch_execz .LBB30_36
.LBB30_50:                              ;   in Loop: Header=BB30_9 Depth=3
	v_cmp_lt_i32_e32 vcc, v0, v25
	s_mov_b64 s[54:55], s[50:51]
                                        ; implicit-def: $vgpr16_vgpr17
	s_and_saveexec_b64 s[52:53], vcc
	s_cbranch_execz .LBB30_58
; %bb.51:                               ;   in Loop: Header=BB30_9 Depth=3
	s_mov_b64 s[56:57], 0
                                        ; implicit-def: $sgpr54_sgpr55
                                        ; implicit-def: $sgpr60_sgpr61
                                        ; implicit-def: $sgpr58_sgpr59
	s_branch .LBB30_53
.LBB30_52:                              ;   in Loop: Header=BB30_53 Depth=4
	s_or_b64 exec, exec, s[62:63]
	s_and_b64 s[62:63], exec, s[60:61]
	s_or_b64 s[56:57], s[62:63], s[56:57]
	s_andn2_b64 s[54:55], s[54:55], exec
	s_and_b64 s[62:63], s[58:59], exec
	s_or_b64 s[54:55], s[54:55], s[62:63]
	s_andn2_b64 exec, exec, s[56:57]
	s_cbranch_execz .LBB30_55
.LBB30_53:                              ;   Parent Loop BB30_3 Depth=1
                                        ;     Parent Loop BB30_5 Depth=2
                                        ;       Parent Loop BB30_9 Depth=3
                                        ; =>      This Inner Loop Header: Depth=4
	v_add_u32_e32 v12, v6, v0
	v_ashrrev_i32_e32 v13, 31, v12
	v_lshlrev_b64 v[14:15], 2, v[12:13]
	v_mov_b32_e32 v5, s25
	v_add_co_u32_e32 v14, vcc, s24, v14
	v_addc_co_u32_e32 v15, vcc, v5, v15, vcc
	global_load_dword v5, v[14:15], off
	s_or_b64 s[58:59], s[58:59], exec
	s_or_b64 s[60:61], s[60:61], exec
	s_waitcnt vmcnt(0)
	v_subrev_u32_e32 v5, s67, v5
	v_cmp_ne_u32_e32 vcc, v5, v10
	s_and_saveexec_b64 s[62:63], vcc
	s_cbranch_execz .LBB30_52
; %bb.54:                               ;   in Loop: Header=BB30_53 Depth=4
	v_add_u32_e32 v0, 1, v0
	v_cmp_ge_i32_e32 vcc, v0, v25
	s_andn2_b64 s[60:61], s[60:61], exec
	s_and_b64 s[64:65], vcc, exec
	s_andn2_b64 s[58:59], s[58:59], exec
	s_or_b64 s[60:61], s[60:61], s[64:65]
	s_branch .LBB30_52
.LBB30_55:                              ;   in Loop: Header=BB30_9 Depth=3
	s_or_b64 exec, exec, s[56:57]
	s_mov_b64 s[56:57], s[50:51]
                                        ; implicit-def: $vgpr16_vgpr17
	s_and_saveexec_b64 s[58:59], s[54:55]
	s_xor_b64 s[54:55], exec, s[58:59]
; %bb.56:                               ;   in Loop: Header=BB30_9 Depth=3
	v_lshlrev_b64 v[10:11], 3, v[12:13]
	v_mov_b32_e32 v0, s35
	v_add_co_u32_e32 v16, vcc, s34, v10
	v_addc_co_u32_e32 v17, vcc, v0, v11, vcc
	s_or_b64 s[56:57], s[50:51], exec
; %bb.57:                               ;   in Loop: Header=BB30_9 Depth=3
	s_or_b64 exec, exec, s[54:55]
	s_andn2_b64 s[54:55], s[50:51], exec
	s_and_b64 s[56:57], s[56:57], exec
	s_or_b64 s[54:55], s[54:55], s[56:57]
.LBB30_58:                              ;   in Loop: Header=BB30_9 Depth=3
	s_or_b64 exec, exec, s[52:53]
	s_andn2_b64 s[50:51], s[50:51], exec
	s_and_b64 s[52:53], s[54:55], exec
	s_or_b64 s[50:51], s[50:51], s[52:53]
	s_or_b64 exec, exec, s[6:7]
	s_and_b64 exec, exec, s[50:51]
	s_cbranch_execz .LBB30_8
.LBB30_59:                              ;   in Loop: Header=BB30_9 Depth=3
	global_store_dwordx2 v[16:17], v[8:9], off
	s_branch .LBB30_8
.LBB30_60:                              ;   in Loop: Header=BB30_3 Depth=1
	s_and_saveexec_b64 s[4:5], s[0:1]
	s_cbranch_execz .LBB30_2
; %bb.61:                               ;   in Loop: Header=BB30_3 Depth=1
	s_mov_b64 s[6:7], 0
	v_mov_b32_e32 v2, v20
	s_branch .LBB30_63
.LBB30_62:                              ;   in Loop: Header=BB30_63 Depth=2
	s_or_b64 exec, exec, s[8:9]
	v_add_u32_e32 v2, 0x100, v2
	v_cmp_le_u32_e32 vcc, s69, v2
	s_or_b64 s[6:7], vcc, s[6:7]
	s_andn2_b64 exec, exec, s[6:7]
	s_cbranch_execz .LBB30_2
.LBB30_63:                              ;   Parent Loop BB30_3 Depth=1
                                        ; =>  This Loop Header: Depth=2
                                        ;       Child Loop BB30_66 Depth 3
                                        ;       Child Loop BB30_69 Depth 3
	v_cmp_gt_i32_e32 vcc, s11, v2
	s_and_saveexec_b64 s[8:9], vcc
	s_cbranch_execz .LBB30_62
; %bb.64:                               ;   in Loop: Header=BB30_63 Depth=2
	v_ashrrev_i32_e32 v3, 31, v2
	v_lshlrev_b64 v[4:5], 2, v[2:3]
	v_mov_b32_e32 v0, s21
	v_add_co_u32_e32 v6, vcc, s20, v4
	v_addc_co_u32_e32 v7, vcc, v0, v5, vcc
	global_load_dword v0, v[6:7], off
	v_mov_b32_e32 v7, s23
	v_add_co_u32_e32 v6, vcc, s22, v4
	v_addc_co_u32_e32 v7, vcc, v7, v5, vcc
	global_load_dword v7, v[6:7], off
	s_waitcnt vmcnt(1)
	v_add_u32_e32 v6, v22, v0
	s_waitcnt vmcnt(0)
	v_subrev_u32_e32 v0, s67, v7
	v_cmp_lt_i32_e32 vcc, v6, v0
	s_and_saveexec_b64 s[46:47], vcc
	s_cbranch_execz .LBB30_67
; %bb.65:                               ;   in Loop: Header=BB30_63 Depth=2
	v_ashrrev_i32_e32 v7, 31, v6
	v_lshlrev_b64 v[10:11], 3, v[6:7]
	v_mov_b32_e32 v7, s35
	v_add_co_u32_e32 v8, vcc, s34, v10
	v_addc_co_u32_e32 v9, vcc, v7, v11, vcc
	v_mov_b32_e32 v7, s27
	v_add_co_u32_e32 v10, vcc, s26, v10
	v_addc_co_u32_e32 v11, vcc, v7, v11, vcc
	s_mov_b64 s[48:49], 0
.LBB30_66:                              ;   Parent Loop BB30_3 Depth=1
                                        ;     Parent Loop BB30_63 Depth=2
                                        ; =>    This Inner Loop Header: Depth=3
	global_load_dwordx2 v[12:13], v[8:9], off
	v_add_co_u32_e32 v8, vcc, 32, v8
	v_add_u32_e32 v6, 4, v6
	v_addc_co_u32_e32 v9, vcc, 0, v9, vcc
	v_cmp_ge_i32_e32 vcc, v6, v0
	s_or_b64 s[48:49], vcc, s[48:49]
	s_waitcnt vmcnt(0)
	global_store_dwordx2 v[10:11], v[12:13], off
	v_add_co_u32_e32 v10, vcc, 32, v10
	v_addc_co_u32_e32 v11, vcc, 0, v11, vcc
	s_andn2_b64 exec, exec, s[48:49]
	s_cbranch_execnz .LBB30_66
.LBB30_67:                              ;   in Loop: Header=BB30_63 Depth=2
	s_or_b64 exec, exec, s[46:47]
	v_mov_b32_e32 v0, s13
	v_add_co_u32_e32 v6, vcc, s12, v4
	v_addc_co_u32_e32 v7, vcc, v0, v5, vcc
	global_load_dword v0, v[6:7], off
	v_mov_b32_e32 v6, s15
	v_add_co_u32_e32 v4, vcc, s14, v4
	v_addc_co_u32_e32 v5, vcc, v6, v5, vcc
	global_load_dword v5, v[4:5], off
	s_waitcnt vmcnt(1)
	v_add_u32_e32 v4, v23, v0
	s_waitcnt vmcnt(0)
	v_subrev_u32_e32 v0, s68, v5
	v_cmp_lt_i32_e32 vcc, v4, v0
	s_and_saveexec_b64 s[46:47], vcc
	s_cbranch_execz .LBB30_70
; %bb.68:                               ;   in Loop: Header=BB30_63 Depth=2
	v_ashrrev_i32_e32 v5, 31, v4
	v_lshlrev_b64 v[8:9], 3, v[4:5]
	v_mov_b32_e32 v5, s45
	v_add_co_u32_e32 v6, vcc, s44, v8
	v_addc_co_u32_e32 v7, vcc, v5, v9, vcc
	v_mov_b32_e32 v5, s19
	v_add_co_u32_e32 v8, vcc, s18, v8
	v_addc_co_u32_e32 v9, vcc, v5, v9, vcc
	s_mov_b64 s[48:49], 0
.LBB30_69:                              ;   Parent Loop BB30_3 Depth=1
                                        ;     Parent Loop BB30_63 Depth=2
                                        ; =>    This Inner Loop Header: Depth=3
	global_load_dwordx2 v[10:11], v[6:7], off
	v_add_co_u32_e32 v6, vcc, 32, v6
	v_add_u32_e32 v4, 4, v4
	v_addc_co_u32_e32 v7, vcc, 0, v7, vcc
	v_cmp_ge_i32_e32 vcc, v4, v0
	s_or_b64 s[48:49], vcc, s[48:49]
	s_waitcnt vmcnt(0)
	global_store_dwordx2 v[8:9], v[10:11], off
	v_add_co_u32_e32 v8, vcc, 32, v8
	v_addc_co_u32_e32 v9, vcc, 0, v9, vcc
	s_andn2_b64 exec, exec, s[48:49]
	s_cbranch_execnz .LBB30_69
.LBB30_70:                              ;   in Loop: Header=BB30_63 Depth=2
	s_or_b64 exec, exec, s[46:47]
	s_and_b64 exec, exec, s[2:3]
	s_cbranch_execz .LBB30_62
; %bb.71:                               ;   in Loop: Header=BB30_63 Depth=2
	v_lshlrev_b64 v[4:5], 3, v[2:3]
	v_mov_b32_e32 v0, s31
	v_add_co_u32_e32 v6, vcc, s30, v4
	v_addc_co_u32_e32 v7, vcc, v0, v5, vcc
	global_load_dwordx2 v[6:7], v[6:7], off
	v_mov_b32_e32 v0, s29
	v_add_co_u32_e32 v4, vcc, s28, v4
	v_addc_co_u32_e32 v5, vcc, v0, v5, vcc
	s_waitcnt vmcnt(0)
	global_store_dwordx2 v[4:5], v[6:7], off
	s_branch .LBB30_62
.LBB30_72:
	s_endpgm
	.section	.rodata,"a",@progbits
	.p2align	6, 0x0
	.amdhsa_kernel _ZN9rocsparseL14kernel_freerunILi1024ELi4E21rocsparse_complex_numIfEiiEEvT3_S3_T2_PKS4_S6_PKS3_PKT1_21rocsparse_index_base_S6_S6_S8_PS9_SD_SC_S6_S6_S8_SD_SD_SC_SD_SD_
		.amdhsa_group_segment_fixed_size 0
		.amdhsa_private_segment_fixed_size 0
		.amdhsa_kernarg_size 168
		.amdhsa_user_sgpr_count 6
		.amdhsa_user_sgpr_private_segment_buffer 1
		.amdhsa_user_sgpr_dispatch_ptr 0
		.amdhsa_user_sgpr_queue_ptr 0
		.amdhsa_user_sgpr_kernarg_segment_ptr 1
		.amdhsa_user_sgpr_dispatch_id 0
		.amdhsa_user_sgpr_flat_scratch_init 0
		.amdhsa_user_sgpr_kernarg_preload_length 0
		.amdhsa_user_sgpr_kernarg_preload_offset 0
		.amdhsa_user_sgpr_private_segment_size 0
		.amdhsa_uses_dynamic_stack 0
		.amdhsa_system_sgpr_private_segment_wavefront_offset 0
		.amdhsa_system_sgpr_workgroup_id_x 1
		.amdhsa_system_sgpr_workgroup_id_y 0
		.amdhsa_system_sgpr_workgroup_id_z 0
		.amdhsa_system_sgpr_workgroup_info 0
		.amdhsa_system_vgpr_workitem_id 0
		.amdhsa_next_free_vgpr 36
		.amdhsa_next_free_sgpr 76
		.amdhsa_accum_offset 36
		.amdhsa_reserve_vcc 1
		.amdhsa_reserve_flat_scratch 0
		.amdhsa_float_round_mode_32 0
		.amdhsa_float_round_mode_16_64 0
		.amdhsa_float_denorm_mode_32 3
		.amdhsa_float_denorm_mode_16_64 3
		.amdhsa_dx10_clamp 1
		.amdhsa_ieee_mode 1
		.amdhsa_fp16_overflow 0
		.amdhsa_tg_split 0
		.amdhsa_exception_fp_ieee_invalid_op 0
		.amdhsa_exception_fp_denorm_src 0
		.amdhsa_exception_fp_ieee_div_zero 0
		.amdhsa_exception_fp_ieee_overflow 0
		.amdhsa_exception_fp_ieee_underflow 0
		.amdhsa_exception_fp_ieee_inexact 0
		.amdhsa_exception_int_div_zero 0
	.end_amdhsa_kernel
	.section	.text._ZN9rocsparseL14kernel_freerunILi1024ELi4E21rocsparse_complex_numIfEiiEEvT3_S3_T2_PKS4_S6_PKS3_PKT1_21rocsparse_index_base_S6_S6_S8_PS9_SD_SC_S6_S6_S8_SD_SD_SC_SD_SD_,"axG",@progbits,_ZN9rocsparseL14kernel_freerunILi1024ELi4E21rocsparse_complex_numIfEiiEEvT3_S3_T2_PKS4_S6_PKS3_PKT1_21rocsparse_index_base_S6_S6_S8_PS9_SD_SC_S6_S6_S8_SD_SD_SC_SD_SD_,comdat
.Lfunc_end30:
	.size	_ZN9rocsparseL14kernel_freerunILi1024ELi4E21rocsparse_complex_numIfEiiEEvT3_S3_T2_PKS4_S6_PKS3_PKT1_21rocsparse_index_base_S6_S6_S8_PS9_SD_SC_S6_S6_S8_SD_SD_SC_SD_SD_, .Lfunc_end30-_ZN9rocsparseL14kernel_freerunILi1024ELi4E21rocsparse_complex_numIfEiiEEvT3_S3_T2_PKS4_S6_PKS3_PKT1_21rocsparse_index_base_S6_S6_S8_PS9_SD_SC_S6_S6_S8_SD_SD_SC_SD_SD_
                                        ; -- End function
	.section	.AMDGPU.csdata,"",@progbits
; Kernel info:
; codeLenInByte = 3108
; NumSgprs: 80
; NumVgprs: 36
; NumAgprs: 0
; TotalNumVgprs: 36
; ScratchSize: 0
; MemoryBound: 0
; FloatMode: 240
; IeeeMode: 1
; LDSByteSize: 0 bytes/workgroup (compile time only)
; SGPRBlocks: 9
; VGPRBlocks: 4
; NumSGPRsForWavesPerEU: 80
; NumVGPRsForWavesPerEU: 36
; AccumOffset: 36
; Occupancy: 8
; WaveLimiterHint : 1
; COMPUTE_PGM_RSRC2:SCRATCH_EN: 0
; COMPUTE_PGM_RSRC2:USER_SGPR: 6
; COMPUTE_PGM_RSRC2:TRAP_HANDLER: 0
; COMPUTE_PGM_RSRC2:TGID_X_EN: 1
; COMPUTE_PGM_RSRC2:TGID_Y_EN: 0
; COMPUTE_PGM_RSRC2:TGID_Z_EN: 0
; COMPUTE_PGM_RSRC2:TIDIG_COMP_CNT: 0
; COMPUTE_PGM_RSRC3_GFX90A:ACCUM_OFFSET: 8
; COMPUTE_PGM_RSRC3_GFX90A:TG_SPLIT: 0
	.section	.text._ZN9rocsparseL14kernel_freerunILi1024ELi8E21rocsparse_complex_numIfEiiEEvT3_S3_T2_PKS4_S6_PKS3_PKT1_21rocsparse_index_base_S6_S6_S8_PS9_SD_SC_S6_S6_S8_SD_SD_SC_SD_SD_,"axG",@progbits,_ZN9rocsparseL14kernel_freerunILi1024ELi8E21rocsparse_complex_numIfEiiEEvT3_S3_T2_PKS4_S6_PKS3_PKT1_21rocsparse_index_base_S6_S6_S8_PS9_SD_SC_S6_S6_S8_SD_SD_SC_SD_SD_,comdat
	.globl	_ZN9rocsparseL14kernel_freerunILi1024ELi8E21rocsparse_complex_numIfEiiEEvT3_S3_T2_PKS4_S6_PKS3_PKT1_21rocsparse_index_base_S6_S6_S8_PS9_SD_SC_S6_S6_S8_SD_SD_SC_SD_SD_ ; -- Begin function _ZN9rocsparseL14kernel_freerunILi1024ELi8E21rocsparse_complex_numIfEiiEEvT3_S3_T2_PKS4_S6_PKS3_PKT1_21rocsparse_index_base_S6_S6_S8_PS9_SD_SC_S6_S6_S8_SD_SD_SC_SD_SD_
	.p2align	8
	.type	_ZN9rocsparseL14kernel_freerunILi1024ELi8E21rocsparse_complex_numIfEiiEEvT3_S3_T2_PKS4_S6_PKS3_PKT1_21rocsparse_index_base_S6_S6_S8_PS9_SD_SC_S6_S6_S8_SD_SD_SC_SD_SD_,@function
_ZN9rocsparseL14kernel_freerunILi1024ELi8E21rocsparse_complex_numIfEiiEEvT3_S3_T2_PKS4_S6_PKS3_PKT1_21rocsparse_index_base_S6_S6_S8_PS9_SD_SC_S6_S6_S8_SD_SD_SC_SD_SD_: ; @_ZN9rocsparseL14kernel_freerunILi1024ELi8E21rocsparse_complex_numIfEiiEEvT3_S3_T2_PKS4_S6_PKS3_PKT1_21rocsparse_index_base_S6_S6_S8_PS9_SD_SC_S6_S6_S8_SD_SD_SC_SD_SD_
; %bb.0:
	s_load_dwordx2 s[10:11], s[4:5], 0x0
	v_lshrrev_b32_e32 v1, 3, v0
	s_lshl_b32 s69, s6, 10
	v_or_b32_e32 v20, s69, v1
	s_mov_b32 s33, 0
	s_waitcnt lgkmcnt(0)
	s_cmp_gt_i32 s10, 0
	v_cmp_gt_i32_e32 vcc, s11, v20
	s_cselect_b64 s[0:1], -1, 0
	s_and_b64 s[0:1], vcc, s[0:1]
	s_and_saveexec_b64 s[2:3], s[0:1]
	s_cbranch_execz .LBB31_72
; %bb.1:
	s_load_dwordx4 s[28:31], s[4:5], 0x98
	s_load_dwordx8 s[12:19], s[4:5], 0x68
	s_load_dwordx8 s[20:27], s[4:5], 0x38
	;; [unrolled: 1-line block ×3, first 2 shown]
	s_load_dword s66, s[4:5], 0x30
	s_load_dwordx2 s[34:35], s[4:5], 0x58
	s_load_dword s67, s[4:5], 0x60
	s_load_dwordx2 s[44:45], s[4:5], 0x88
	s_load_dword s68, s[4:5], 0x90
	v_and_b32_e32 v0, 7, v0
	s_addk_i32 s69, 0x400
	s_waitcnt lgkmcnt(0)
	v_subrev_u32_e32 v21, s66, v0
	v_cmp_gt_u32_e64 s[0:1], s69, v20
	v_subrev_u32_e32 v22, s67, v0
	v_subrev_u32_e32 v23, s68, v0
	v_cmp_eq_u32_e64 s[2:3], 0, v0
	s_mov_b32 s70, 0xf800000
	v_mov_b32_e32 v24, 0x260
	s_movk_i32 s71, 0x1f8
	v_mov_b32_e32 v1, 0
	s_branch .LBB31_3
.LBB31_2:                               ;   in Loop: Header=BB31_3 Depth=1
	s_or_b64 exec, exec, s[4:5]
	s_add_i32 s33, s33, 1
	s_cmp_eq_u32 s33, s10
	s_cbranch_scc1 .LBB31_72
.LBB31_3:                               ; =>This Loop Header: Depth=1
                                        ;     Child Loop BB31_5 Depth 2
                                        ;       Child Loop BB31_9 Depth 3
                                        ;         Child Loop BB31_13 Depth 4
                                        ;         Child Loop BB31_43 Depth 4
	;; [unrolled: 1-line block ×3, first 2 shown]
                                        ;     Child Loop BB31_63 Depth 2
                                        ;       Child Loop BB31_66 Depth 3
                                        ;       Child Loop BB31_69 Depth 3
	s_mov_b32 s72, 0
	s_branch .LBB31_5
.LBB31_4:                               ;   in Loop: Header=BB31_5 Depth=2
	s_or_b64 exec, exec, s[46:47]
	s_add_i32 s72, s72, 1
	s_cmp_eq_u32 s72, 8
	s_cbranch_scc1 .LBB31_60
.LBB31_5:                               ;   Parent Loop BB31_3 Depth=1
                                        ; =>  This Loop Header: Depth=2
                                        ;       Child Loop BB31_9 Depth 3
                                        ;         Child Loop BB31_13 Depth 4
                                        ;         Child Loop BB31_43 Depth 4
	;; [unrolled: 1-line block ×3, first 2 shown]
	v_lshl_add_u32 v2, s72, 7, v20
	v_cmp_gt_i32_e32 vcc, s11, v2
	s_and_saveexec_b64 s[46:47], vcc
	s_cbranch_execz .LBB31_4
; %bb.6:                                ;   in Loop: Header=BB31_5 Depth=2
	v_ashrrev_i32_e32 v3, 31, v2
	v_lshlrev_b64 v[6:7], 2, v[2:3]
	v_mov_b32_e32 v0, s37
	v_add_co_u32_e32 v4, vcc, s36, v6
	v_addc_co_u32_e32 v5, vcc, v0, v7, vcc
	global_load_dword v0, v[4:5], off
	v_mov_b32_e32 v3, s39
	v_add_co_u32_e32 v4, vcc, s38, v6
	v_addc_co_u32_e32 v5, vcc, v3, v7, vcc
	global_load_dword v3, v[4:5], off
	s_waitcnt vmcnt(1)
	v_add_u32_e32 v4, v21, v0
	s_waitcnt vmcnt(0)
	v_subrev_u32_e32 v3, s66, v3
	v_cmp_lt_i32_e32 vcc, v4, v3
	s_and_b64 exec, exec, vcc
	s_cbranch_execz .LBB31_4
; %bb.7:                                ;   in Loop: Header=BB31_5 Depth=2
	v_mov_b32_e32 v0, s23
	v_add_co_u32_e32 v8, vcc, s22, v6
	v_addc_co_u32_e32 v9, vcc, v0, v7, vcc
	v_mov_b32_e32 v0, s21
	v_add_co_u32_e32 v6, vcc, s20, v6
	v_addc_co_u32_e32 v7, vcc, v0, v7, vcc
	global_load_dword v0, v[6:7], off
	global_load_dword v5, v[8:9], off
	v_mov_b32_e32 v12, s25
	v_mov_b32_e32 v13, s27
	s_mov_b64 s[48:49], 0
	s_waitcnt vmcnt(1)
	v_subrev_u32_e32 v6, s67, v0
	v_ashrrev_i32_e32 v7, 31, v6
	v_lshlrev_b64 v[8:9], 2, v[6:7]
	v_lshlrev_b64 v[10:11], 3, v[6:7]
	v_add_co_u32_e32 v7, vcc, s24, v8
	v_addc_co_u32_e32 v26, vcc, v12, v9, vcc
	s_waitcnt vmcnt(0)
	v_sub_u32_e32 v25, v5, v0
	v_add_co_u32_e32 v27, vcc, s26, v10
	v_cmp_lt_i32_e64 s[4:5], 0, v25
	v_addc_co_u32_e32 v28, vcc, v13, v11, vcc
	s_branch .LBB31_9
.LBB31_8:                               ;   in Loop: Header=BB31_9 Depth=3
	s_or_b64 exec, exec, s[8:9]
	v_add_u32_e32 v4, 8, v4
	v_cmp_ge_i32_e32 vcc, v4, v3
	s_or_b64 s[48:49], vcc, s[48:49]
	s_andn2_b64 exec, exec, s[48:49]
	s_cbranch_execz .LBB31_4
.LBB31_9:                               ;   Parent Loop BB31_3 Depth=1
                                        ;     Parent Loop BB31_5 Depth=2
                                        ; =>    This Loop Header: Depth=3
                                        ;         Child Loop BB31_13 Depth 4
                                        ;         Child Loop BB31_43 Depth 4
	;; [unrolled: 1-line block ×3, first 2 shown]
	v_ashrrev_i32_e32 v5, 31, v4
	v_lshlrev_b64 v[8:9], 2, v[4:5]
	v_mov_b32_e32 v0, s41
	v_add_co_u32_e32 v8, vcc, s40, v8
	v_addc_co_u32_e32 v9, vcc, v0, v9, vcc
	global_load_dword v0, v[8:9], off
	v_mov_b32_e32 v13, s13
	v_mov_b32_e32 v14, s15
	s_waitcnt vmcnt(0)
	v_subrev_u32_e32 v10, s66, v0
	v_ashrrev_i32_e32 v11, 31, v10
	v_lshlrev_b64 v[8:9], 2, v[10:11]
	v_add_co_u32_e32 v12, vcc, s12, v8
	v_addc_co_u32_e32 v13, vcc, v13, v9, vcc
	v_add_co_u32_e32 v8, vcc, s14, v8
	v_addc_co_u32_e32 v9, vcc, v14, v9, vcc
	global_load_dword v13, v[12:13], off
	s_nop 0
	global_load_dword v14, v[8:9], off
	v_mov_b32_e32 v9, 0
	v_mov_b32_e32 v0, 0
	;; [unrolled: 1-line block ×3, first 2 shown]
	s_waitcnt vmcnt(1)
	v_subrev_u32_e32 v12, s68, v13
	s_waitcnt vmcnt(0)
	v_sub_u32_e32 v29, v14, v13
	v_mov_b32_e32 v14, 0
	s_and_saveexec_b64 s[6:7], s[4:5]
	s_cbranch_execz .LBB31_17
; %bb.10:                               ;   in Loop: Header=BB31_9 Depth=3
	v_ashrrev_i32_e32 v13, 31, v12
	v_lshlrev_b64 v[8:9], 2, v[12:13]
	v_mov_b32_e32 v0, s17
	v_add_co_u32_e32 v16, vcc, s16, v8
	v_addc_co_u32_e32 v17, vcc, v0, v9, vcc
	v_lshlrev_b64 v[8:9], 3, v[12:13]
	v_mov_b32_e32 v0, s19
	v_add_co_u32_e32 v13, vcc, s18, v8
	v_mov_b32_e32 v14, 0
	v_mov_b32_e32 v8, 0
	v_addc_co_u32_e32 v18, vcc, v0, v9, vcc
	s_mov_b64 s[8:9], 0
	v_mov_b32_e32 v0, v14
	v_mov_b32_e32 v9, v8
                                        ; implicit-def: $sgpr50_sgpr51
	s_branch .LBB31_13
.LBB31_11:                              ;   in Loop: Header=BB31_13 Depth=4
	s_or_b64 exec, exec, s[54:55]
	v_cmp_le_i32_e32 vcc, v19, v30
	v_addc_co_u32_e32 v0, vcc, 0, v0, vcc
	v_cmp_ge_i32_e32 vcc, v19, v30
	v_addc_co_u32_e32 v14, vcc, 0, v14, vcc
	v_cmp_ge_i32_e32 vcc, v0, v25
	s_andn2_b64 s[50:51], s[50:51], exec
	s_and_b64 s[54:55], vcc, exec
	s_or_b64 s[50:51], s[50:51], s[54:55]
.LBB31_12:                              ;   in Loop: Header=BB31_13 Depth=4
	s_or_b64 exec, exec, s[52:53]
	s_and_b64 s[52:53], exec, s[50:51]
	s_or_b64 s[8:9], s[52:53], s[8:9]
	s_andn2_b64 exec, exec, s[8:9]
	s_cbranch_execz .LBB31_16
.LBB31_13:                              ;   Parent Loop BB31_3 Depth=1
                                        ;     Parent Loop BB31_5 Depth=2
                                        ;       Parent Loop BB31_9 Depth=3
                                        ; =>      This Inner Loop Header: Depth=4
	v_cmp_lt_i32_e32 vcc, v14, v29
	s_or_b64 s[50:51], s[50:51], exec
	s_and_saveexec_b64 s[52:53], vcc
	s_cbranch_execz .LBB31_12
; %bb.14:                               ;   in Loop: Header=BB31_13 Depth=4
	v_lshlrev_b64 v[30:31], 2, v[0:1]
	v_add_co_u32_e32 v30, vcc, v7, v30
	v_addc_co_u32_e32 v31, vcc, v26, v31, vcc
	v_mov_b32_e32 v15, v1
	global_load_dword v19, v[30:31], off
	v_lshlrev_b64 v[30:31], 2, v[14:15]
	v_add_co_u32_e32 v30, vcc, v16, v30
	v_addc_co_u32_e32 v31, vcc, v17, v31, vcc
	global_load_dword v30, v[30:31], off
	s_waitcnt vmcnt(1)
	v_subrev_u32_e32 v19, s67, v19
	s_waitcnt vmcnt(0)
	v_subrev_u32_e32 v30, s68, v30
	v_cmp_eq_u32_e32 vcc, v19, v30
	s_and_saveexec_b64 s[54:55], vcc
	s_cbranch_execz .LBB31_11
; %bb.15:                               ;   in Loop: Header=BB31_13 Depth=4
	v_lshlrev_b64 v[32:33], 3, v[0:1]
	v_add_co_u32_e32 v32, vcc, v27, v32
	v_addc_co_u32_e32 v33, vcc, v28, v33, vcc
	v_lshlrev_b64 v[34:35], 3, v[14:15]
	v_add_co_u32_e32 v34, vcc, v13, v34
	v_addc_co_u32_e32 v35, vcc, v18, v35, vcc
	global_load_dwordx2 v[34:35], v[34:35], off
	s_nop 0
	global_load_dwordx2 v[32:33], v[32:33], off
	s_waitcnt vmcnt(0)
	v_pk_fma_f32 v[8:9], v[32:33], v[34:35], v[8:9] op_sel_hi:[1,0,1]
	v_pk_fma_f32 v[8:9], v[32:33], v[34:35], v[8:9] op_sel:[1,1,0] op_sel_hi:[0,1,1] neg_lo:[1,0,0]
	s_branch .LBB31_11
.LBB31_16:                              ;   in Loop: Header=BB31_9 Depth=3
	s_or_b64 exec, exec, s[8:9]
.LBB31_17:                              ;   in Loop: Header=BB31_9 Depth=3
	s_or_b64 exec, exec, s[6:7]
	v_lshlrev_b64 v[16:17], 3, v[4:5]
	v_mov_b32_e32 v5, s43
	v_add_co_u32_e32 v16, vcc, s42, v16
	v_addc_co_u32_e32 v17, vcc, v5, v17, vcc
	global_load_dwordx2 v[16:17], v[16:17], off
	v_cmp_le_i32_e64 s[6:7], v2, v10
	v_cmp_gt_i32_e32 vcc, v2, v10
	s_waitcnt vmcnt(0)
	v_pk_add_f32 v[8:9], v[16:17], v[8:9] neg_lo:[0,1] neg_hi:[0,1]
	s_and_saveexec_b64 s[50:51], vcc
	s_cbranch_execz .LBB31_27
; %bb.18:                               ;   in Loop: Header=BB31_9 Depth=3
	v_lshlrev_b64 v[16:17], 3, v[10:11]
	v_mov_b32_e32 v5, s29
	v_add_co_u32_e32 v16, vcc, s28, v16
	v_addc_co_u32_e32 v17, vcc, v5, v17, vcc
	global_load_dwordx2 v[16:17], v[16:17], off
                                        ; implicit-def: $vgpr15
	s_waitcnt vmcnt(0)
	v_cmp_gt_f32_e32 vcc, 0, v16
	v_cndmask_b32_e64 v5, v16, -v16, vcc
	v_cmp_gt_f32_e32 vcc, 0, v17
	v_cndmask_b32_e64 v13, v17, -v17, vcc
	v_cmp_ngt_f32_e32 vcc, v5, v13
	s_and_saveexec_b64 s[8:9], vcc
	s_xor_b64 s[52:53], exec, s[8:9]
	s_cbranch_execz .LBB31_22
; %bb.19:                               ;   in Loop: Header=BB31_9 Depth=3
	v_cmp_neq_f32_e32 vcc, 0, v17
	v_mov_b32_e32 v15, 0
	s_and_saveexec_b64 s[54:55], vcc
	s_cbranch_execz .LBB31_21
; %bb.20:                               ;   in Loop: Header=BB31_9 Depth=3
	v_div_scale_f32 v15, s[8:9], v13, v13, v5
	v_rcp_f32_e32 v18, v15
	v_div_scale_f32 v19, vcc, v5, v13, v5
	v_fma_f32 v30, -v15, v18, 1.0
	v_fmac_f32_e32 v18, v30, v18
	v_mul_f32_e32 v30, v19, v18
	v_fma_f32 v31, -v15, v30, v19
	v_fmac_f32_e32 v30, v31, v18
	v_fma_f32 v15, -v15, v30, v19
	v_div_fmas_f32 v15, v15, v18, v30
	v_div_fixup_f32 v5, v15, v13, v5
	v_fma_f32 v5, v5, v5, 1.0
	v_mul_f32_e32 v15, 0x4f800000, v5
	v_cmp_gt_f32_e32 vcc, s70, v5
	v_cndmask_b32_e32 v5, v5, v15, vcc
	v_sqrt_f32_e32 v15, v5
	v_add_u32_e32 v18, -1, v15
	v_fma_f32 v19, -v18, v15, v5
	v_cmp_ge_f32_e64 s[8:9], 0, v19
	v_add_u32_e32 v19, 1, v15
	v_cndmask_b32_e64 v18, v15, v18, s[8:9]
	v_fma_f32 v15, -v19, v15, v5
	v_cmp_lt_f32_e64 s[8:9], 0, v15
	v_cndmask_b32_e64 v15, v18, v19, s[8:9]
	v_mul_f32_e32 v18, 0x37800000, v15
	v_cndmask_b32_e32 v15, v15, v18, vcc
	v_cmp_class_f32_e32 vcc, v5, v24
	v_cndmask_b32_e32 v5, v15, v5, vcc
	v_mul_f32_e32 v15, v13, v5
.LBB31_21:                              ;   in Loop: Header=BB31_9 Depth=3
	s_or_b64 exec, exec, s[54:55]
                                        ; implicit-def: $vgpr5
                                        ; implicit-def: $vgpr13
.LBB31_22:                              ;   in Loop: Header=BB31_9 Depth=3
	s_andn2_saveexec_b64 s[52:53], s[52:53]
	s_cbranch_execz .LBB31_24
; %bb.23:                               ;   in Loop: Header=BB31_9 Depth=3
	v_div_scale_f32 v15, s[8:9], v5, v5, v13
	v_rcp_f32_e32 v18, v15
	v_div_scale_f32 v19, vcc, v13, v5, v13
	v_fma_f32 v30, -v15, v18, 1.0
	v_fmac_f32_e32 v18, v30, v18
	v_mul_f32_e32 v30, v19, v18
	v_fma_f32 v31, -v15, v30, v19
	v_fmac_f32_e32 v30, v31, v18
	v_fma_f32 v15, -v15, v30, v19
	v_div_fmas_f32 v15, v15, v18, v30
	v_div_fixup_f32 v13, v15, v5, v13
	v_fma_f32 v13, v13, v13, 1.0
	v_mul_f32_e32 v15, 0x4f800000, v13
	v_cmp_gt_f32_e32 vcc, s70, v13
	v_cndmask_b32_e32 v13, v13, v15, vcc
	v_sqrt_f32_e32 v15, v13
	v_add_u32_e32 v18, -1, v15
	v_fma_f32 v19, -v18, v15, v13
	v_cmp_ge_f32_e64 s[8:9], 0, v19
	v_add_u32_e32 v19, 1, v15
	v_cndmask_b32_e64 v18, v15, v18, s[8:9]
	v_fma_f32 v15, -v19, v15, v13
	v_cmp_lt_f32_e64 s[8:9], 0, v15
	v_cndmask_b32_e64 v15, v18, v19, s[8:9]
	v_mul_f32_e32 v18, 0x37800000, v15
	v_cndmask_b32_e32 v15, v15, v18, vcc
	v_cmp_class_f32_e32 vcc, v13, v24
	v_cndmask_b32_e32 v13, v15, v13, vcc
	v_mul_f32_e32 v15, v5, v13
.LBB31_24:                              ;   in Loop: Header=BB31_9 Depth=3
	s_or_b64 exec, exec, s[52:53]
	v_cmp_lt_f32_e32 vcc, 0, v15
	v_mov_b32_e32 v19, 0
	v_mov_b32_e32 v18, 0
	s_and_saveexec_b64 s[8:9], vcc
	s_cbranch_execz .LBB31_26
; %bb.25:                               ;   in Loop: Header=BB31_9 Depth=3
	v_mul_f32_e32 v5, v17, v17
	v_fmac_f32_e32 v5, v16, v16
	v_div_scale_f32 v13, s[52:53], v5, v5, 1.0
	v_rcp_f32_e32 v15, v13
	v_div_scale_f32 v18, vcc, 1.0, v5, 1.0
	v_xor_b32_e32 v31, 0x80000000, v8
	v_fma_f32 v19, -v13, v15, 1.0
	v_fmac_f32_e32 v15, v19, v15
	v_mul_f32_e32 v19, v18, v15
	v_fma_f32 v30, -v13, v19, v18
	v_fmac_f32_e32 v19, v30, v15
	v_fma_f32 v13, -v13, v19, v18
	v_mov_b32_e32 v30, v9
	v_div_fmas_f32 v13, v13, v15, v19
	v_pk_mul_f32 v[30:31], v[30:31], v[16:17] op_sel:[0,1]
	v_div_fixup_f32 v18, v13, v5, 1.0
	v_pk_fma_f32 v[8:9], v[8:9], v[16:17], v[30:31] op_sel_hi:[1,0,1]
	v_pk_mul_f32 v[18:19], v[8:9], v[18:19] op_sel_hi:[1,0]
.LBB31_26:                              ;   in Loop: Header=BB31_9 Depth=3
	s_or_b64 exec, exec, s[8:9]
	v_mov_b32_e32 v9, v19
	v_mov_b32_e32 v8, v18
.LBB31_27:                              ;   in Loop: Header=BB31_9 Depth=3
	s_or_b64 exec, exec, s[50:51]
	v_cmp_gt_f32_e32 vcc, 0, v8
	v_cndmask_b32_e64 v5, v8, -v8, vcc
	v_cmp_gt_f32_e32 vcc, 0, v9
	v_cndmask_b32_e64 v13, v9, -v9, vcc
	v_cmp_ngt_f32_e32 vcc, v5, v13
                                        ; implicit-def: $vgpr15
	s_and_saveexec_b64 s[8:9], vcc
	s_xor_b64 s[50:51], exec, s[8:9]
	s_cbranch_execnz .LBB31_30
; %bb.28:                               ;   in Loop: Header=BB31_9 Depth=3
	s_andn2_saveexec_b64 s[50:51], s[50:51]
	s_cbranch_execnz .LBB31_33
.LBB31_29:                              ;   in Loop: Header=BB31_9 Depth=3
	s_or_b64 exec, exec, s[50:51]
	v_cmp_class_f32_e64 s[50:51], v15, s71
	s_and_saveexec_b64 s[8:9], s[50:51]
	s_cbranch_execz .LBB31_8
	s_branch .LBB31_34
.LBB31_30:                              ;   in Loop: Header=BB31_9 Depth=3
	v_cmp_neq_f32_e32 vcc, 0, v9
	v_mov_b32_e32 v15, 0
	s_and_saveexec_b64 s[52:53], vcc
	s_cbranch_execz .LBB31_32
; %bb.31:                               ;   in Loop: Header=BB31_9 Depth=3
	v_div_scale_f32 v15, s[8:9], v13, v13, v5
	v_rcp_f32_e32 v16, v15
	v_div_scale_f32 v17, vcc, v5, v13, v5
	v_fma_f32 v18, -v15, v16, 1.0
	v_fmac_f32_e32 v16, v18, v16
	v_mul_f32_e32 v18, v17, v16
	v_fma_f32 v19, -v15, v18, v17
	v_fmac_f32_e32 v18, v19, v16
	v_fma_f32 v15, -v15, v18, v17
	v_div_fmas_f32 v15, v15, v16, v18
	v_div_fixup_f32 v5, v15, v13, v5
	v_fma_f32 v5, v5, v5, 1.0
	v_mul_f32_e32 v15, 0x4f800000, v5
	v_cmp_gt_f32_e32 vcc, s70, v5
	v_cndmask_b32_e32 v5, v5, v15, vcc
	v_sqrt_f32_e32 v15, v5
	v_add_u32_e32 v16, -1, v15
	v_fma_f32 v17, -v16, v15, v5
	v_cmp_ge_f32_e64 s[8:9], 0, v17
	v_add_u32_e32 v17, 1, v15
	v_cndmask_b32_e64 v16, v15, v16, s[8:9]
	v_fma_f32 v15, -v17, v15, v5
	v_cmp_lt_f32_e64 s[8:9], 0, v15
	v_cndmask_b32_e64 v15, v16, v17, s[8:9]
	v_mul_f32_e32 v16, 0x37800000, v15
	v_cndmask_b32_e32 v15, v15, v16, vcc
	v_cmp_class_f32_e32 vcc, v5, v24
	v_cndmask_b32_e32 v5, v15, v5, vcc
	v_mul_f32_e32 v15, v13, v5
.LBB31_32:                              ;   in Loop: Header=BB31_9 Depth=3
	s_or_b64 exec, exec, s[52:53]
                                        ; implicit-def: $vgpr5
                                        ; implicit-def: $vgpr13
	s_andn2_saveexec_b64 s[50:51], s[50:51]
	s_cbranch_execz .LBB31_29
.LBB31_33:                              ;   in Loop: Header=BB31_9 Depth=3
	v_div_scale_f32 v15, s[8:9], v5, v5, v13
	v_rcp_f32_e32 v16, v15
	v_div_scale_f32 v17, vcc, v13, v5, v13
	v_fma_f32 v18, -v15, v16, 1.0
	v_fmac_f32_e32 v16, v18, v16
	v_mul_f32_e32 v18, v17, v16
	v_fma_f32 v19, -v15, v18, v17
	v_fmac_f32_e32 v18, v19, v16
	v_fma_f32 v15, -v15, v18, v17
	v_div_fmas_f32 v15, v15, v16, v18
	v_div_fixup_f32 v13, v15, v5, v13
	v_fma_f32 v13, v13, v13, 1.0
	v_mul_f32_e32 v15, 0x4f800000, v13
	v_cmp_gt_f32_e32 vcc, s70, v13
	v_cndmask_b32_e32 v13, v13, v15, vcc
	v_sqrt_f32_e32 v15, v13
	v_add_u32_e32 v16, -1, v15
	v_fma_f32 v17, -v16, v15, v13
	v_cmp_ge_f32_e64 s[8:9], 0, v17
	v_add_u32_e32 v17, 1, v15
	v_cndmask_b32_e64 v16, v15, v16, s[8:9]
	v_fma_f32 v15, -v17, v15, v13
	v_cmp_lt_f32_e64 s[8:9], 0, v15
	v_cndmask_b32_e64 v15, v16, v17, s[8:9]
	v_mul_f32_e32 v16, 0x37800000, v15
	v_cndmask_b32_e32 v15, v15, v16, vcc
	v_cmp_class_f32_e32 vcc, v13, v24
	v_cndmask_b32_e32 v13, v15, v13, vcc
	v_mul_f32_e32 v15, v5, v13
	s_or_b64 exec, exec, s[50:51]
	v_cmp_class_f32_e64 s[50:51], v15, s71
	s_and_saveexec_b64 s[8:9], s[50:51]
	s_cbranch_execz .LBB31_8
.LBB31_34:                              ;   in Loop: Header=BB31_9 Depth=3
	s_mov_b64 s[50:51], 0
                                        ; implicit-def: $vgpr16_vgpr17
	s_and_saveexec_b64 s[52:53], s[6:7]
	s_xor_b64 s[6:7], exec, s[52:53]
	s_cbranch_execnz .LBB31_37
; %bb.35:                               ;   in Loop: Header=BB31_9 Depth=3
	s_andn2_saveexec_b64 s[6:7], s[6:7]
	s_cbranch_execnz .LBB31_50
.LBB31_36:                              ;   in Loop: Header=BB31_9 Depth=3
	s_or_b64 exec, exec, s[6:7]
	s_and_b64 exec, exec, s[50:51]
	s_cbranch_execz .LBB31_8
	s_branch .LBB31_59
.LBB31_37:                              ;   in Loop: Header=BB31_9 Depth=3
	v_cmp_ge_i32_e32 vcc, v2, v10
                                        ; implicit-def: $vgpr16_vgpr17
	s_and_saveexec_b64 s[52:53], vcc
	s_xor_b64 s[52:53], exec, s[52:53]
; %bb.38:                               ;   in Loop: Header=BB31_9 Depth=3
	v_lshlrev_b64 v[10:11], 3, v[10:11]
	v_mov_b32_e32 v0, s31
	v_add_co_u32_e32 v16, vcc, s30, v10
	s_mov_b64 s[50:51], exec
	v_addc_co_u32_e32 v17, vcc, v0, v11, vcc
                                        ; implicit-def: $vgpr14
                                        ; implicit-def: $vgpr29
                                        ; implicit-def: $vgpr12
; %bb.39:                               ;   in Loop: Header=BB31_9 Depth=3
	s_andn2_saveexec_b64 s[52:53], s[52:53]
	s_cbranch_execz .LBB31_49
; %bb.40:                               ;   in Loop: Header=BB31_9 Depth=3
	v_cmp_lt_i32_e32 vcc, v14, v29
	s_mov_b64 s[56:57], s[50:51]
                                        ; implicit-def: $vgpr16_vgpr17
	s_and_saveexec_b64 s[54:55], vcc
	s_cbranch_execz .LBB31_48
; %bb.41:                               ;   in Loop: Header=BB31_9 Depth=3
	s_mov_b64 s[58:59], 0
                                        ; implicit-def: $sgpr56_sgpr57
                                        ; implicit-def: $sgpr62_sgpr63
                                        ; implicit-def: $sgpr60_sgpr61
	s_branch .LBB31_43
.LBB31_42:                              ;   in Loop: Header=BB31_43 Depth=4
	s_or_b64 exec, exec, s[64:65]
	s_and_b64 s[64:65], exec, s[62:63]
	s_or_b64 s[58:59], s[64:65], s[58:59]
	s_andn2_b64 s[56:57], s[56:57], exec
	s_and_b64 s[64:65], s[60:61], exec
	s_or_b64 s[56:57], s[56:57], s[64:65]
	s_andn2_b64 exec, exec, s[58:59]
	s_cbranch_execz .LBB31_45
.LBB31_43:                              ;   Parent Loop BB31_3 Depth=1
                                        ;     Parent Loop BB31_5 Depth=2
                                        ;       Parent Loop BB31_9 Depth=3
                                        ; =>      This Inner Loop Header: Depth=4
	v_add_u32_e32 v10, v12, v14
	v_ashrrev_i32_e32 v11, 31, v10
	v_lshlrev_b64 v[16:17], 2, v[10:11]
	v_mov_b32_e32 v0, s17
	v_add_co_u32_e32 v16, vcc, s16, v16
	v_addc_co_u32_e32 v17, vcc, v0, v17, vcc
	global_load_dword v0, v[16:17], off
	s_or_b64 s[60:61], s[60:61], exec
	s_or_b64 s[62:63], s[62:63], exec
	s_waitcnt vmcnt(0)
	v_subrev_u32_e32 v0, s68, v0
	v_cmp_ne_u32_e32 vcc, v0, v2
	s_and_saveexec_b64 s[64:65], vcc
	s_cbranch_execz .LBB31_42
; %bb.44:                               ;   in Loop: Header=BB31_43 Depth=4
	v_add_u32_e32 v14, 1, v14
	v_cmp_ge_i32_e32 vcc, v14, v29
	s_andn2_b64 s[62:63], s[62:63], exec
	s_and_b64 s[74:75], vcc, exec
	s_andn2_b64 s[60:61], s[60:61], exec
	s_or_b64 s[62:63], s[62:63], s[74:75]
	s_branch .LBB31_42
.LBB31_45:                              ;   in Loop: Header=BB31_9 Depth=3
	s_or_b64 exec, exec, s[58:59]
	s_mov_b64 s[58:59], s[50:51]
                                        ; implicit-def: $vgpr16_vgpr17
	s_and_saveexec_b64 s[60:61], s[56:57]
	s_xor_b64 s[56:57], exec, s[60:61]
; %bb.46:                               ;   in Loop: Header=BB31_9 Depth=3
	v_lshlrev_b64 v[10:11], 3, v[10:11]
	v_mov_b32_e32 v0, s45
	v_add_co_u32_e32 v16, vcc, s44, v10
	v_addc_co_u32_e32 v17, vcc, v0, v11, vcc
	s_or_b64 s[58:59], s[50:51], exec
; %bb.47:                               ;   in Loop: Header=BB31_9 Depth=3
	s_or_b64 exec, exec, s[56:57]
	s_andn2_b64 s[56:57], s[50:51], exec
	s_and_b64 s[58:59], s[58:59], exec
	s_or_b64 s[56:57], s[56:57], s[58:59]
.LBB31_48:                              ;   in Loop: Header=BB31_9 Depth=3
	s_or_b64 exec, exec, s[54:55]
	s_andn2_b64 s[50:51], s[50:51], exec
	s_and_b64 s[54:55], s[56:57], exec
	s_or_b64 s[50:51], s[50:51], s[54:55]
.LBB31_49:                              ;   in Loop: Header=BB31_9 Depth=3
	s_or_b64 exec, exec, s[52:53]
	s_and_b64 s[50:51], s[50:51], exec
                                        ; implicit-def: $vgpr10_vgpr11
	s_andn2_saveexec_b64 s[6:7], s[6:7]
	s_cbranch_execz .LBB31_36
.LBB31_50:                              ;   in Loop: Header=BB31_9 Depth=3
	v_cmp_lt_i32_e32 vcc, v0, v25
	s_mov_b64 s[54:55], s[50:51]
                                        ; implicit-def: $vgpr16_vgpr17
	s_and_saveexec_b64 s[52:53], vcc
	s_cbranch_execz .LBB31_58
; %bb.51:                               ;   in Loop: Header=BB31_9 Depth=3
	s_mov_b64 s[56:57], 0
                                        ; implicit-def: $sgpr54_sgpr55
                                        ; implicit-def: $sgpr60_sgpr61
                                        ; implicit-def: $sgpr58_sgpr59
	s_branch .LBB31_53
.LBB31_52:                              ;   in Loop: Header=BB31_53 Depth=4
	s_or_b64 exec, exec, s[62:63]
	s_and_b64 s[62:63], exec, s[60:61]
	s_or_b64 s[56:57], s[62:63], s[56:57]
	s_andn2_b64 s[54:55], s[54:55], exec
	s_and_b64 s[62:63], s[58:59], exec
	s_or_b64 s[54:55], s[54:55], s[62:63]
	s_andn2_b64 exec, exec, s[56:57]
	s_cbranch_execz .LBB31_55
.LBB31_53:                              ;   Parent Loop BB31_3 Depth=1
                                        ;     Parent Loop BB31_5 Depth=2
                                        ;       Parent Loop BB31_9 Depth=3
                                        ; =>      This Inner Loop Header: Depth=4
	v_add_u32_e32 v12, v6, v0
	v_ashrrev_i32_e32 v13, 31, v12
	v_lshlrev_b64 v[14:15], 2, v[12:13]
	v_mov_b32_e32 v5, s25
	v_add_co_u32_e32 v14, vcc, s24, v14
	v_addc_co_u32_e32 v15, vcc, v5, v15, vcc
	global_load_dword v5, v[14:15], off
	s_or_b64 s[58:59], s[58:59], exec
	s_or_b64 s[60:61], s[60:61], exec
	s_waitcnt vmcnt(0)
	v_subrev_u32_e32 v5, s67, v5
	v_cmp_ne_u32_e32 vcc, v5, v10
	s_and_saveexec_b64 s[62:63], vcc
	s_cbranch_execz .LBB31_52
; %bb.54:                               ;   in Loop: Header=BB31_53 Depth=4
	v_add_u32_e32 v0, 1, v0
	v_cmp_ge_i32_e32 vcc, v0, v25
	s_andn2_b64 s[60:61], s[60:61], exec
	s_and_b64 s[64:65], vcc, exec
	s_andn2_b64 s[58:59], s[58:59], exec
	s_or_b64 s[60:61], s[60:61], s[64:65]
	s_branch .LBB31_52
.LBB31_55:                              ;   in Loop: Header=BB31_9 Depth=3
	s_or_b64 exec, exec, s[56:57]
	s_mov_b64 s[56:57], s[50:51]
                                        ; implicit-def: $vgpr16_vgpr17
	s_and_saveexec_b64 s[58:59], s[54:55]
	s_xor_b64 s[54:55], exec, s[58:59]
; %bb.56:                               ;   in Loop: Header=BB31_9 Depth=3
	v_lshlrev_b64 v[10:11], 3, v[12:13]
	v_mov_b32_e32 v0, s35
	v_add_co_u32_e32 v16, vcc, s34, v10
	v_addc_co_u32_e32 v17, vcc, v0, v11, vcc
	s_or_b64 s[56:57], s[50:51], exec
; %bb.57:                               ;   in Loop: Header=BB31_9 Depth=3
	s_or_b64 exec, exec, s[54:55]
	s_andn2_b64 s[54:55], s[50:51], exec
	s_and_b64 s[56:57], s[56:57], exec
	s_or_b64 s[54:55], s[54:55], s[56:57]
.LBB31_58:                              ;   in Loop: Header=BB31_9 Depth=3
	s_or_b64 exec, exec, s[52:53]
	s_andn2_b64 s[50:51], s[50:51], exec
	s_and_b64 s[52:53], s[54:55], exec
	s_or_b64 s[50:51], s[50:51], s[52:53]
	s_or_b64 exec, exec, s[6:7]
	s_and_b64 exec, exec, s[50:51]
	s_cbranch_execz .LBB31_8
.LBB31_59:                              ;   in Loop: Header=BB31_9 Depth=3
	global_store_dwordx2 v[16:17], v[8:9], off
	s_branch .LBB31_8
.LBB31_60:                              ;   in Loop: Header=BB31_3 Depth=1
	s_and_saveexec_b64 s[4:5], s[0:1]
	s_cbranch_execz .LBB31_2
; %bb.61:                               ;   in Loop: Header=BB31_3 Depth=1
	s_mov_b64 s[6:7], 0
	v_mov_b32_e32 v2, v20
	s_branch .LBB31_63
.LBB31_62:                              ;   in Loop: Header=BB31_63 Depth=2
	s_or_b64 exec, exec, s[8:9]
	v_add_u32_e32 v2, 0x80, v2
	v_cmp_le_u32_e32 vcc, s69, v2
	s_or_b64 s[6:7], vcc, s[6:7]
	s_andn2_b64 exec, exec, s[6:7]
	s_cbranch_execz .LBB31_2
.LBB31_63:                              ;   Parent Loop BB31_3 Depth=1
                                        ; =>  This Loop Header: Depth=2
                                        ;       Child Loop BB31_66 Depth 3
                                        ;       Child Loop BB31_69 Depth 3
	v_cmp_gt_i32_e32 vcc, s11, v2
	s_and_saveexec_b64 s[8:9], vcc
	s_cbranch_execz .LBB31_62
; %bb.64:                               ;   in Loop: Header=BB31_63 Depth=2
	v_ashrrev_i32_e32 v3, 31, v2
	v_lshlrev_b64 v[4:5], 2, v[2:3]
	v_mov_b32_e32 v0, s21
	v_add_co_u32_e32 v6, vcc, s20, v4
	v_addc_co_u32_e32 v7, vcc, v0, v5, vcc
	global_load_dword v0, v[6:7], off
	v_mov_b32_e32 v7, s23
	v_add_co_u32_e32 v6, vcc, s22, v4
	v_addc_co_u32_e32 v7, vcc, v7, v5, vcc
	global_load_dword v7, v[6:7], off
	s_waitcnt vmcnt(1)
	v_add_u32_e32 v6, v22, v0
	s_waitcnt vmcnt(0)
	v_subrev_u32_e32 v0, s67, v7
	v_cmp_lt_i32_e32 vcc, v6, v0
	s_and_saveexec_b64 s[46:47], vcc
	s_cbranch_execz .LBB31_67
; %bb.65:                               ;   in Loop: Header=BB31_63 Depth=2
	v_ashrrev_i32_e32 v7, 31, v6
	v_lshlrev_b64 v[10:11], 3, v[6:7]
	v_mov_b32_e32 v7, s35
	v_add_co_u32_e32 v8, vcc, s34, v10
	v_addc_co_u32_e32 v9, vcc, v7, v11, vcc
	v_mov_b32_e32 v7, s27
	v_add_co_u32_e32 v10, vcc, s26, v10
	v_addc_co_u32_e32 v11, vcc, v7, v11, vcc
	s_mov_b64 s[48:49], 0
.LBB31_66:                              ;   Parent Loop BB31_3 Depth=1
                                        ;     Parent Loop BB31_63 Depth=2
                                        ; =>    This Inner Loop Header: Depth=3
	global_load_dwordx2 v[12:13], v[8:9], off
	v_add_co_u32_e32 v8, vcc, 64, v8
	v_add_u32_e32 v6, 8, v6
	v_addc_co_u32_e32 v9, vcc, 0, v9, vcc
	v_cmp_ge_i32_e32 vcc, v6, v0
	s_or_b64 s[48:49], vcc, s[48:49]
	s_waitcnt vmcnt(0)
	global_store_dwordx2 v[10:11], v[12:13], off
	v_add_co_u32_e32 v10, vcc, 64, v10
	v_addc_co_u32_e32 v11, vcc, 0, v11, vcc
	s_andn2_b64 exec, exec, s[48:49]
	s_cbranch_execnz .LBB31_66
.LBB31_67:                              ;   in Loop: Header=BB31_63 Depth=2
	s_or_b64 exec, exec, s[46:47]
	v_mov_b32_e32 v0, s13
	v_add_co_u32_e32 v6, vcc, s12, v4
	v_addc_co_u32_e32 v7, vcc, v0, v5, vcc
	global_load_dword v0, v[6:7], off
	v_mov_b32_e32 v6, s15
	v_add_co_u32_e32 v4, vcc, s14, v4
	v_addc_co_u32_e32 v5, vcc, v6, v5, vcc
	global_load_dword v5, v[4:5], off
	s_waitcnt vmcnt(1)
	v_add_u32_e32 v4, v23, v0
	s_waitcnt vmcnt(0)
	v_subrev_u32_e32 v0, s68, v5
	v_cmp_lt_i32_e32 vcc, v4, v0
	s_and_saveexec_b64 s[46:47], vcc
	s_cbranch_execz .LBB31_70
; %bb.68:                               ;   in Loop: Header=BB31_63 Depth=2
	v_ashrrev_i32_e32 v5, 31, v4
	v_lshlrev_b64 v[8:9], 3, v[4:5]
	v_mov_b32_e32 v5, s45
	v_add_co_u32_e32 v6, vcc, s44, v8
	v_addc_co_u32_e32 v7, vcc, v5, v9, vcc
	v_mov_b32_e32 v5, s19
	v_add_co_u32_e32 v8, vcc, s18, v8
	v_addc_co_u32_e32 v9, vcc, v5, v9, vcc
	s_mov_b64 s[48:49], 0
.LBB31_69:                              ;   Parent Loop BB31_3 Depth=1
                                        ;     Parent Loop BB31_63 Depth=2
                                        ; =>    This Inner Loop Header: Depth=3
	global_load_dwordx2 v[10:11], v[6:7], off
	v_add_co_u32_e32 v6, vcc, 64, v6
	v_add_u32_e32 v4, 8, v4
	v_addc_co_u32_e32 v7, vcc, 0, v7, vcc
	v_cmp_ge_i32_e32 vcc, v4, v0
	s_or_b64 s[48:49], vcc, s[48:49]
	s_waitcnt vmcnt(0)
	global_store_dwordx2 v[8:9], v[10:11], off
	v_add_co_u32_e32 v8, vcc, 64, v8
	v_addc_co_u32_e32 v9, vcc, 0, v9, vcc
	s_andn2_b64 exec, exec, s[48:49]
	s_cbranch_execnz .LBB31_69
.LBB31_70:                              ;   in Loop: Header=BB31_63 Depth=2
	s_or_b64 exec, exec, s[46:47]
	s_and_b64 exec, exec, s[2:3]
	s_cbranch_execz .LBB31_62
; %bb.71:                               ;   in Loop: Header=BB31_63 Depth=2
	v_lshlrev_b64 v[4:5], 3, v[2:3]
	v_mov_b32_e32 v0, s31
	v_add_co_u32_e32 v6, vcc, s30, v4
	v_addc_co_u32_e32 v7, vcc, v0, v5, vcc
	global_load_dwordx2 v[6:7], v[6:7], off
	v_mov_b32_e32 v0, s29
	v_add_co_u32_e32 v4, vcc, s28, v4
	v_addc_co_u32_e32 v5, vcc, v0, v5, vcc
	s_waitcnt vmcnt(0)
	global_store_dwordx2 v[4:5], v[6:7], off
	s_branch .LBB31_62
.LBB31_72:
	s_endpgm
	.section	.rodata,"a",@progbits
	.p2align	6, 0x0
	.amdhsa_kernel _ZN9rocsparseL14kernel_freerunILi1024ELi8E21rocsparse_complex_numIfEiiEEvT3_S3_T2_PKS4_S6_PKS3_PKT1_21rocsparse_index_base_S6_S6_S8_PS9_SD_SC_S6_S6_S8_SD_SD_SC_SD_SD_
		.amdhsa_group_segment_fixed_size 0
		.amdhsa_private_segment_fixed_size 0
		.amdhsa_kernarg_size 168
		.amdhsa_user_sgpr_count 6
		.amdhsa_user_sgpr_private_segment_buffer 1
		.amdhsa_user_sgpr_dispatch_ptr 0
		.amdhsa_user_sgpr_queue_ptr 0
		.amdhsa_user_sgpr_kernarg_segment_ptr 1
		.amdhsa_user_sgpr_dispatch_id 0
		.amdhsa_user_sgpr_flat_scratch_init 0
		.amdhsa_user_sgpr_kernarg_preload_length 0
		.amdhsa_user_sgpr_kernarg_preload_offset 0
		.amdhsa_user_sgpr_private_segment_size 0
		.amdhsa_uses_dynamic_stack 0
		.amdhsa_system_sgpr_private_segment_wavefront_offset 0
		.amdhsa_system_sgpr_workgroup_id_x 1
		.amdhsa_system_sgpr_workgroup_id_y 0
		.amdhsa_system_sgpr_workgroup_id_z 0
		.amdhsa_system_sgpr_workgroup_info 0
		.amdhsa_system_vgpr_workitem_id 0
		.amdhsa_next_free_vgpr 36
		.amdhsa_next_free_sgpr 76
		.amdhsa_accum_offset 36
		.amdhsa_reserve_vcc 1
		.amdhsa_reserve_flat_scratch 0
		.amdhsa_float_round_mode_32 0
		.amdhsa_float_round_mode_16_64 0
		.amdhsa_float_denorm_mode_32 3
		.amdhsa_float_denorm_mode_16_64 3
		.amdhsa_dx10_clamp 1
		.amdhsa_ieee_mode 1
		.amdhsa_fp16_overflow 0
		.amdhsa_tg_split 0
		.amdhsa_exception_fp_ieee_invalid_op 0
		.amdhsa_exception_fp_denorm_src 0
		.amdhsa_exception_fp_ieee_div_zero 0
		.amdhsa_exception_fp_ieee_overflow 0
		.amdhsa_exception_fp_ieee_underflow 0
		.amdhsa_exception_fp_ieee_inexact 0
		.amdhsa_exception_int_div_zero 0
	.end_amdhsa_kernel
	.section	.text._ZN9rocsparseL14kernel_freerunILi1024ELi8E21rocsparse_complex_numIfEiiEEvT3_S3_T2_PKS4_S6_PKS3_PKT1_21rocsparse_index_base_S6_S6_S8_PS9_SD_SC_S6_S6_S8_SD_SD_SC_SD_SD_,"axG",@progbits,_ZN9rocsparseL14kernel_freerunILi1024ELi8E21rocsparse_complex_numIfEiiEEvT3_S3_T2_PKS4_S6_PKS3_PKT1_21rocsparse_index_base_S6_S6_S8_PS9_SD_SC_S6_S6_S8_SD_SD_SC_SD_SD_,comdat
.Lfunc_end31:
	.size	_ZN9rocsparseL14kernel_freerunILi1024ELi8E21rocsparse_complex_numIfEiiEEvT3_S3_T2_PKS4_S6_PKS3_PKT1_21rocsparse_index_base_S6_S6_S8_PS9_SD_SC_S6_S6_S8_SD_SD_SC_SD_SD_, .Lfunc_end31-_ZN9rocsparseL14kernel_freerunILi1024ELi8E21rocsparse_complex_numIfEiiEEvT3_S3_T2_PKS4_S6_PKS3_PKT1_21rocsparse_index_base_S6_S6_S8_PS9_SD_SC_S6_S6_S8_SD_SD_SC_SD_SD_
                                        ; -- End function
	.section	.AMDGPU.csdata,"",@progbits
; Kernel info:
; codeLenInByte = 3108
; NumSgprs: 80
; NumVgprs: 36
; NumAgprs: 0
; TotalNumVgprs: 36
; ScratchSize: 0
; MemoryBound: 0
; FloatMode: 240
; IeeeMode: 1
; LDSByteSize: 0 bytes/workgroup (compile time only)
; SGPRBlocks: 9
; VGPRBlocks: 4
; NumSGPRsForWavesPerEU: 80
; NumVGPRsForWavesPerEU: 36
; AccumOffset: 36
; Occupancy: 8
; WaveLimiterHint : 1
; COMPUTE_PGM_RSRC2:SCRATCH_EN: 0
; COMPUTE_PGM_RSRC2:USER_SGPR: 6
; COMPUTE_PGM_RSRC2:TRAP_HANDLER: 0
; COMPUTE_PGM_RSRC2:TGID_X_EN: 1
; COMPUTE_PGM_RSRC2:TGID_Y_EN: 0
; COMPUTE_PGM_RSRC2:TGID_Z_EN: 0
; COMPUTE_PGM_RSRC2:TIDIG_COMP_CNT: 0
; COMPUTE_PGM_RSRC3_GFX90A:ACCUM_OFFSET: 8
; COMPUTE_PGM_RSRC3_GFX90A:TG_SPLIT: 0
	.section	.text._ZN9rocsparseL14kernel_freerunILi1024ELi16E21rocsparse_complex_numIfEiiEEvT3_S3_T2_PKS4_S6_PKS3_PKT1_21rocsparse_index_base_S6_S6_S8_PS9_SD_SC_S6_S6_S8_SD_SD_SC_SD_SD_,"axG",@progbits,_ZN9rocsparseL14kernel_freerunILi1024ELi16E21rocsparse_complex_numIfEiiEEvT3_S3_T2_PKS4_S6_PKS3_PKT1_21rocsparse_index_base_S6_S6_S8_PS9_SD_SC_S6_S6_S8_SD_SD_SC_SD_SD_,comdat
	.globl	_ZN9rocsparseL14kernel_freerunILi1024ELi16E21rocsparse_complex_numIfEiiEEvT3_S3_T2_PKS4_S6_PKS3_PKT1_21rocsparse_index_base_S6_S6_S8_PS9_SD_SC_S6_S6_S8_SD_SD_SC_SD_SD_ ; -- Begin function _ZN9rocsparseL14kernel_freerunILi1024ELi16E21rocsparse_complex_numIfEiiEEvT3_S3_T2_PKS4_S6_PKS3_PKT1_21rocsparse_index_base_S6_S6_S8_PS9_SD_SC_S6_S6_S8_SD_SD_SC_SD_SD_
	.p2align	8
	.type	_ZN9rocsparseL14kernel_freerunILi1024ELi16E21rocsparse_complex_numIfEiiEEvT3_S3_T2_PKS4_S6_PKS3_PKT1_21rocsparse_index_base_S6_S6_S8_PS9_SD_SC_S6_S6_S8_SD_SD_SC_SD_SD_,@function
_ZN9rocsparseL14kernel_freerunILi1024ELi16E21rocsparse_complex_numIfEiiEEvT3_S3_T2_PKS4_S6_PKS3_PKT1_21rocsparse_index_base_S6_S6_S8_PS9_SD_SC_S6_S6_S8_SD_SD_SC_SD_SD_: ; @_ZN9rocsparseL14kernel_freerunILi1024ELi16E21rocsparse_complex_numIfEiiEEvT3_S3_T2_PKS4_S6_PKS3_PKT1_21rocsparse_index_base_S6_S6_S8_PS9_SD_SC_S6_S6_S8_SD_SD_SC_SD_SD_
; %bb.0:
	s_load_dwordx2 s[10:11], s[4:5], 0x0
	v_lshrrev_b32_e32 v1, 4, v0
	s_lshl_b32 s69, s6, 10
	v_or_b32_e32 v20, s69, v1
	s_mov_b32 s33, 0
	s_waitcnt lgkmcnt(0)
	s_cmp_gt_i32 s10, 0
	v_cmp_gt_i32_e32 vcc, s11, v20
	s_cselect_b64 s[0:1], -1, 0
	s_and_b64 s[0:1], vcc, s[0:1]
	s_and_saveexec_b64 s[2:3], s[0:1]
	s_cbranch_execz .LBB32_72
; %bb.1:
	s_load_dwordx4 s[28:31], s[4:5], 0x98
	s_load_dwordx8 s[12:19], s[4:5], 0x68
	s_load_dwordx8 s[20:27], s[4:5], 0x38
	;; [unrolled: 1-line block ×3, first 2 shown]
	s_load_dword s66, s[4:5], 0x30
	s_load_dwordx2 s[34:35], s[4:5], 0x58
	s_load_dword s67, s[4:5], 0x60
	s_load_dwordx2 s[44:45], s[4:5], 0x88
	s_load_dword s68, s[4:5], 0x90
	v_and_b32_e32 v0, 15, v0
	s_addk_i32 s69, 0x400
	s_waitcnt lgkmcnt(0)
	v_subrev_u32_e32 v21, s66, v0
	v_cmp_gt_u32_e64 s[0:1], s69, v20
	v_subrev_u32_e32 v22, s67, v0
	v_subrev_u32_e32 v23, s68, v0
	v_cmp_eq_u32_e64 s[2:3], 0, v0
	s_mov_b32 s70, 0xf800000
	v_mov_b32_e32 v24, 0x260
	s_movk_i32 s71, 0x1f8
	v_mov_b32_e32 v1, 0
	s_branch .LBB32_3
.LBB32_2:                               ;   in Loop: Header=BB32_3 Depth=1
	s_or_b64 exec, exec, s[4:5]
	s_add_i32 s33, s33, 1
	s_cmp_eq_u32 s33, s10
	s_cbranch_scc1 .LBB32_72
.LBB32_3:                               ; =>This Loop Header: Depth=1
                                        ;     Child Loop BB32_5 Depth 2
                                        ;       Child Loop BB32_9 Depth 3
                                        ;         Child Loop BB32_13 Depth 4
                                        ;         Child Loop BB32_43 Depth 4
	;; [unrolled: 1-line block ×3, first 2 shown]
                                        ;     Child Loop BB32_63 Depth 2
                                        ;       Child Loop BB32_66 Depth 3
                                        ;       Child Loop BB32_69 Depth 3
	s_mov_b32 s72, 0
	s_branch .LBB32_5
.LBB32_4:                               ;   in Loop: Header=BB32_5 Depth=2
	s_or_b64 exec, exec, s[46:47]
	s_add_i32 s72, s72, 1
	s_cmp_eq_u32 s72, 16
	s_cbranch_scc1 .LBB32_60
.LBB32_5:                               ;   Parent Loop BB32_3 Depth=1
                                        ; =>  This Loop Header: Depth=2
                                        ;       Child Loop BB32_9 Depth 3
                                        ;         Child Loop BB32_13 Depth 4
                                        ;         Child Loop BB32_43 Depth 4
	;; [unrolled: 1-line block ×3, first 2 shown]
	v_lshl_add_u32 v2, s72, 6, v20
	v_cmp_gt_i32_e32 vcc, s11, v2
	s_and_saveexec_b64 s[46:47], vcc
	s_cbranch_execz .LBB32_4
; %bb.6:                                ;   in Loop: Header=BB32_5 Depth=2
	v_ashrrev_i32_e32 v3, 31, v2
	v_lshlrev_b64 v[6:7], 2, v[2:3]
	v_mov_b32_e32 v0, s37
	v_add_co_u32_e32 v4, vcc, s36, v6
	v_addc_co_u32_e32 v5, vcc, v0, v7, vcc
	global_load_dword v0, v[4:5], off
	v_mov_b32_e32 v3, s39
	v_add_co_u32_e32 v4, vcc, s38, v6
	v_addc_co_u32_e32 v5, vcc, v3, v7, vcc
	global_load_dword v3, v[4:5], off
	s_waitcnt vmcnt(1)
	v_add_u32_e32 v4, v21, v0
	s_waitcnt vmcnt(0)
	v_subrev_u32_e32 v3, s66, v3
	v_cmp_lt_i32_e32 vcc, v4, v3
	s_and_b64 exec, exec, vcc
	s_cbranch_execz .LBB32_4
; %bb.7:                                ;   in Loop: Header=BB32_5 Depth=2
	v_mov_b32_e32 v0, s23
	v_add_co_u32_e32 v8, vcc, s22, v6
	v_addc_co_u32_e32 v9, vcc, v0, v7, vcc
	v_mov_b32_e32 v0, s21
	v_add_co_u32_e32 v6, vcc, s20, v6
	v_addc_co_u32_e32 v7, vcc, v0, v7, vcc
	global_load_dword v0, v[6:7], off
	global_load_dword v5, v[8:9], off
	v_mov_b32_e32 v12, s25
	v_mov_b32_e32 v13, s27
	s_mov_b64 s[48:49], 0
	s_waitcnt vmcnt(1)
	v_subrev_u32_e32 v6, s67, v0
	v_ashrrev_i32_e32 v7, 31, v6
	v_lshlrev_b64 v[8:9], 2, v[6:7]
	v_lshlrev_b64 v[10:11], 3, v[6:7]
	v_add_co_u32_e32 v7, vcc, s24, v8
	v_addc_co_u32_e32 v26, vcc, v12, v9, vcc
	s_waitcnt vmcnt(0)
	v_sub_u32_e32 v25, v5, v0
	v_add_co_u32_e32 v27, vcc, s26, v10
	v_cmp_lt_i32_e64 s[4:5], 0, v25
	v_addc_co_u32_e32 v28, vcc, v13, v11, vcc
	s_branch .LBB32_9
.LBB32_8:                               ;   in Loop: Header=BB32_9 Depth=3
	s_or_b64 exec, exec, s[8:9]
	v_add_u32_e32 v4, 16, v4
	v_cmp_ge_i32_e32 vcc, v4, v3
	s_or_b64 s[48:49], vcc, s[48:49]
	s_andn2_b64 exec, exec, s[48:49]
	s_cbranch_execz .LBB32_4
.LBB32_9:                               ;   Parent Loop BB32_3 Depth=1
                                        ;     Parent Loop BB32_5 Depth=2
                                        ; =>    This Loop Header: Depth=3
                                        ;         Child Loop BB32_13 Depth 4
                                        ;         Child Loop BB32_43 Depth 4
	;; [unrolled: 1-line block ×3, first 2 shown]
	v_ashrrev_i32_e32 v5, 31, v4
	v_lshlrev_b64 v[8:9], 2, v[4:5]
	v_mov_b32_e32 v0, s41
	v_add_co_u32_e32 v8, vcc, s40, v8
	v_addc_co_u32_e32 v9, vcc, v0, v9, vcc
	global_load_dword v0, v[8:9], off
	v_mov_b32_e32 v13, s13
	v_mov_b32_e32 v14, s15
	s_waitcnt vmcnt(0)
	v_subrev_u32_e32 v10, s66, v0
	v_ashrrev_i32_e32 v11, 31, v10
	v_lshlrev_b64 v[8:9], 2, v[10:11]
	v_add_co_u32_e32 v12, vcc, s12, v8
	v_addc_co_u32_e32 v13, vcc, v13, v9, vcc
	v_add_co_u32_e32 v8, vcc, s14, v8
	v_addc_co_u32_e32 v9, vcc, v14, v9, vcc
	global_load_dword v13, v[12:13], off
	s_nop 0
	global_load_dword v14, v[8:9], off
	v_mov_b32_e32 v9, 0
	v_mov_b32_e32 v0, 0
	;; [unrolled: 1-line block ×3, first 2 shown]
	s_waitcnt vmcnt(1)
	v_subrev_u32_e32 v12, s68, v13
	s_waitcnt vmcnt(0)
	v_sub_u32_e32 v29, v14, v13
	v_mov_b32_e32 v14, 0
	s_and_saveexec_b64 s[6:7], s[4:5]
	s_cbranch_execz .LBB32_17
; %bb.10:                               ;   in Loop: Header=BB32_9 Depth=3
	v_ashrrev_i32_e32 v13, 31, v12
	v_lshlrev_b64 v[8:9], 2, v[12:13]
	v_mov_b32_e32 v0, s17
	v_add_co_u32_e32 v16, vcc, s16, v8
	v_addc_co_u32_e32 v17, vcc, v0, v9, vcc
	v_lshlrev_b64 v[8:9], 3, v[12:13]
	v_mov_b32_e32 v0, s19
	v_add_co_u32_e32 v13, vcc, s18, v8
	v_mov_b32_e32 v14, 0
	v_mov_b32_e32 v8, 0
	v_addc_co_u32_e32 v18, vcc, v0, v9, vcc
	s_mov_b64 s[8:9], 0
	v_mov_b32_e32 v0, v14
	v_mov_b32_e32 v9, v8
                                        ; implicit-def: $sgpr50_sgpr51
	s_branch .LBB32_13
.LBB32_11:                              ;   in Loop: Header=BB32_13 Depth=4
	s_or_b64 exec, exec, s[54:55]
	v_cmp_le_i32_e32 vcc, v19, v30
	v_addc_co_u32_e32 v0, vcc, 0, v0, vcc
	v_cmp_ge_i32_e32 vcc, v19, v30
	v_addc_co_u32_e32 v14, vcc, 0, v14, vcc
	v_cmp_ge_i32_e32 vcc, v0, v25
	s_andn2_b64 s[50:51], s[50:51], exec
	s_and_b64 s[54:55], vcc, exec
	s_or_b64 s[50:51], s[50:51], s[54:55]
.LBB32_12:                              ;   in Loop: Header=BB32_13 Depth=4
	s_or_b64 exec, exec, s[52:53]
	s_and_b64 s[52:53], exec, s[50:51]
	s_or_b64 s[8:9], s[52:53], s[8:9]
	s_andn2_b64 exec, exec, s[8:9]
	s_cbranch_execz .LBB32_16
.LBB32_13:                              ;   Parent Loop BB32_3 Depth=1
                                        ;     Parent Loop BB32_5 Depth=2
                                        ;       Parent Loop BB32_9 Depth=3
                                        ; =>      This Inner Loop Header: Depth=4
	v_cmp_lt_i32_e32 vcc, v14, v29
	s_or_b64 s[50:51], s[50:51], exec
	s_and_saveexec_b64 s[52:53], vcc
	s_cbranch_execz .LBB32_12
; %bb.14:                               ;   in Loop: Header=BB32_13 Depth=4
	v_lshlrev_b64 v[30:31], 2, v[0:1]
	v_add_co_u32_e32 v30, vcc, v7, v30
	v_addc_co_u32_e32 v31, vcc, v26, v31, vcc
	v_mov_b32_e32 v15, v1
	global_load_dword v19, v[30:31], off
	v_lshlrev_b64 v[30:31], 2, v[14:15]
	v_add_co_u32_e32 v30, vcc, v16, v30
	v_addc_co_u32_e32 v31, vcc, v17, v31, vcc
	global_load_dword v30, v[30:31], off
	s_waitcnt vmcnt(1)
	v_subrev_u32_e32 v19, s67, v19
	s_waitcnt vmcnt(0)
	v_subrev_u32_e32 v30, s68, v30
	v_cmp_eq_u32_e32 vcc, v19, v30
	s_and_saveexec_b64 s[54:55], vcc
	s_cbranch_execz .LBB32_11
; %bb.15:                               ;   in Loop: Header=BB32_13 Depth=4
	v_lshlrev_b64 v[32:33], 3, v[0:1]
	v_add_co_u32_e32 v32, vcc, v27, v32
	v_addc_co_u32_e32 v33, vcc, v28, v33, vcc
	v_lshlrev_b64 v[34:35], 3, v[14:15]
	v_add_co_u32_e32 v34, vcc, v13, v34
	v_addc_co_u32_e32 v35, vcc, v18, v35, vcc
	global_load_dwordx2 v[34:35], v[34:35], off
	s_nop 0
	global_load_dwordx2 v[32:33], v[32:33], off
	s_waitcnt vmcnt(0)
	v_pk_fma_f32 v[8:9], v[32:33], v[34:35], v[8:9] op_sel_hi:[1,0,1]
	v_pk_fma_f32 v[8:9], v[32:33], v[34:35], v[8:9] op_sel:[1,1,0] op_sel_hi:[0,1,1] neg_lo:[1,0,0]
	s_branch .LBB32_11
.LBB32_16:                              ;   in Loop: Header=BB32_9 Depth=3
	s_or_b64 exec, exec, s[8:9]
.LBB32_17:                              ;   in Loop: Header=BB32_9 Depth=3
	s_or_b64 exec, exec, s[6:7]
	v_lshlrev_b64 v[16:17], 3, v[4:5]
	v_mov_b32_e32 v5, s43
	v_add_co_u32_e32 v16, vcc, s42, v16
	v_addc_co_u32_e32 v17, vcc, v5, v17, vcc
	global_load_dwordx2 v[16:17], v[16:17], off
	v_cmp_le_i32_e64 s[6:7], v2, v10
	v_cmp_gt_i32_e32 vcc, v2, v10
	s_waitcnt vmcnt(0)
	v_pk_add_f32 v[8:9], v[16:17], v[8:9] neg_lo:[0,1] neg_hi:[0,1]
	s_and_saveexec_b64 s[50:51], vcc
	s_cbranch_execz .LBB32_27
; %bb.18:                               ;   in Loop: Header=BB32_9 Depth=3
	v_lshlrev_b64 v[16:17], 3, v[10:11]
	v_mov_b32_e32 v5, s29
	v_add_co_u32_e32 v16, vcc, s28, v16
	v_addc_co_u32_e32 v17, vcc, v5, v17, vcc
	global_load_dwordx2 v[16:17], v[16:17], off
                                        ; implicit-def: $vgpr15
	s_waitcnt vmcnt(0)
	v_cmp_gt_f32_e32 vcc, 0, v16
	v_cndmask_b32_e64 v5, v16, -v16, vcc
	v_cmp_gt_f32_e32 vcc, 0, v17
	v_cndmask_b32_e64 v13, v17, -v17, vcc
	v_cmp_ngt_f32_e32 vcc, v5, v13
	s_and_saveexec_b64 s[8:9], vcc
	s_xor_b64 s[52:53], exec, s[8:9]
	s_cbranch_execz .LBB32_22
; %bb.19:                               ;   in Loop: Header=BB32_9 Depth=3
	v_cmp_neq_f32_e32 vcc, 0, v17
	v_mov_b32_e32 v15, 0
	s_and_saveexec_b64 s[54:55], vcc
	s_cbranch_execz .LBB32_21
; %bb.20:                               ;   in Loop: Header=BB32_9 Depth=3
	v_div_scale_f32 v15, s[8:9], v13, v13, v5
	v_rcp_f32_e32 v18, v15
	v_div_scale_f32 v19, vcc, v5, v13, v5
	v_fma_f32 v30, -v15, v18, 1.0
	v_fmac_f32_e32 v18, v30, v18
	v_mul_f32_e32 v30, v19, v18
	v_fma_f32 v31, -v15, v30, v19
	v_fmac_f32_e32 v30, v31, v18
	v_fma_f32 v15, -v15, v30, v19
	v_div_fmas_f32 v15, v15, v18, v30
	v_div_fixup_f32 v5, v15, v13, v5
	v_fma_f32 v5, v5, v5, 1.0
	v_mul_f32_e32 v15, 0x4f800000, v5
	v_cmp_gt_f32_e32 vcc, s70, v5
	v_cndmask_b32_e32 v5, v5, v15, vcc
	v_sqrt_f32_e32 v15, v5
	v_add_u32_e32 v18, -1, v15
	v_fma_f32 v19, -v18, v15, v5
	v_cmp_ge_f32_e64 s[8:9], 0, v19
	v_add_u32_e32 v19, 1, v15
	v_cndmask_b32_e64 v18, v15, v18, s[8:9]
	v_fma_f32 v15, -v19, v15, v5
	v_cmp_lt_f32_e64 s[8:9], 0, v15
	v_cndmask_b32_e64 v15, v18, v19, s[8:9]
	v_mul_f32_e32 v18, 0x37800000, v15
	v_cndmask_b32_e32 v15, v15, v18, vcc
	v_cmp_class_f32_e32 vcc, v5, v24
	v_cndmask_b32_e32 v5, v15, v5, vcc
	v_mul_f32_e32 v15, v13, v5
.LBB32_21:                              ;   in Loop: Header=BB32_9 Depth=3
	s_or_b64 exec, exec, s[54:55]
                                        ; implicit-def: $vgpr5
                                        ; implicit-def: $vgpr13
.LBB32_22:                              ;   in Loop: Header=BB32_9 Depth=3
	s_andn2_saveexec_b64 s[52:53], s[52:53]
	s_cbranch_execz .LBB32_24
; %bb.23:                               ;   in Loop: Header=BB32_9 Depth=3
	v_div_scale_f32 v15, s[8:9], v5, v5, v13
	v_rcp_f32_e32 v18, v15
	v_div_scale_f32 v19, vcc, v13, v5, v13
	v_fma_f32 v30, -v15, v18, 1.0
	v_fmac_f32_e32 v18, v30, v18
	v_mul_f32_e32 v30, v19, v18
	v_fma_f32 v31, -v15, v30, v19
	v_fmac_f32_e32 v30, v31, v18
	v_fma_f32 v15, -v15, v30, v19
	v_div_fmas_f32 v15, v15, v18, v30
	v_div_fixup_f32 v13, v15, v5, v13
	v_fma_f32 v13, v13, v13, 1.0
	v_mul_f32_e32 v15, 0x4f800000, v13
	v_cmp_gt_f32_e32 vcc, s70, v13
	v_cndmask_b32_e32 v13, v13, v15, vcc
	v_sqrt_f32_e32 v15, v13
	v_add_u32_e32 v18, -1, v15
	v_fma_f32 v19, -v18, v15, v13
	v_cmp_ge_f32_e64 s[8:9], 0, v19
	v_add_u32_e32 v19, 1, v15
	v_cndmask_b32_e64 v18, v15, v18, s[8:9]
	v_fma_f32 v15, -v19, v15, v13
	v_cmp_lt_f32_e64 s[8:9], 0, v15
	v_cndmask_b32_e64 v15, v18, v19, s[8:9]
	v_mul_f32_e32 v18, 0x37800000, v15
	v_cndmask_b32_e32 v15, v15, v18, vcc
	v_cmp_class_f32_e32 vcc, v13, v24
	v_cndmask_b32_e32 v13, v15, v13, vcc
	v_mul_f32_e32 v15, v5, v13
.LBB32_24:                              ;   in Loop: Header=BB32_9 Depth=3
	s_or_b64 exec, exec, s[52:53]
	v_cmp_lt_f32_e32 vcc, 0, v15
	v_mov_b32_e32 v19, 0
	v_mov_b32_e32 v18, 0
	s_and_saveexec_b64 s[8:9], vcc
	s_cbranch_execz .LBB32_26
; %bb.25:                               ;   in Loop: Header=BB32_9 Depth=3
	v_mul_f32_e32 v5, v17, v17
	v_fmac_f32_e32 v5, v16, v16
	v_div_scale_f32 v13, s[52:53], v5, v5, 1.0
	v_rcp_f32_e32 v15, v13
	v_div_scale_f32 v18, vcc, 1.0, v5, 1.0
	v_xor_b32_e32 v31, 0x80000000, v8
	v_fma_f32 v19, -v13, v15, 1.0
	v_fmac_f32_e32 v15, v19, v15
	v_mul_f32_e32 v19, v18, v15
	v_fma_f32 v30, -v13, v19, v18
	v_fmac_f32_e32 v19, v30, v15
	v_fma_f32 v13, -v13, v19, v18
	v_mov_b32_e32 v30, v9
	v_div_fmas_f32 v13, v13, v15, v19
	v_pk_mul_f32 v[30:31], v[30:31], v[16:17] op_sel:[0,1]
	v_div_fixup_f32 v18, v13, v5, 1.0
	v_pk_fma_f32 v[8:9], v[8:9], v[16:17], v[30:31] op_sel_hi:[1,0,1]
	v_pk_mul_f32 v[18:19], v[8:9], v[18:19] op_sel_hi:[1,0]
.LBB32_26:                              ;   in Loop: Header=BB32_9 Depth=3
	s_or_b64 exec, exec, s[8:9]
	v_mov_b32_e32 v9, v19
	v_mov_b32_e32 v8, v18
.LBB32_27:                              ;   in Loop: Header=BB32_9 Depth=3
	s_or_b64 exec, exec, s[50:51]
	v_cmp_gt_f32_e32 vcc, 0, v8
	v_cndmask_b32_e64 v5, v8, -v8, vcc
	v_cmp_gt_f32_e32 vcc, 0, v9
	v_cndmask_b32_e64 v13, v9, -v9, vcc
	v_cmp_ngt_f32_e32 vcc, v5, v13
                                        ; implicit-def: $vgpr15
	s_and_saveexec_b64 s[8:9], vcc
	s_xor_b64 s[50:51], exec, s[8:9]
	s_cbranch_execnz .LBB32_30
; %bb.28:                               ;   in Loop: Header=BB32_9 Depth=3
	s_andn2_saveexec_b64 s[50:51], s[50:51]
	s_cbranch_execnz .LBB32_33
.LBB32_29:                              ;   in Loop: Header=BB32_9 Depth=3
	s_or_b64 exec, exec, s[50:51]
	v_cmp_class_f32_e64 s[50:51], v15, s71
	s_and_saveexec_b64 s[8:9], s[50:51]
	s_cbranch_execz .LBB32_8
	s_branch .LBB32_34
.LBB32_30:                              ;   in Loop: Header=BB32_9 Depth=3
	v_cmp_neq_f32_e32 vcc, 0, v9
	v_mov_b32_e32 v15, 0
	s_and_saveexec_b64 s[52:53], vcc
	s_cbranch_execz .LBB32_32
; %bb.31:                               ;   in Loop: Header=BB32_9 Depth=3
	v_div_scale_f32 v15, s[8:9], v13, v13, v5
	v_rcp_f32_e32 v16, v15
	v_div_scale_f32 v17, vcc, v5, v13, v5
	v_fma_f32 v18, -v15, v16, 1.0
	v_fmac_f32_e32 v16, v18, v16
	v_mul_f32_e32 v18, v17, v16
	v_fma_f32 v19, -v15, v18, v17
	v_fmac_f32_e32 v18, v19, v16
	v_fma_f32 v15, -v15, v18, v17
	v_div_fmas_f32 v15, v15, v16, v18
	v_div_fixup_f32 v5, v15, v13, v5
	v_fma_f32 v5, v5, v5, 1.0
	v_mul_f32_e32 v15, 0x4f800000, v5
	v_cmp_gt_f32_e32 vcc, s70, v5
	v_cndmask_b32_e32 v5, v5, v15, vcc
	v_sqrt_f32_e32 v15, v5
	v_add_u32_e32 v16, -1, v15
	v_fma_f32 v17, -v16, v15, v5
	v_cmp_ge_f32_e64 s[8:9], 0, v17
	v_add_u32_e32 v17, 1, v15
	v_cndmask_b32_e64 v16, v15, v16, s[8:9]
	v_fma_f32 v15, -v17, v15, v5
	v_cmp_lt_f32_e64 s[8:9], 0, v15
	v_cndmask_b32_e64 v15, v16, v17, s[8:9]
	v_mul_f32_e32 v16, 0x37800000, v15
	v_cndmask_b32_e32 v15, v15, v16, vcc
	v_cmp_class_f32_e32 vcc, v5, v24
	v_cndmask_b32_e32 v5, v15, v5, vcc
	v_mul_f32_e32 v15, v13, v5
.LBB32_32:                              ;   in Loop: Header=BB32_9 Depth=3
	s_or_b64 exec, exec, s[52:53]
                                        ; implicit-def: $vgpr5
                                        ; implicit-def: $vgpr13
	s_andn2_saveexec_b64 s[50:51], s[50:51]
	s_cbranch_execz .LBB32_29
.LBB32_33:                              ;   in Loop: Header=BB32_9 Depth=3
	v_div_scale_f32 v15, s[8:9], v5, v5, v13
	v_rcp_f32_e32 v16, v15
	v_div_scale_f32 v17, vcc, v13, v5, v13
	v_fma_f32 v18, -v15, v16, 1.0
	v_fmac_f32_e32 v16, v18, v16
	v_mul_f32_e32 v18, v17, v16
	v_fma_f32 v19, -v15, v18, v17
	v_fmac_f32_e32 v18, v19, v16
	v_fma_f32 v15, -v15, v18, v17
	v_div_fmas_f32 v15, v15, v16, v18
	v_div_fixup_f32 v13, v15, v5, v13
	v_fma_f32 v13, v13, v13, 1.0
	v_mul_f32_e32 v15, 0x4f800000, v13
	v_cmp_gt_f32_e32 vcc, s70, v13
	v_cndmask_b32_e32 v13, v13, v15, vcc
	v_sqrt_f32_e32 v15, v13
	v_add_u32_e32 v16, -1, v15
	v_fma_f32 v17, -v16, v15, v13
	v_cmp_ge_f32_e64 s[8:9], 0, v17
	v_add_u32_e32 v17, 1, v15
	v_cndmask_b32_e64 v16, v15, v16, s[8:9]
	v_fma_f32 v15, -v17, v15, v13
	v_cmp_lt_f32_e64 s[8:9], 0, v15
	v_cndmask_b32_e64 v15, v16, v17, s[8:9]
	v_mul_f32_e32 v16, 0x37800000, v15
	v_cndmask_b32_e32 v15, v15, v16, vcc
	v_cmp_class_f32_e32 vcc, v13, v24
	v_cndmask_b32_e32 v13, v15, v13, vcc
	v_mul_f32_e32 v15, v5, v13
	s_or_b64 exec, exec, s[50:51]
	v_cmp_class_f32_e64 s[50:51], v15, s71
	s_and_saveexec_b64 s[8:9], s[50:51]
	s_cbranch_execz .LBB32_8
.LBB32_34:                              ;   in Loop: Header=BB32_9 Depth=3
	s_mov_b64 s[50:51], 0
                                        ; implicit-def: $vgpr16_vgpr17
	s_and_saveexec_b64 s[52:53], s[6:7]
	s_xor_b64 s[6:7], exec, s[52:53]
	s_cbranch_execnz .LBB32_37
; %bb.35:                               ;   in Loop: Header=BB32_9 Depth=3
	s_andn2_saveexec_b64 s[6:7], s[6:7]
	s_cbranch_execnz .LBB32_50
.LBB32_36:                              ;   in Loop: Header=BB32_9 Depth=3
	s_or_b64 exec, exec, s[6:7]
	s_and_b64 exec, exec, s[50:51]
	s_cbranch_execz .LBB32_8
	s_branch .LBB32_59
.LBB32_37:                              ;   in Loop: Header=BB32_9 Depth=3
	v_cmp_ge_i32_e32 vcc, v2, v10
                                        ; implicit-def: $vgpr16_vgpr17
	s_and_saveexec_b64 s[52:53], vcc
	s_xor_b64 s[52:53], exec, s[52:53]
; %bb.38:                               ;   in Loop: Header=BB32_9 Depth=3
	v_lshlrev_b64 v[10:11], 3, v[10:11]
	v_mov_b32_e32 v0, s31
	v_add_co_u32_e32 v16, vcc, s30, v10
	s_mov_b64 s[50:51], exec
	v_addc_co_u32_e32 v17, vcc, v0, v11, vcc
                                        ; implicit-def: $vgpr14
                                        ; implicit-def: $vgpr29
                                        ; implicit-def: $vgpr12
; %bb.39:                               ;   in Loop: Header=BB32_9 Depth=3
	s_andn2_saveexec_b64 s[52:53], s[52:53]
	s_cbranch_execz .LBB32_49
; %bb.40:                               ;   in Loop: Header=BB32_9 Depth=3
	v_cmp_lt_i32_e32 vcc, v14, v29
	s_mov_b64 s[56:57], s[50:51]
                                        ; implicit-def: $vgpr16_vgpr17
	s_and_saveexec_b64 s[54:55], vcc
	s_cbranch_execz .LBB32_48
; %bb.41:                               ;   in Loop: Header=BB32_9 Depth=3
	s_mov_b64 s[58:59], 0
                                        ; implicit-def: $sgpr56_sgpr57
                                        ; implicit-def: $sgpr62_sgpr63
                                        ; implicit-def: $sgpr60_sgpr61
	s_branch .LBB32_43
.LBB32_42:                              ;   in Loop: Header=BB32_43 Depth=4
	s_or_b64 exec, exec, s[64:65]
	s_and_b64 s[64:65], exec, s[62:63]
	s_or_b64 s[58:59], s[64:65], s[58:59]
	s_andn2_b64 s[56:57], s[56:57], exec
	s_and_b64 s[64:65], s[60:61], exec
	s_or_b64 s[56:57], s[56:57], s[64:65]
	s_andn2_b64 exec, exec, s[58:59]
	s_cbranch_execz .LBB32_45
.LBB32_43:                              ;   Parent Loop BB32_3 Depth=1
                                        ;     Parent Loop BB32_5 Depth=2
                                        ;       Parent Loop BB32_9 Depth=3
                                        ; =>      This Inner Loop Header: Depth=4
	v_add_u32_e32 v10, v12, v14
	v_ashrrev_i32_e32 v11, 31, v10
	v_lshlrev_b64 v[16:17], 2, v[10:11]
	v_mov_b32_e32 v0, s17
	v_add_co_u32_e32 v16, vcc, s16, v16
	v_addc_co_u32_e32 v17, vcc, v0, v17, vcc
	global_load_dword v0, v[16:17], off
	s_or_b64 s[60:61], s[60:61], exec
	s_or_b64 s[62:63], s[62:63], exec
	s_waitcnt vmcnt(0)
	v_subrev_u32_e32 v0, s68, v0
	v_cmp_ne_u32_e32 vcc, v0, v2
	s_and_saveexec_b64 s[64:65], vcc
	s_cbranch_execz .LBB32_42
; %bb.44:                               ;   in Loop: Header=BB32_43 Depth=4
	v_add_u32_e32 v14, 1, v14
	v_cmp_ge_i32_e32 vcc, v14, v29
	s_andn2_b64 s[62:63], s[62:63], exec
	s_and_b64 s[74:75], vcc, exec
	s_andn2_b64 s[60:61], s[60:61], exec
	s_or_b64 s[62:63], s[62:63], s[74:75]
	s_branch .LBB32_42
.LBB32_45:                              ;   in Loop: Header=BB32_9 Depth=3
	s_or_b64 exec, exec, s[58:59]
	s_mov_b64 s[58:59], s[50:51]
                                        ; implicit-def: $vgpr16_vgpr17
	s_and_saveexec_b64 s[60:61], s[56:57]
	s_xor_b64 s[56:57], exec, s[60:61]
; %bb.46:                               ;   in Loop: Header=BB32_9 Depth=3
	v_lshlrev_b64 v[10:11], 3, v[10:11]
	v_mov_b32_e32 v0, s45
	v_add_co_u32_e32 v16, vcc, s44, v10
	v_addc_co_u32_e32 v17, vcc, v0, v11, vcc
	s_or_b64 s[58:59], s[50:51], exec
; %bb.47:                               ;   in Loop: Header=BB32_9 Depth=3
	s_or_b64 exec, exec, s[56:57]
	s_andn2_b64 s[56:57], s[50:51], exec
	s_and_b64 s[58:59], s[58:59], exec
	s_or_b64 s[56:57], s[56:57], s[58:59]
.LBB32_48:                              ;   in Loop: Header=BB32_9 Depth=3
	s_or_b64 exec, exec, s[54:55]
	s_andn2_b64 s[50:51], s[50:51], exec
	s_and_b64 s[54:55], s[56:57], exec
	s_or_b64 s[50:51], s[50:51], s[54:55]
.LBB32_49:                              ;   in Loop: Header=BB32_9 Depth=3
	s_or_b64 exec, exec, s[52:53]
	s_and_b64 s[50:51], s[50:51], exec
                                        ; implicit-def: $vgpr10_vgpr11
	s_andn2_saveexec_b64 s[6:7], s[6:7]
	s_cbranch_execz .LBB32_36
.LBB32_50:                              ;   in Loop: Header=BB32_9 Depth=3
	v_cmp_lt_i32_e32 vcc, v0, v25
	s_mov_b64 s[54:55], s[50:51]
                                        ; implicit-def: $vgpr16_vgpr17
	s_and_saveexec_b64 s[52:53], vcc
	s_cbranch_execz .LBB32_58
; %bb.51:                               ;   in Loop: Header=BB32_9 Depth=3
	s_mov_b64 s[56:57], 0
                                        ; implicit-def: $sgpr54_sgpr55
                                        ; implicit-def: $sgpr60_sgpr61
                                        ; implicit-def: $sgpr58_sgpr59
	s_branch .LBB32_53
.LBB32_52:                              ;   in Loop: Header=BB32_53 Depth=4
	s_or_b64 exec, exec, s[62:63]
	s_and_b64 s[62:63], exec, s[60:61]
	s_or_b64 s[56:57], s[62:63], s[56:57]
	s_andn2_b64 s[54:55], s[54:55], exec
	s_and_b64 s[62:63], s[58:59], exec
	s_or_b64 s[54:55], s[54:55], s[62:63]
	s_andn2_b64 exec, exec, s[56:57]
	s_cbranch_execz .LBB32_55
.LBB32_53:                              ;   Parent Loop BB32_3 Depth=1
                                        ;     Parent Loop BB32_5 Depth=2
                                        ;       Parent Loop BB32_9 Depth=3
                                        ; =>      This Inner Loop Header: Depth=4
	v_add_u32_e32 v12, v6, v0
	v_ashrrev_i32_e32 v13, 31, v12
	v_lshlrev_b64 v[14:15], 2, v[12:13]
	v_mov_b32_e32 v5, s25
	v_add_co_u32_e32 v14, vcc, s24, v14
	v_addc_co_u32_e32 v15, vcc, v5, v15, vcc
	global_load_dword v5, v[14:15], off
	s_or_b64 s[58:59], s[58:59], exec
	s_or_b64 s[60:61], s[60:61], exec
	s_waitcnt vmcnt(0)
	v_subrev_u32_e32 v5, s67, v5
	v_cmp_ne_u32_e32 vcc, v5, v10
	s_and_saveexec_b64 s[62:63], vcc
	s_cbranch_execz .LBB32_52
; %bb.54:                               ;   in Loop: Header=BB32_53 Depth=4
	v_add_u32_e32 v0, 1, v0
	v_cmp_ge_i32_e32 vcc, v0, v25
	s_andn2_b64 s[60:61], s[60:61], exec
	s_and_b64 s[64:65], vcc, exec
	s_andn2_b64 s[58:59], s[58:59], exec
	s_or_b64 s[60:61], s[60:61], s[64:65]
	s_branch .LBB32_52
.LBB32_55:                              ;   in Loop: Header=BB32_9 Depth=3
	s_or_b64 exec, exec, s[56:57]
	s_mov_b64 s[56:57], s[50:51]
                                        ; implicit-def: $vgpr16_vgpr17
	s_and_saveexec_b64 s[58:59], s[54:55]
	s_xor_b64 s[54:55], exec, s[58:59]
; %bb.56:                               ;   in Loop: Header=BB32_9 Depth=3
	v_lshlrev_b64 v[10:11], 3, v[12:13]
	v_mov_b32_e32 v0, s35
	v_add_co_u32_e32 v16, vcc, s34, v10
	v_addc_co_u32_e32 v17, vcc, v0, v11, vcc
	s_or_b64 s[56:57], s[50:51], exec
; %bb.57:                               ;   in Loop: Header=BB32_9 Depth=3
	s_or_b64 exec, exec, s[54:55]
	s_andn2_b64 s[54:55], s[50:51], exec
	s_and_b64 s[56:57], s[56:57], exec
	s_or_b64 s[54:55], s[54:55], s[56:57]
.LBB32_58:                              ;   in Loop: Header=BB32_9 Depth=3
	s_or_b64 exec, exec, s[52:53]
	s_andn2_b64 s[50:51], s[50:51], exec
	s_and_b64 s[52:53], s[54:55], exec
	s_or_b64 s[50:51], s[50:51], s[52:53]
	s_or_b64 exec, exec, s[6:7]
	s_and_b64 exec, exec, s[50:51]
	s_cbranch_execz .LBB32_8
.LBB32_59:                              ;   in Loop: Header=BB32_9 Depth=3
	global_store_dwordx2 v[16:17], v[8:9], off
	s_branch .LBB32_8
.LBB32_60:                              ;   in Loop: Header=BB32_3 Depth=1
	s_and_saveexec_b64 s[4:5], s[0:1]
	s_cbranch_execz .LBB32_2
; %bb.61:                               ;   in Loop: Header=BB32_3 Depth=1
	s_mov_b64 s[6:7], 0
	v_mov_b32_e32 v2, v20
	s_branch .LBB32_63
.LBB32_62:                              ;   in Loop: Header=BB32_63 Depth=2
	s_or_b64 exec, exec, s[8:9]
	v_add_u32_e32 v2, 64, v2
	v_cmp_le_u32_e32 vcc, s69, v2
	s_or_b64 s[6:7], vcc, s[6:7]
	s_andn2_b64 exec, exec, s[6:7]
	s_cbranch_execz .LBB32_2
.LBB32_63:                              ;   Parent Loop BB32_3 Depth=1
                                        ; =>  This Loop Header: Depth=2
                                        ;       Child Loop BB32_66 Depth 3
                                        ;       Child Loop BB32_69 Depth 3
	v_cmp_gt_i32_e32 vcc, s11, v2
	s_and_saveexec_b64 s[8:9], vcc
	s_cbranch_execz .LBB32_62
; %bb.64:                               ;   in Loop: Header=BB32_63 Depth=2
	v_ashrrev_i32_e32 v3, 31, v2
	v_lshlrev_b64 v[4:5], 2, v[2:3]
	v_mov_b32_e32 v0, s21
	v_add_co_u32_e32 v6, vcc, s20, v4
	v_addc_co_u32_e32 v7, vcc, v0, v5, vcc
	global_load_dword v0, v[6:7], off
	v_mov_b32_e32 v7, s23
	v_add_co_u32_e32 v6, vcc, s22, v4
	v_addc_co_u32_e32 v7, vcc, v7, v5, vcc
	global_load_dword v7, v[6:7], off
	s_waitcnt vmcnt(1)
	v_add_u32_e32 v6, v22, v0
	s_waitcnt vmcnt(0)
	v_subrev_u32_e32 v0, s67, v7
	v_cmp_lt_i32_e32 vcc, v6, v0
	s_and_saveexec_b64 s[46:47], vcc
	s_cbranch_execz .LBB32_67
; %bb.65:                               ;   in Loop: Header=BB32_63 Depth=2
	v_ashrrev_i32_e32 v7, 31, v6
	v_lshlrev_b64 v[10:11], 3, v[6:7]
	v_mov_b32_e32 v7, s35
	v_add_co_u32_e32 v8, vcc, s34, v10
	v_addc_co_u32_e32 v9, vcc, v7, v11, vcc
	v_mov_b32_e32 v7, s27
	v_add_co_u32_e32 v10, vcc, s26, v10
	v_addc_co_u32_e32 v11, vcc, v7, v11, vcc
	s_mov_b64 s[48:49], 0
.LBB32_66:                              ;   Parent Loop BB32_3 Depth=1
                                        ;     Parent Loop BB32_63 Depth=2
                                        ; =>    This Inner Loop Header: Depth=3
	global_load_dwordx2 v[12:13], v[8:9], off
	v_add_co_u32_e32 v8, vcc, 0x80, v8
	v_add_u32_e32 v6, 16, v6
	v_addc_co_u32_e32 v9, vcc, 0, v9, vcc
	v_cmp_ge_i32_e32 vcc, v6, v0
	s_or_b64 s[48:49], vcc, s[48:49]
	s_waitcnt vmcnt(0)
	global_store_dwordx2 v[10:11], v[12:13], off
	v_add_co_u32_e32 v10, vcc, 0x80, v10
	v_addc_co_u32_e32 v11, vcc, 0, v11, vcc
	s_andn2_b64 exec, exec, s[48:49]
	s_cbranch_execnz .LBB32_66
.LBB32_67:                              ;   in Loop: Header=BB32_63 Depth=2
	s_or_b64 exec, exec, s[46:47]
	v_mov_b32_e32 v0, s13
	v_add_co_u32_e32 v6, vcc, s12, v4
	v_addc_co_u32_e32 v7, vcc, v0, v5, vcc
	global_load_dword v0, v[6:7], off
	v_mov_b32_e32 v6, s15
	v_add_co_u32_e32 v4, vcc, s14, v4
	v_addc_co_u32_e32 v5, vcc, v6, v5, vcc
	global_load_dword v5, v[4:5], off
	s_waitcnt vmcnt(1)
	v_add_u32_e32 v4, v23, v0
	s_waitcnt vmcnt(0)
	v_subrev_u32_e32 v0, s68, v5
	v_cmp_lt_i32_e32 vcc, v4, v0
	s_and_saveexec_b64 s[46:47], vcc
	s_cbranch_execz .LBB32_70
; %bb.68:                               ;   in Loop: Header=BB32_63 Depth=2
	v_ashrrev_i32_e32 v5, 31, v4
	v_lshlrev_b64 v[8:9], 3, v[4:5]
	v_mov_b32_e32 v5, s45
	v_add_co_u32_e32 v6, vcc, s44, v8
	v_addc_co_u32_e32 v7, vcc, v5, v9, vcc
	v_mov_b32_e32 v5, s19
	v_add_co_u32_e32 v8, vcc, s18, v8
	v_addc_co_u32_e32 v9, vcc, v5, v9, vcc
	s_mov_b64 s[48:49], 0
.LBB32_69:                              ;   Parent Loop BB32_3 Depth=1
                                        ;     Parent Loop BB32_63 Depth=2
                                        ; =>    This Inner Loop Header: Depth=3
	global_load_dwordx2 v[10:11], v[6:7], off
	v_add_co_u32_e32 v6, vcc, 0x80, v6
	v_add_u32_e32 v4, 16, v4
	v_addc_co_u32_e32 v7, vcc, 0, v7, vcc
	v_cmp_ge_i32_e32 vcc, v4, v0
	s_or_b64 s[48:49], vcc, s[48:49]
	s_waitcnt vmcnt(0)
	global_store_dwordx2 v[8:9], v[10:11], off
	v_add_co_u32_e32 v8, vcc, 0x80, v8
	v_addc_co_u32_e32 v9, vcc, 0, v9, vcc
	s_andn2_b64 exec, exec, s[48:49]
	s_cbranch_execnz .LBB32_69
.LBB32_70:                              ;   in Loop: Header=BB32_63 Depth=2
	s_or_b64 exec, exec, s[46:47]
	s_and_b64 exec, exec, s[2:3]
	s_cbranch_execz .LBB32_62
; %bb.71:                               ;   in Loop: Header=BB32_63 Depth=2
	v_lshlrev_b64 v[4:5], 3, v[2:3]
	v_mov_b32_e32 v0, s31
	v_add_co_u32_e32 v6, vcc, s30, v4
	v_addc_co_u32_e32 v7, vcc, v0, v5, vcc
	global_load_dwordx2 v[6:7], v[6:7], off
	v_mov_b32_e32 v0, s29
	v_add_co_u32_e32 v4, vcc, s28, v4
	v_addc_co_u32_e32 v5, vcc, v0, v5, vcc
	s_waitcnt vmcnt(0)
	global_store_dwordx2 v[4:5], v[6:7], off
	s_branch .LBB32_62
.LBB32_72:
	s_endpgm
	.section	.rodata,"a",@progbits
	.p2align	6, 0x0
	.amdhsa_kernel _ZN9rocsparseL14kernel_freerunILi1024ELi16E21rocsparse_complex_numIfEiiEEvT3_S3_T2_PKS4_S6_PKS3_PKT1_21rocsparse_index_base_S6_S6_S8_PS9_SD_SC_S6_S6_S8_SD_SD_SC_SD_SD_
		.amdhsa_group_segment_fixed_size 0
		.amdhsa_private_segment_fixed_size 0
		.amdhsa_kernarg_size 168
		.amdhsa_user_sgpr_count 6
		.amdhsa_user_sgpr_private_segment_buffer 1
		.amdhsa_user_sgpr_dispatch_ptr 0
		.amdhsa_user_sgpr_queue_ptr 0
		.amdhsa_user_sgpr_kernarg_segment_ptr 1
		.amdhsa_user_sgpr_dispatch_id 0
		.amdhsa_user_sgpr_flat_scratch_init 0
		.amdhsa_user_sgpr_kernarg_preload_length 0
		.amdhsa_user_sgpr_kernarg_preload_offset 0
		.amdhsa_user_sgpr_private_segment_size 0
		.amdhsa_uses_dynamic_stack 0
		.amdhsa_system_sgpr_private_segment_wavefront_offset 0
		.amdhsa_system_sgpr_workgroup_id_x 1
		.amdhsa_system_sgpr_workgroup_id_y 0
		.amdhsa_system_sgpr_workgroup_id_z 0
		.amdhsa_system_sgpr_workgroup_info 0
		.amdhsa_system_vgpr_workitem_id 0
		.amdhsa_next_free_vgpr 36
		.amdhsa_next_free_sgpr 76
		.amdhsa_accum_offset 36
		.amdhsa_reserve_vcc 1
		.amdhsa_reserve_flat_scratch 0
		.amdhsa_float_round_mode_32 0
		.amdhsa_float_round_mode_16_64 0
		.amdhsa_float_denorm_mode_32 3
		.amdhsa_float_denorm_mode_16_64 3
		.amdhsa_dx10_clamp 1
		.amdhsa_ieee_mode 1
		.amdhsa_fp16_overflow 0
		.amdhsa_tg_split 0
		.amdhsa_exception_fp_ieee_invalid_op 0
		.amdhsa_exception_fp_denorm_src 0
		.amdhsa_exception_fp_ieee_div_zero 0
		.amdhsa_exception_fp_ieee_overflow 0
		.amdhsa_exception_fp_ieee_underflow 0
		.amdhsa_exception_fp_ieee_inexact 0
		.amdhsa_exception_int_div_zero 0
	.end_amdhsa_kernel
	.section	.text._ZN9rocsparseL14kernel_freerunILi1024ELi16E21rocsparse_complex_numIfEiiEEvT3_S3_T2_PKS4_S6_PKS3_PKT1_21rocsparse_index_base_S6_S6_S8_PS9_SD_SC_S6_S6_S8_SD_SD_SC_SD_SD_,"axG",@progbits,_ZN9rocsparseL14kernel_freerunILi1024ELi16E21rocsparse_complex_numIfEiiEEvT3_S3_T2_PKS4_S6_PKS3_PKT1_21rocsparse_index_base_S6_S6_S8_PS9_SD_SC_S6_S6_S8_SD_SD_SC_SD_SD_,comdat
.Lfunc_end32:
	.size	_ZN9rocsparseL14kernel_freerunILi1024ELi16E21rocsparse_complex_numIfEiiEEvT3_S3_T2_PKS4_S6_PKS3_PKT1_21rocsparse_index_base_S6_S6_S8_PS9_SD_SC_S6_S6_S8_SD_SD_SC_SD_SD_, .Lfunc_end32-_ZN9rocsparseL14kernel_freerunILi1024ELi16E21rocsparse_complex_numIfEiiEEvT3_S3_T2_PKS4_S6_PKS3_PKT1_21rocsparse_index_base_S6_S6_S8_PS9_SD_SC_S6_S6_S8_SD_SD_SC_SD_SD_
                                        ; -- End function
	.section	.AMDGPU.csdata,"",@progbits
; Kernel info:
; codeLenInByte = 3120
; NumSgprs: 80
; NumVgprs: 36
; NumAgprs: 0
; TotalNumVgprs: 36
; ScratchSize: 0
; MemoryBound: 0
; FloatMode: 240
; IeeeMode: 1
; LDSByteSize: 0 bytes/workgroup (compile time only)
; SGPRBlocks: 9
; VGPRBlocks: 4
; NumSGPRsForWavesPerEU: 80
; NumVGPRsForWavesPerEU: 36
; AccumOffset: 36
; Occupancy: 8
; WaveLimiterHint : 1
; COMPUTE_PGM_RSRC2:SCRATCH_EN: 0
; COMPUTE_PGM_RSRC2:USER_SGPR: 6
; COMPUTE_PGM_RSRC2:TRAP_HANDLER: 0
; COMPUTE_PGM_RSRC2:TGID_X_EN: 1
; COMPUTE_PGM_RSRC2:TGID_Y_EN: 0
; COMPUTE_PGM_RSRC2:TGID_Z_EN: 0
; COMPUTE_PGM_RSRC2:TIDIG_COMP_CNT: 0
; COMPUTE_PGM_RSRC3_GFX90A:ACCUM_OFFSET: 8
; COMPUTE_PGM_RSRC3_GFX90A:TG_SPLIT: 0
	.section	.text._ZN9rocsparseL14kernel_freerunILi1024ELi32E21rocsparse_complex_numIfEiiEEvT3_S3_T2_PKS4_S6_PKS3_PKT1_21rocsparse_index_base_S6_S6_S8_PS9_SD_SC_S6_S6_S8_SD_SD_SC_SD_SD_,"axG",@progbits,_ZN9rocsparseL14kernel_freerunILi1024ELi32E21rocsparse_complex_numIfEiiEEvT3_S3_T2_PKS4_S6_PKS3_PKT1_21rocsparse_index_base_S6_S6_S8_PS9_SD_SC_S6_S6_S8_SD_SD_SC_SD_SD_,comdat
	.globl	_ZN9rocsparseL14kernel_freerunILi1024ELi32E21rocsparse_complex_numIfEiiEEvT3_S3_T2_PKS4_S6_PKS3_PKT1_21rocsparse_index_base_S6_S6_S8_PS9_SD_SC_S6_S6_S8_SD_SD_SC_SD_SD_ ; -- Begin function _ZN9rocsparseL14kernel_freerunILi1024ELi32E21rocsparse_complex_numIfEiiEEvT3_S3_T2_PKS4_S6_PKS3_PKT1_21rocsparse_index_base_S6_S6_S8_PS9_SD_SC_S6_S6_S8_SD_SD_SC_SD_SD_
	.p2align	8
	.type	_ZN9rocsparseL14kernel_freerunILi1024ELi32E21rocsparse_complex_numIfEiiEEvT3_S3_T2_PKS4_S6_PKS3_PKT1_21rocsparse_index_base_S6_S6_S8_PS9_SD_SC_S6_S6_S8_SD_SD_SC_SD_SD_,@function
_ZN9rocsparseL14kernel_freerunILi1024ELi32E21rocsparse_complex_numIfEiiEEvT3_S3_T2_PKS4_S6_PKS3_PKT1_21rocsparse_index_base_S6_S6_S8_PS9_SD_SC_S6_S6_S8_SD_SD_SC_SD_SD_: ; @_ZN9rocsparseL14kernel_freerunILi1024ELi32E21rocsparse_complex_numIfEiiEEvT3_S3_T2_PKS4_S6_PKS3_PKT1_21rocsparse_index_base_S6_S6_S8_PS9_SD_SC_S6_S6_S8_SD_SD_SC_SD_SD_
; %bb.0:
	s_load_dwordx2 s[10:11], s[4:5], 0x0
	v_lshrrev_b32_e32 v1, 5, v0
	s_lshl_b32 s69, s6, 10
	v_or_b32_e32 v20, s69, v1
	s_mov_b32 s33, 0
	s_waitcnt lgkmcnt(0)
	s_cmp_gt_i32 s10, 0
	v_cmp_gt_i32_e32 vcc, s11, v20
	s_cselect_b64 s[0:1], -1, 0
	s_and_b64 s[0:1], vcc, s[0:1]
	s_and_saveexec_b64 s[2:3], s[0:1]
	s_cbranch_execz .LBB33_72
; %bb.1:
	s_load_dwordx4 s[28:31], s[4:5], 0x98
	s_load_dwordx8 s[12:19], s[4:5], 0x68
	s_load_dwordx8 s[20:27], s[4:5], 0x38
	;; [unrolled: 1-line block ×3, first 2 shown]
	s_load_dword s66, s[4:5], 0x30
	s_load_dwordx2 s[34:35], s[4:5], 0x58
	s_load_dword s67, s[4:5], 0x60
	s_load_dwordx2 s[44:45], s[4:5], 0x88
	s_load_dword s68, s[4:5], 0x90
	v_and_b32_e32 v0, 31, v0
	s_addk_i32 s69, 0x400
	s_waitcnt lgkmcnt(0)
	v_subrev_u32_e32 v21, s66, v0
	v_cmp_gt_u32_e64 s[0:1], s69, v20
	v_subrev_u32_e32 v22, s67, v0
	v_subrev_u32_e32 v23, s68, v0
	v_cmp_eq_u32_e64 s[2:3], 0, v0
	s_mov_b32 s70, 0xf800000
	v_mov_b32_e32 v24, 0x260
	s_movk_i32 s71, 0x1f8
	v_mov_b32_e32 v1, 0
	s_branch .LBB33_3
.LBB33_2:                               ;   in Loop: Header=BB33_3 Depth=1
	s_or_b64 exec, exec, s[4:5]
	s_add_i32 s33, s33, 1
	s_cmp_eq_u32 s33, s10
	s_cbranch_scc1 .LBB33_72
.LBB33_3:                               ; =>This Loop Header: Depth=1
                                        ;     Child Loop BB33_5 Depth 2
                                        ;       Child Loop BB33_9 Depth 3
                                        ;         Child Loop BB33_13 Depth 4
                                        ;         Child Loop BB33_43 Depth 4
	;; [unrolled: 1-line block ×3, first 2 shown]
                                        ;     Child Loop BB33_63 Depth 2
                                        ;       Child Loop BB33_66 Depth 3
                                        ;       Child Loop BB33_69 Depth 3
	s_mov_b32 s72, 0
	s_branch .LBB33_5
.LBB33_4:                               ;   in Loop: Header=BB33_5 Depth=2
	s_or_b64 exec, exec, s[46:47]
	s_add_i32 s72, s72, 1
	s_cmp_eq_u32 s72, 32
	s_cbranch_scc1 .LBB33_60
.LBB33_5:                               ;   Parent Loop BB33_3 Depth=1
                                        ; =>  This Loop Header: Depth=2
                                        ;       Child Loop BB33_9 Depth 3
                                        ;         Child Loop BB33_13 Depth 4
                                        ;         Child Loop BB33_43 Depth 4
	;; [unrolled: 1-line block ×3, first 2 shown]
	v_lshl_add_u32 v2, s72, 5, v20
	v_cmp_gt_i32_e32 vcc, s11, v2
	s_and_saveexec_b64 s[46:47], vcc
	s_cbranch_execz .LBB33_4
; %bb.6:                                ;   in Loop: Header=BB33_5 Depth=2
	v_ashrrev_i32_e32 v3, 31, v2
	v_lshlrev_b64 v[6:7], 2, v[2:3]
	v_mov_b32_e32 v0, s37
	v_add_co_u32_e32 v4, vcc, s36, v6
	v_addc_co_u32_e32 v5, vcc, v0, v7, vcc
	global_load_dword v0, v[4:5], off
	v_mov_b32_e32 v3, s39
	v_add_co_u32_e32 v4, vcc, s38, v6
	v_addc_co_u32_e32 v5, vcc, v3, v7, vcc
	global_load_dword v3, v[4:5], off
	s_waitcnt vmcnt(1)
	v_add_u32_e32 v4, v21, v0
	s_waitcnt vmcnt(0)
	v_subrev_u32_e32 v3, s66, v3
	v_cmp_lt_i32_e32 vcc, v4, v3
	s_and_b64 exec, exec, vcc
	s_cbranch_execz .LBB33_4
; %bb.7:                                ;   in Loop: Header=BB33_5 Depth=2
	v_mov_b32_e32 v0, s23
	v_add_co_u32_e32 v8, vcc, s22, v6
	v_addc_co_u32_e32 v9, vcc, v0, v7, vcc
	v_mov_b32_e32 v0, s21
	v_add_co_u32_e32 v6, vcc, s20, v6
	v_addc_co_u32_e32 v7, vcc, v0, v7, vcc
	global_load_dword v0, v[6:7], off
	global_load_dword v5, v[8:9], off
	v_mov_b32_e32 v12, s25
	v_mov_b32_e32 v13, s27
	s_mov_b64 s[48:49], 0
	s_waitcnt vmcnt(1)
	v_subrev_u32_e32 v6, s67, v0
	v_ashrrev_i32_e32 v7, 31, v6
	v_lshlrev_b64 v[8:9], 2, v[6:7]
	v_lshlrev_b64 v[10:11], 3, v[6:7]
	v_add_co_u32_e32 v7, vcc, s24, v8
	v_addc_co_u32_e32 v26, vcc, v12, v9, vcc
	s_waitcnt vmcnt(0)
	v_sub_u32_e32 v25, v5, v0
	v_add_co_u32_e32 v27, vcc, s26, v10
	v_cmp_lt_i32_e64 s[4:5], 0, v25
	v_addc_co_u32_e32 v28, vcc, v13, v11, vcc
	s_branch .LBB33_9
.LBB33_8:                               ;   in Loop: Header=BB33_9 Depth=3
	s_or_b64 exec, exec, s[8:9]
	v_add_u32_e32 v4, 32, v4
	v_cmp_ge_i32_e32 vcc, v4, v3
	s_or_b64 s[48:49], vcc, s[48:49]
	s_andn2_b64 exec, exec, s[48:49]
	s_cbranch_execz .LBB33_4
.LBB33_9:                               ;   Parent Loop BB33_3 Depth=1
                                        ;     Parent Loop BB33_5 Depth=2
                                        ; =>    This Loop Header: Depth=3
                                        ;         Child Loop BB33_13 Depth 4
                                        ;         Child Loop BB33_43 Depth 4
	;; [unrolled: 1-line block ×3, first 2 shown]
	v_ashrrev_i32_e32 v5, 31, v4
	v_lshlrev_b64 v[8:9], 2, v[4:5]
	v_mov_b32_e32 v0, s41
	v_add_co_u32_e32 v8, vcc, s40, v8
	v_addc_co_u32_e32 v9, vcc, v0, v9, vcc
	global_load_dword v0, v[8:9], off
	v_mov_b32_e32 v13, s13
	v_mov_b32_e32 v14, s15
	s_waitcnt vmcnt(0)
	v_subrev_u32_e32 v10, s66, v0
	v_ashrrev_i32_e32 v11, 31, v10
	v_lshlrev_b64 v[8:9], 2, v[10:11]
	v_add_co_u32_e32 v12, vcc, s12, v8
	v_addc_co_u32_e32 v13, vcc, v13, v9, vcc
	v_add_co_u32_e32 v8, vcc, s14, v8
	v_addc_co_u32_e32 v9, vcc, v14, v9, vcc
	global_load_dword v13, v[12:13], off
	s_nop 0
	global_load_dword v14, v[8:9], off
	v_mov_b32_e32 v9, 0
	v_mov_b32_e32 v0, 0
	;; [unrolled: 1-line block ×3, first 2 shown]
	s_waitcnt vmcnt(1)
	v_subrev_u32_e32 v12, s68, v13
	s_waitcnt vmcnt(0)
	v_sub_u32_e32 v29, v14, v13
	v_mov_b32_e32 v14, 0
	s_and_saveexec_b64 s[6:7], s[4:5]
	s_cbranch_execz .LBB33_17
; %bb.10:                               ;   in Loop: Header=BB33_9 Depth=3
	v_ashrrev_i32_e32 v13, 31, v12
	v_lshlrev_b64 v[8:9], 2, v[12:13]
	v_mov_b32_e32 v0, s17
	v_add_co_u32_e32 v16, vcc, s16, v8
	v_addc_co_u32_e32 v17, vcc, v0, v9, vcc
	v_lshlrev_b64 v[8:9], 3, v[12:13]
	v_mov_b32_e32 v0, s19
	v_add_co_u32_e32 v13, vcc, s18, v8
	v_mov_b32_e32 v14, 0
	v_mov_b32_e32 v8, 0
	v_addc_co_u32_e32 v18, vcc, v0, v9, vcc
	s_mov_b64 s[8:9], 0
	v_mov_b32_e32 v0, v14
	v_mov_b32_e32 v9, v8
                                        ; implicit-def: $sgpr50_sgpr51
	s_branch .LBB33_13
.LBB33_11:                              ;   in Loop: Header=BB33_13 Depth=4
	s_or_b64 exec, exec, s[54:55]
	v_cmp_le_i32_e32 vcc, v19, v30
	v_addc_co_u32_e32 v0, vcc, 0, v0, vcc
	v_cmp_ge_i32_e32 vcc, v19, v30
	v_addc_co_u32_e32 v14, vcc, 0, v14, vcc
	v_cmp_ge_i32_e32 vcc, v0, v25
	s_andn2_b64 s[50:51], s[50:51], exec
	s_and_b64 s[54:55], vcc, exec
	s_or_b64 s[50:51], s[50:51], s[54:55]
.LBB33_12:                              ;   in Loop: Header=BB33_13 Depth=4
	s_or_b64 exec, exec, s[52:53]
	s_and_b64 s[52:53], exec, s[50:51]
	s_or_b64 s[8:9], s[52:53], s[8:9]
	s_andn2_b64 exec, exec, s[8:9]
	s_cbranch_execz .LBB33_16
.LBB33_13:                              ;   Parent Loop BB33_3 Depth=1
                                        ;     Parent Loop BB33_5 Depth=2
                                        ;       Parent Loop BB33_9 Depth=3
                                        ; =>      This Inner Loop Header: Depth=4
	v_cmp_lt_i32_e32 vcc, v14, v29
	s_or_b64 s[50:51], s[50:51], exec
	s_and_saveexec_b64 s[52:53], vcc
	s_cbranch_execz .LBB33_12
; %bb.14:                               ;   in Loop: Header=BB33_13 Depth=4
	v_lshlrev_b64 v[30:31], 2, v[0:1]
	v_add_co_u32_e32 v30, vcc, v7, v30
	v_addc_co_u32_e32 v31, vcc, v26, v31, vcc
	v_mov_b32_e32 v15, v1
	global_load_dword v19, v[30:31], off
	v_lshlrev_b64 v[30:31], 2, v[14:15]
	v_add_co_u32_e32 v30, vcc, v16, v30
	v_addc_co_u32_e32 v31, vcc, v17, v31, vcc
	global_load_dword v30, v[30:31], off
	s_waitcnt vmcnt(1)
	v_subrev_u32_e32 v19, s67, v19
	s_waitcnt vmcnt(0)
	v_subrev_u32_e32 v30, s68, v30
	v_cmp_eq_u32_e32 vcc, v19, v30
	s_and_saveexec_b64 s[54:55], vcc
	s_cbranch_execz .LBB33_11
; %bb.15:                               ;   in Loop: Header=BB33_13 Depth=4
	v_lshlrev_b64 v[32:33], 3, v[0:1]
	v_add_co_u32_e32 v32, vcc, v27, v32
	v_addc_co_u32_e32 v33, vcc, v28, v33, vcc
	v_lshlrev_b64 v[34:35], 3, v[14:15]
	v_add_co_u32_e32 v34, vcc, v13, v34
	v_addc_co_u32_e32 v35, vcc, v18, v35, vcc
	global_load_dwordx2 v[34:35], v[34:35], off
	s_nop 0
	global_load_dwordx2 v[32:33], v[32:33], off
	s_waitcnt vmcnt(0)
	v_pk_fma_f32 v[8:9], v[32:33], v[34:35], v[8:9] op_sel_hi:[1,0,1]
	v_pk_fma_f32 v[8:9], v[32:33], v[34:35], v[8:9] op_sel:[1,1,0] op_sel_hi:[0,1,1] neg_lo:[1,0,0]
	s_branch .LBB33_11
.LBB33_16:                              ;   in Loop: Header=BB33_9 Depth=3
	s_or_b64 exec, exec, s[8:9]
.LBB33_17:                              ;   in Loop: Header=BB33_9 Depth=3
	s_or_b64 exec, exec, s[6:7]
	v_lshlrev_b64 v[16:17], 3, v[4:5]
	v_mov_b32_e32 v5, s43
	v_add_co_u32_e32 v16, vcc, s42, v16
	v_addc_co_u32_e32 v17, vcc, v5, v17, vcc
	global_load_dwordx2 v[16:17], v[16:17], off
	v_cmp_le_i32_e64 s[6:7], v2, v10
	v_cmp_gt_i32_e32 vcc, v2, v10
	s_waitcnt vmcnt(0)
	v_pk_add_f32 v[8:9], v[16:17], v[8:9] neg_lo:[0,1] neg_hi:[0,1]
	s_and_saveexec_b64 s[50:51], vcc
	s_cbranch_execz .LBB33_27
; %bb.18:                               ;   in Loop: Header=BB33_9 Depth=3
	v_lshlrev_b64 v[16:17], 3, v[10:11]
	v_mov_b32_e32 v5, s29
	v_add_co_u32_e32 v16, vcc, s28, v16
	v_addc_co_u32_e32 v17, vcc, v5, v17, vcc
	global_load_dwordx2 v[16:17], v[16:17], off
                                        ; implicit-def: $vgpr15
	s_waitcnt vmcnt(0)
	v_cmp_gt_f32_e32 vcc, 0, v16
	v_cndmask_b32_e64 v5, v16, -v16, vcc
	v_cmp_gt_f32_e32 vcc, 0, v17
	v_cndmask_b32_e64 v13, v17, -v17, vcc
	v_cmp_ngt_f32_e32 vcc, v5, v13
	s_and_saveexec_b64 s[8:9], vcc
	s_xor_b64 s[52:53], exec, s[8:9]
	s_cbranch_execz .LBB33_22
; %bb.19:                               ;   in Loop: Header=BB33_9 Depth=3
	v_cmp_neq_f32_e32 vcc, 0, v17
	v_mov_b32_e32 v15, 0
	s_and_saveexec_b64 s[54:55], vcc
	s_cbranch_execz .LBB33_21
; %bb.20:                               ;   in Loop: Header=BB33_9 Depth=3
	v_div_scale_f32 v15, s[8:9], v13, v13, v5
	v_rcp_f32_e32 v18, v15
	v_div_scale_f32 v19, vcc, v5, v13, v5
	v_fma_f32 v30, -v15, v18, 1.0
	v_fmac_f32_e32 v18, v30, v18
	v_mul_f32_e32 v30, v19, v18
	v_fma_f32 v31, -v15, v30, v19
	v_fmac_f32_e32 v30, v31, v18
	v_fma_f32 v15, -v15, v30, v19
	v_div_fmas_f32 v15, v15, v18, v30
	v_div_fixup_f32 v5, v15, v13, v5
	v_fma_f32 v5, v5, v5, 1.0
	v_mul_f32_e32 v15, 0x4f800000, v5
	v_cmp_gt_f32_e32 vcc, s70, v5
	v_cndmask_b32_e32 v5, v5, v15, vcc
	v_sqrt_f32_e32 v15, v5
	v_add_u32_e32 v18, -1, v15
	v_fma_f32 v19, -v18, v15, v5
	v_cmp_ge_f32_e64 s[8:9], 0, v19
	v_add_u32_e32 v19, 1, v15
	v_cndmask_b32_e64 v18, v15, v18, s[8:9]
	v_fma_f32 v15, -v19, v15, v5
	v_cmp_lt_f32_e64 s[8:9], 0, v15
	v_cndmask_b32_e64 v15, v18, v19, s[8:9]
	v_mul_f32_e32 v18, 0x37800000, v15
	v_cndmask_b32_e32 v15, v15, v18, vcc
	v_cmp_class_f32_e32 vcc, v5, v24
	v_cndmask_b32_e32 v5, v15, v5, vcc
	v_mul_f32_e32 v15, v13, v5
.LBB33_21:                              ;   in Loop: Header=BB33_9 Depth=3
	s_or_b64 exec, exec, s[54:55]
                                        ; implicit-def: $vgpr5
                                        ; implicit-def: $vgpr13
.LBB33_22:                              ;   in Loop: Header=BB33_9 Depth=3
	s_andn2_saveexec_b64 s[52:53], s[52:53]
	s_cbranch_execz .LBB33_24
; %bb.23:                               ;   in Loop: Header=BB33_9 Depth=3
	v_div_scale_f32 v15, s[8:9], v5, v5, v13
	v_rcp_f32_e32 v18, v15
	v_div_scale_f32 v19, vcc, v13, v5, v13
	v_fma_f32 v30, -v15, v18, 1.0
	v_fmac_f32_e32 v18, v30, v18
	v_mul_f32_e32 v30, v19, v18
	v_fma_f32 v31, -v15, v30, v19
	v_fmac_f32_e32 v30, v31, v18
	v_fma_f32 v15, -v15, v30, v19
	v_div_fmas_f32 v15, v15, v18, v30
	v_div_fixup_f32 v13, v15, v5, v13
	v_fma_f32 v13, v13, v13, 1.0
	v_mul_f32_e32 v15, 0x4f800000, v13
	v_cmp_gt_f32_e32 vcc, s70, v13
	v_cndmask_b32_e32 v13, v13, v15, vcc
	v_sqrt_f32_e32 v15, v13
	v_add_u32_e32 v18, -1, v15
	v_fma_f32 v19, -v18, v15, v13
	v_cmp_ge_f32_e64 s[8:9], 0, v19
	v_add_u32_e32 v19, 1, v15
	v_cndmask_b32_e64 v18, v15, v18, s[8:9]
	v_fma_f32 v15, -v19, v15, v13
	v_cmp_lt_f32_e64 s[8:9], 0, v15
	v_cndmask_b32_e64 v15, v18, v19, s[8:9]
	v_mul_f32_e32 v18, 0x37800000, v15
	v_cndmask_b32_e32 v15, v15, v18, vcc
	v_cmp_class_f32_e32 vcc, v13, v24
	v_cndmask_b32_e32 v13, v15, v13, vcc
	v_mul_f32_e32 v15, v5, v13
.LBB33_24:                              ;   in Loop: Header=BB33_9 Depth=3
	s_or_b64 exec, exec, s[52:53]
	v_cmp_lt_f32_e32 vcc, 0, v15
	v_mov_b32_e32 v19, 0
	v_mov_b32_e32 v18, 0
	s_and_saveexec_b64 s[8:9], vcc
	s_cbranch_execz .LBB33_26
; %bb.25:                               ;   in Loop: Header=BB33_9 Depth=3
	v_mul_f32_e32 v5, v17, v17
	v_fmac_f32_e32 v5, v16, v16
	v_div_scale_f32 v13, s[52:53], v5, v5, 1.0
	v_rcp_f32_e32 v15, v13
	v_div_scale_f32 v18, vcc, 1.0, v5, 1.0
	v_xor_b32_e32 v31, 0x80000000, v8
	v_fma_f32 v19, -v13, v15, 1.0
	v_fmac_f32_e32 v15, v19, v15
	v_mul_f32_e32 v19, v18, v15
	v_fma_f32 v30, -v13, v19, v18
	v_fmac_f32_e32 v19, v30, v15
	v_fma_f32 v13, -v13, v19, v18
	v_mov_b32_e32 v30, v9
	v_div_fmas_f32 v13, v13, v15, v19
	v_pk_mul_f32 v[30:31], v[30:31], v[16:17] op_sel:[0,1]
	v_div_fixup_f32 v18, v13, v5, 1.0
	v_pk_fma_f32 v[8:9], v[8:9], v[16:17], v[30:31] op_sel_hi:[1,0,1]
	v_pk_mul_f32 v[18:19], v[8:9], v[18:19] op_sel_hi:[1,0]
.LBB33_26:                              ;   in Loop: Header=BB33_9 Depth=3
	s_or_b64 exec, exec, s[8:9]
	v_mov_b32_e32 v9, v19
	v_mov_b32_e32 v8, v18
.LBB33_27:                              ;   in Loop: Header=BB33_9 Depth=3
	s_or_b64 exec, exec, s[50:51]
	v_cmp_gt_f32_e32 vcc, 0, v8
	v_cndmask_b32_e64 v5, v8, -v8, vcc
	v_cmp_gt_f32_e32 vcc, 0, v9
	v_cndmask_b32_e64 v13, v9, -v9, vcc
	v_cmp_ngt_f32_e32 vcc, v5, v13
                                        ; implicit-def: $vgpr15
	s_and_saveexec_b64 s[8:9], vcc
	s_xor_b64 s[50:51], exec, s[8:9]
	s_cbranch_execnz .LBB33_30
; %bb.28:                               ;   in Loop: Header=BB33_9 Depth=3
	s_andn2_saveexec_b64 s[50:51], s[50:51]
	s_cbranch_execnz .LBB33_33
.LBB33_29:                              ;   in Loop: Header=BB33_9 Depth=3
	s_or_b64 exec, exec, s[50:51]
	v_cmp_class_f32_e64 s[50:51], v15, s71
	s_and_saveexec_b64 s[8:9], s[50:51]
	s_cbranch_execz .LBB33_8
	s_branch .LBB33_34
.LBB33_30:                              ;   in Loop: Header=BB33_9 Depth=3
	v_cmp_neq_f32_e32 vcc, 0, v9
	v_mov_b32_e32 v15, 0
	s_and_saveexec_b64 s[52:53], vcc
	s_cbranch_execz .LBB33_32
; %bb.31:                               ;   in Loop: Header=BB33_9 Depth=3
	v_div_scale_f32 v15, s[8:9], v13, v13, v5
	v_rcp_f32_e32 v16, v15
	v_div_scale_f32 v17, vcc, v5, v13, v5
	v_fma_f32 v18, -v15, v16, 1.0
	v_fmac_f32_e32 v16, v18, v16
	v_mul_f32_e32 v18, v17, v16
	v_fma_f32 v19, -v15, v18, v17
	v_fmac_f32_e32 v18, v19, v16
	v_fma_f32 v15, -v15, v18, v17
	v_div_fmas_f32 v15, v15, v16, v18
	v_div_fixup_f32 v5, v15, v13, v5
	v_fma_f32 v5, v5, v5, 1.0
	v_mul_f32_e32 v15, 0x4f800000, v5
	v_cmp_gt_f32_e32 vcc, s70, v5
	v_cndmask_b32_e32 v5, v5, v15, vcc
	v_sqrt_f32_e32 v15, v5
	v_add_u32_e32 v16, -1, v15
	v_fma_f32 v17, -v16, v15, v5
	v_cmp_ge_f32_e64 s[8:9], 0, v17
	v_add_u32_e32 v17, 1, v15
	v_cndmask_b32_e64 v16, v15, v16, s[8:9]
	v_fma_f32 v15, -v17, v15, v5
	v_cmp_lt_f32_e64 s[8:9], 0, v15
	v_cndmask_b32_e64 v15, v16, v17, s[8:9]
	v_mul_f32_e32 v16, 0x37800000, v15
	v_cndmask_b32_e32 v15, v15, v16, vcc
	v_cmp_class_f32_e32 vcc, v5, v24
	v_cndmask_b32_e32 v5, v15, v5, vcc
	v_mul_f32_e32 v15, v13, v5
.LBB33_32:                              ;   in Loop: Header=BB33_9 Depth=3
	s_or_b64 exec, exec, s[52:53]
                                        ; implicit-def: $vgpr5
                                        ; implicit-def: $vgpr13
	s_andn2_saveexec_b64 s[50:51], s[50:51]
	s_cbranch_execz .LBB33_29
.LBB33_33:                              ;   in Loop: Header=BB33_9 Depth=3
	v_div_scale_f32 v15, s[8:9], v5, v5, v13
	v_rcp_f32_e32 v16, v15
	v_div_scale_f32 v17, vcc, v13, v5, v13
	v_fma_f32 v18, -v15, v16, 1.0
	v_fmac_f32_e32 v16, v18, v16
	v_mul_f32_e32 v18, v17, v16
	v_fma_f32 v19, -v15, v18, v17
	v_fmac_f32_e32 v18, v19, v16
	v_fma_f32 v15, -v15, v18, v17
	v_div_fmas_f32 v15, v15, v16, v18
	v_div_fixup_f32 v13, v15, v5, v13
	v_fma_f32 v13, v13, v13, 1.0
	v_mul_f32_e32 v15, 0x4f800000, v13
	v_cmp_gt_f32_e32 vcc, s70, v13
	v_cndmask_b32_e32 v13, v13, v15, vcc
	v_sqrt_f32_e32 v15, v13
	v_add_u32_e32 v16, -1, v15
	v_fma_f32 v17, -v16, v15, v13
	v_cmp_ge_f32_e64 s[8:9], 0, v17
	v_add_u32_e32 v17, 1, v15
	v_cndmask_b32_e64 v16, v15, v16, s[8:9]
	v_fma_f32 v15, -v17, v15, v13
	v_cmp_lt_f32_e64 s[8:9], 0, v15
	v_cndmask_b32_e64 v15, v16, v17, s[8:9]
	v_mul_f32_e32 v16, 0x37800000, v15
	v_cndmask_b32_e32 v15, v15, v16, vcc
	v_cmp_class_f32_e32 vcc, v13, v24
	v_cndmask_b32_e32 v13, v15, v13, vcc
	v_mul_f32_e32 v15, v5, v13
	s_or_b64 exec, exec, s[50:51]
	v_cmp_class_f32_e64 s[50:51], v15, s71
	s_and_saveexec_b64 s[8:9], s[50:51]
	s_cbranch_execz .LBB33_8
.LBB33_34:                              ;   in Loop: Header=BB33_9 Depth=3
	s_mov_b64 s[50:51], 0
                                        ; implicit-def: $vgpr16_vgpr17
	s_and_saveexec_b64 s[52:53], s[6:7]
	s_xor_b64 s[6:7], exec, s[52:53]
	s_cbranch_execnz .LBB33_37
; %bb.35:                               ;   in Loop: Header=BB33_9 Depth=3
	s_andn2_saveexec_b64 s[6:7], s[6:7]
	s_cbranch_execnz .LBB33_50
.LBB33_36:                              ;   in Loop: Header=BB33_9 Depth=3
	s_or_b64 exec, exec, s[6:7]
	s_and_b64 exec, exec, s[50:51]
	s_cbranch_execz .LBB33_8
	s_branch .LBB33_59
.LBB33_37:                              ;   in Loop: Header=BB33_9 Depth=3
	v_cmp_ge_i32_e32 vcc, v2, v10
                                        ; implicit-def: $vgpr16_vgpr17
	s_and_saveexec_b64 s[52:53], vcc
	s_xor_b64 s[52:53], exec, s[52:53]
; %bb.38:                               ;   in Loop: Header=BB33_9 Depth=3
	v_lshlrev_b64 v[10:11], 3, v[10:11]
	v_mov_b32_e32 v0, s31
	v_add_co_u32_e32 v16, vcc, s30, v10
	s_mov_b64 s[50:51], exec
	v_addc_co_u32_e32 v17, vcc, v0, v11, vcc
                                        ; implicit-def: $vgpr14
                                        ; implicit-def: $vgpr29
                                        ; implicit-def: $vgpr12
; %bb.39:                               ;   in Loop: Header=BB33_9 Depth=3
	s_andn2_saveexec_b64 s[52:53], s[52:53]
	s_cbranch_execz .LBB33_49
; %bb.40:                               ;   in Loop: Header=BB33_9 Depth=3
	v_cmp_lt_i32_e32 vcc, v14, v29
	s_mov_b64 s[56:57], s[50:51]
                                        ; implicit-def: $vgpr16_vgpr17
	s_and_saveexec_b64 s[54:55], vcc
	s_cbranch_execz .LBB33_48
; %bb.41:                               ;   in Loop: Header=BB33_9 Depth=3
	s_mov_b64 s[58:59], 0
                                        ; implicit-def: $sgpr56_sgpr57
                                        ; implicit-def: $sgpr62_sgpr63
                                        ; implicit-def: $sgpr60_sgpr61
	s_branch .LBB33_43
.LBB33_42:                              ;   in Loop: Header=BB33_43 Depth=4
	s_or_b64 exec, exec, s[64:65]
	s_and_b64 s[64:65], exec, s[62:63]
	s_or_b64 s[58:59], s[64:65], s[58:59]
	s_andn2_b64 s[56:57], s[56:57], exec
	s_and_b64 s[64:65], s[60:61], exec
	s_or_b64 s[56:57], s[56:57], s[64:65]
	s_andn2_b64 exec, exec, s[58:59]
	s_cbranch_execz .LBB33_45
.LBB33_43:                              ;   Parent Loop BB33_3 Depth=1
                                        ;     Parent Loop BB33_5 Depth=2
                                        ;       Parent Loop BB33_9 Depth=3
                                        ; =>      This Inner Loop Header: Depth=4
	v_add_u32_e32 v10, v12, v14
	v_ashrrev_i32_e32 v11, 31, v10
	v_lshlrev_b64 v[16:17], 2, v[10:11]
	v_mov_b32_e32 v0, s17
	v_add_co_u32_e32 v16, vcc, s16, v16
	v_addc_co_u32_e32 v17, vcc, v0, v17, vcc
	global_load_dword v0, v[16:17], off
	s_or_b64 s[60:61], s[60:61], exec
	s_or_b64 s[62:63], s[62:63], exec
	s_waitcnt vmcnt(0)
	v_subrev_u32_e32 v0, s68, v0
	v_cmp_ne_u32_e32 vcc, v0, v2
	s_and_saveexec_b64 s[64:65], vcc
	s_cbranch_execz .LBB33_42
; %bb.44:                               ;   in Loop: Header=BB33_43 Depth=4
	v_add_u32_e32 v14, 1, v14
	v_cmp_ge_i32_e32 vcc, v14, v29
	s_andn2_b64 s[62:63], s[62:63], exec
	s_and_b64 s[74:75], vcc, exec
	s_andn2_b64 s[60:61], s[60:61], exec
	s_or_b64 s[62:63], s[62:63], s[74:75]
	s_branch .LBB33_42
.LBB33_45:                              ;   in Loop: Header=BB33_9 Depth=3
	s_or_b64 exec, exec, s[58:59]
	s_mov_b64 s[58:59], s[50:51]
                                        ; implicit-def: $vgpr16_vgpr17
	s_and_saveexec_b64 s[60:61], s[56:57]
	s_xor_b64 s[56:57], exec, s[60:61]
; %bb.46:                               ;   in Loop: Header=BB33_9 Depth=3
	v_lshlrev_b64 v[10:11], 3, v[10:11]
	v_mov_b32_e32 v0, s45
	v_add_co_u32_e32 v16, vcc, s44, v10
	v_addc_co_u32_e32 v17, vcc, v0, v11, vcc
	s_or_b64 s[58:59], s[50:51], exec
; %bb.47:                               ;   in Loop: Header=BB33_9 Depth=3
	s_or_b64 exec, exec, s[56:57]
	s_andn2_b64 s[56:57], s[50:51], exec
	s_and_b64 s[58:59], s[58:59], exec
	s_or_b64 s[56:57], s[56:57], s[58:59]
.LBB33_48:                              ;   in Loop: Header=BB33_9 Depth=3
	s_or_b64 exec, exec, s[54:55]
	s_andn2_b64 s[50:51], s[50:51], exec
	s_and_b64 s[54:55], s[56:57], exec
	s_or_b64 s[50:51], s[50:51], s[54:55]
.LBB33_49:                              ;   in Loop: Header=BB33_9 Depth=3
	s_or_b64 exec, exec, s[52:53]
	s_and_b64 s[50:51], s[50:51], exec
                                        ; implicit-def: $vgpr10_vgpr11
	s_andn2_saveexec_b64 s[6:7], s[6:7]
	s_cbranch_execz .LBB33_36
.LBB33_50:                              ;   in Loop: Header=BB33_9 Depth=3
	v_cmp_lt_i32_e32 vcc, v0, v25
	s_mov_b64 s[54:55], s[50:51]
                                        ; implicit-def: $vgpr16_vgpr17
	s_and_saveexec_b64 s[52:53], vcc
	s_cbranch_execz .LBB33_58
; %bb.51:                               ;   in Loop: Header=BB33_9 Depth=3
	s_mov_b64 s[56:57], 0
                                        ; implicit-def: $sgpr54_sgpr55
                                        ; implicit-def: $sgpr60_sgpr61
                                        ; implicit-def: $sgpr58_sgpr59
	s_branch .LBB33_53
.LBB33_52:                              ;   in Loop: Header=BB33_53 Depth=4
	s_or_b64 exec, exec, s[62:63]
	s_and_b64 s[62:63], exec, s[60:61]
	s_or_b64 s[56:57], s[62:63], s[56:57]
	s_andn2_b64 s[54:55], s[54:55], exec
	s_and_b64 s[62:63], s[58:59], exec
	s_or_b64 s[54:55], s[54:55], s[62:63]
	s_andn2_b64 exec, exec, s[56:57]
	s_cbranch_execz .LBB33_55
.LBB33_53:                              ;   Parent Loop BB33_3 Depth=1
                                        ;     Parent Loop BB33_5 Depth=2
                                        ;       Parent Loop BB33_9 Depth=3
                                        ; =>      This Inner Loop Header: Depth=4
	v_add_u32_e32 v12, v6, v0
	v_ashrrev_i32_e32 v13, 31, v12
	v_lshlrev_b64 v[14:15], 2, v[12:13]
	v_mov_b32_e32 v5, s25
	v_add_co_u32_e32 v14, vcc, s24, v14
	v_addc_co_u32_e32 v15, vcc, v5, v15, vcc
	global_load_dword v5, v[14:15], off
	s_or_b64 s[58:59], s[58:59], exec
	s_or_b64 s[60:61], s[60:61], exec
	s_waitcnt vmcnt(0)
	v_subrev_u32_e32 v5, s67, v5
	v_cmp_ne_u32_e32 vcc, v5, v10
	s_and_saveexec_b64 s[62:63], vcc
	s_cbranch_execz .LBB33_52
; %bb.54:                               ;   in Loop: Header=BB33_53 Depth=4
	v_add_u32_e32 v0, 1, v0
	v_cmp_ge_i32_e32 vcc, v0, v25
	s_andn2_b64 s[60:61], s[60:61], exec
	s_and_b64 s[64:65], vcc, exec
	s_andn2_b64 s[58:59], s[58:59], exec
	s_or_b64 s[60:61], s[60:61], s[64:65]
	s_branch .LBB33_52
.LBB33_55:                              ;   in Loop: Header=BB33_9 Depth=3
	s_or_b64 exec, exec, s[56:57]
	s_mov_b64 s[56:57], s[50:51]
                                        ; implicit-def: $vgpr16_vgpr17
	s_and_saveexec_b64 s[58:59], s[54:55]
	s_xor_b64 s[54:55], exec, s[58:59]
; %bb.56:                               ;   in Loop: Header=BB33_9 Depth=3
	v_lshlrev_b64 v[10:11], 3, v[12:13]
	v_mov_b32_e32 v0, s35
	v_add_co_u32_e32 v16, vcc, s34, v10
	v_addc_co_u32_e32 v17, vcc, v0, v11, vcc
	s_or_b64 s[56:57], s[50:51], exec
; %bb.57:                               ;   in Loop: Header=BB33_9 Depth=3
	s_or_b64 exec, exec, s[54:55]
	s_andn2_b64 s[54:55], s[50:51], exec
	s_and_b64 s[56:57], s[56:57], exec
	s_or_b64 s[54:55], s[54:55], s[56:57]
.LBB33_58:                              ;   in Loop: Header=BB33_9 Depth=3
	s_or_b64 exec, exec, s[52:53]
	s_andn2_b64 s[50:51], s[50:51], exec
	s_and_b64 s[52:53], s[54:55], exec
	s_or_b64 s[50:51], s[50:51], s[52:53]
	s_or_b64 exec, exec, s[6:7]
	s_and_b64 exec, exec, s[50:51]
	s_cbranch_execz .LBB33_8
.LBB33_59:                              ;   in Loop: Header=BB33_9 Depth=3
	global_store_dwordx2 v[16:17], v[8:9], off
	s_branch .LBB33_8
.LBB33_60:                              ;   in Loop: Header=BB33_3 Depth=1
	s_and_saveexec_b64 s[4:5], s[0:1]
	s_cbranch_execz .LBB33_2
; %bb.61:                               ;   in Loop: Header=BB33_3 Depth=1
	s_mov_b64 s[6:7], 0
	v_mov_b32_e32 v2, v20
	s_branch .LBB33_63
.LBB33_62:                              ;   in Loop: Header=BB33_63 Depth=2
	s_or_b64 exec, exec, s[8:9]
	v_add_u32_e32 v2, 32, v2
	v_cmp_le_u32_e32 vcc, s69, v2
	s_or_b64 s[6:7], vcc, s[6:7]
	s_andn2_b64 exec, exec, s[6:7]
	s_cbranch_execz .LBB33_2
.LBB33_63:                              ;   Parent Loop BB33_3 Depth=1
                                        ; =>  This Loop Header: Depth=2
                                        ;       Child Loop BB33_66 Depth 3
                                        ;       Child Loop BB33_69 Depth 3
	v_cmp_gt_i32_e32 vcc, s11, v2
	s_and_saveexec_b64 s[8:9], vcc
	s_cbranch_execz .LBB33_62
; %bb.64:                               ;   in Loop: Header=BB33_63 Depth=2
	v_ashrrev_i32_e32 v3, 31, v2
	v_lshlrev_b64 v[4:5], 2, v[2:3]
	v_mov_b32_e32 v0, s21
	v_add_co_u32_e32 v6, vcc, s20, v4
	v_addc_co_u32_e32 v7, vcc, v0, v5, vcc
	global_load_dword v0, v[6:7], off
	v_mov_b32_e32 v7, s23
	v_add_co_u32_e32 v6, vcc, s22, v4
	v_addc_co_u32_e32 v7, vcc, v7, v5, vcc
	global_load_dword v7, v[6:7], off
	s_waitcnt vmcnt(1)
	v_add_u32_e32 v6, v22, v0
	s_waitcnt vmcnt(0)
	v_subrev_u32_e32 v0, s67, v7
	v_cmp_lt_i32_e32 vcc, v6, v0
	s_and_saveexec_b64 s[46:47], vcc
	s_cbranch_execz .LBB33_67
; %bb.65:                               ;   in Loop: Header=BB33_63 Depth=2
	v_ashrrev_i32_e32 v7, 31, v6
	v_lshlrev_b64 v[10:11], 3, v[6:7]
	v_mov_b32_e32 v7, s35
	v_add_co_u32_e32 v8, vcc, s34, v10
	v_addc_co_u32_e32 v9, vcc, v7, v11, vcc
	v_mov_b32_e32 v7, s27
	v_add_co_u32_e32 v10, vcc, s26, v10
	v_addc_co_u32_e32 v11, vcc, v7, v11, vcc
	s_mov_b64 s[48:49], 0
.LBB33_66:                              ;   Parent Loop BB33_3 Depth=1
                                        ;     Parent Loop BB33_63 Depth=2
                                        ; =>    This Inner Loop Header: Depth=3
	global_load_dwordx2 v[12:13], v[8:9], off
	v_add_co_u32_e32 v8, vcc, 0x100, v8
	v_add_u32_e32 v6, 32, v6
	v_addc_co_u32_e32 v9, vcc, 0, v9, vcc
	v_cmp_ge_i32_e32 vcc, v6, v0
	s_or_b64 s[48:49], vcc, s[48:49]
	s_waitcnt vmcnt(0)
	global_store_dwordx2 v[10:11], v[12:13], off
	v_add_co_u32_e32 v10, vcc, 0x100, v10
	v_addc_co_u32_e32 v11, vcc, 0, v11, vcc
	s_andn2_b64 exec, exec, s[48:49]
	s_cbranch_execnz .LBB33_66
.LBB33_67:                              ;   in Loop: Header=BB33_63 Depth=2
	s_or_b64 exec, exec, s[46:47]
	v_mov_b32_e32 v0, s13
	v_add_co_u32_e32 v6, vcc, s12, v4
	v_addc_co_u32_e32 v7, vcc, v0, v5, vcc
	global_load_dword v0, v[6:7], off
	v_mov_b32_e32 v6, s15
	v_add_co_u32_e32 v4, vcc, s14, v4
	v_addc_co_u32_e32 v5, vcc, v6, v5, vcc
	global_load_dword v5, v[4:5], off
	s_waitcnt vmcnt(1)
	v_add_u32_e32 v4, v23, v0
	s_waitcnt vmcnt(0)
	v_subrev_u32_e32 v0, s68, v5
	v_cmp_lt_i32_e32 vcc, v4, v0
	s_and_saveexec_b64 s[46:47], vcc
	s_cbranch_execz .LBB33_70
; %bb.68:                               ;   in Loop: Header=BB33_63 Depth=2
	v_ashrrev_i32_e32 v5, 31, v4
	v_lshlrev_b64 v[8:9], 3, v[4:5]
	v_mov_b32_e32 v5, s45
	v_add_co_u32_e32 v6, vcc, s44, v8
	v_addc_co_u32_e32 v7, vcc, v5, v9, vcc
	v_mov_b32_e32 v5, s19
	v_add_co_u32_e32 v8, vcc, s18, v8
	v_addc_co_u32_e32 v9, vcc, v5, v9, vcc
	s_mov_b64 s[48:49], 0
.LBB33_69:                              ;   Parent Loop BB33_3 Depth=1
                                        ;     Parent Loop BB33_63 Depth=2
                                        ; =>    This Inner Loop Header: Depth=3
	global_load_dwordx2 v[10:11], v[6:7], off
	v_add_co_u32_e32 v6, vcc, 0x100, v6
	v_add_u32_e32 v4, 32, v4
	v_addc_co_u32_e32 v7, vcc, 0, v7, vcc
	v_cmp_ge_i32_e32 vcc, v4, v0
	s_or_b64 s[48:49], vcc, s[48:49]
	s_waitcnt vmcnt(0)
	global_store_dwordx2 v[8:9], v[10:11], off
	v_add_co_u32_e32 v8, vcc, 0x100, v8
	v_addc_co_u32_e32 v9, vcc, 0, v9, vcc
	s_andn2_b64 exec, exec, s[48:49]
	s_cbranch_execnz .LBB33_69
.LBB33_70:                              ;   in Loop: Header=BB33_63 Depth=2
	s_or_b64 exec, exec, s[46:47]
	s_and_b64 exec, exec, s[2:3]
	s_cbranch_execz .LBB33_62
; %bb.71:                               ;   in Loop: Header=BB33_63 Depth=2
	v_lshlrev_b64 v[4:5], 3, v[2:3]
	v_mov_b32_e32 v0, s31
	v_add_co_u32_e32 v6, vcc, s30, v4
	v_addc_co_u32_e32 v7, vcc, v0, v5, vcc
	global_load_dwordx2 v[6:7], v[6:7], off
	v_mov_b32_e32 v0, s29
	v_add_co_u32_e32 v4, vcc, s28, v4
	v_addc_co_u32_e32 v5, vcc, v0, v5, vcc
	s_waitcnt vmcnt(0)
	global_store_dwordx2 v[4:5], v[6:7], off
	s_branch .LBB33_62
.LBB33_72:
	s_endpgm
	.section	.rodata,"a",@progbits
	.p2align	6, 0x0
	.amdhsa_kernel _ZN9rocsparseL14kernel_freerunILi1024ELi32E21rocsparse_complex_numIfEiiEEvT3_S3_T2_PKS4_S6_PKS3_PKT1_21rocsparse_index_base_S6_S6_S8_PS9_SD_SC_S6_S6_S8_SD_SD_SC_SD_SD_
		.amdhsa_group_segment_fixed_size 0
		.amdhsa_private_segment_fixed_size 0
		.amdhsa_kernarg_size 168
		.amdhsa_user_sgpr_count 6
		.amdhsa_user_sgpr_private_segment_buffer 1
		.amdhsa_user_sgpr_dispatch_ptr 0
		.amdhsa_user_sgpr_queue_ptr 0
		.amdhsa_user_sgpr_kernarg_segment_ptr 1
		.amdhsa_user_sgpr_dispatch_id 0
		.amdhsa_user_sgpr_flat_scratch_init 0
		.amdhsa_user_sgpr_kernarg_preload_length 0
		.amdhsa_user_sgpr_kernarg_preload_offset 0
		.amdhsa_user_sgpr_private_segment_size 0
		.amdhsa_uses_dynamic_stack 0
		.amdhsa_system_sgpr_private_segment_wavefront_offset 0
		.amdhsa_system_sgpr_workgroup_id_x 1
		.amdhsa_system_sgpr_workgroup_id_y 0
		.amdhsa_system_sgpr_workgroup_id_z 0
		.amdhsa_system_sgpr_workgroup_info 0
		.amdhsa_system_vgpr_workitem_id 0
		.amdhsa_next_free_vgpr 36
		.amdhsa_next_free_sgpr 76
		.amdhsa_accum_offset 36
		.amdhsa_reserve_vcc 1
		.amdhsa_reserve_flat_scratch 0
		.amdhsa_float_round_mode_32 0
		.amdhsa_float_round_mode_16_64 0
		.amdhsa_float_denorm_mode_32 3
		.amdhsa_float_denorm_mode_16_64 3
		.amdhsa_dx10_clamp 1
		.amdhsa_ieee_mode 1
		.amdhsa_fp16_overflow 0
		.amdhsa_tg_split 0
		.amdhsa_exception_fp_ieee_invalid_op 0
		.amdhsa_exception_fp_denorm_src 0
		.amdhsa_exception_fp_ieee_div_zero 0
		.amdhsa_exception_fp_ieee_overflow 0
		.amdhsa_exception_fp_ieee_underflow 0
		.amdhsa_exception_fp_ieee_inexact 0
		.amdhsa_exception_int_div_zero 0
	.end_amdhsa_kernel
	.section	.text._ZN9rocsparseL14kernel_freerunILi1024ELi32E21rocsparse_complex_numIfEiiEEvT3_S3_T2_PKS4_S6_PKS3_PKT1_21rocsparse_index_base_S6_S6_S8_PS9_SD_SC_S6_S6_S8_SD_SD_SC_SD_SD_,"axG",@progbits,_ZN9rocsparseL14kernel_freerunILi1024ELi32E21rocsparse_complex_numIfEiiEEvT3_S3_T2_PKS4_S6_PKS3_PKT1_21rocsparse_index_base_S6_S6_S8_PS9_SD_SC_S6_S6_S8_SD_SD_SC_SD_SD_,comdat
.Lfunc_end33:
	.size	_ZN9rocsparseL14kernel_freerunILi1024ELi32E21rocsparse_complex_numIfEiiEEvT3_S3_T2_PKS4_S6_PKS3_PKT1_21rocsparse_index_base_S6_S6_S8_PS9_SD_SC_S6_S6_S8_SD_SD_SC_SD_SD_, .Lfunc_end33-_ZN9rocsparseL14kernel_freerunILi1024ELi32E21rocsparse_complex_numIfEiiEEvT3_S3_T2_PKS4_S6_PKS3_PKT1_21rocsparse_index_base_S6_S6_S8_PS9_SD_SC_S6_S6_S8_SD_SD_SC_SD_SD_
                                        ; -- End function
	.section	.AMDGPU.csdata,"",@progbits
; Kernel info:
; codeLenInByte = 3120
; NumSgprs: 80
; NumVgprs: 36
; NumAgprs: 0
; TotalNumVgprs: 36
; ScratchSize: 0
; MemoryBound: 0
; FloatMode: 240
; IeeeMode: 1
; LDSByteSize: 0 bytes/workgroup (compile time only)
; SGPRBlocks: 9
; VGPRBlocks: 4
; NumSGPRsForWavesPerEU: 80
; NumVGPRsForWavesPerEU: 36
; AccumOffset: 36
; Occupancy: 8
; WaveLimiterHint : 1
; COMPUTE_PGM_RSRC2:SCRATCH_EN: 0
; COMPUTE_PGM_RSRC2:USER_SGPR: 6
; COMPUTE_PGM_RSRC2:TRAP_HANDLER: 0
; COMPUTE_PGM_RSRC2:TGID_X_EN: 1
; COMPUTE_PGM_RSRC2:TGID_Y_EN: 0
; COMPUTE_PGM_RSRC2:TGID_Z_EN: 0
; COMPUTE_PGM_RSRC2:TIDIG_COMP_CNT: 0
; COMPUTE_PGM_RSRC3_GFX90A:ACCUM_OFFSET: 8
; COMPUTE_PGM_RSRC3_GFX90A:TG_SPLIT: 0
	.section	.text._ZN9rocsparseL14kernel_freerunILi1024ELi64E21rocsparse_complex_numIfEiiEEvT3_S3_T2_PKS4_S6_PKS3_PKT1_21rocsparse_index_base_S6_S6_S8_PS9_SD_SC_S6_S6_S8_SD_SD_SC_SD_SD_,"axG",@progbits,_ZN9rocsparseL14kernel_freerunILi1024ELi64E21rocsparse_complex_numIfEiiEEvT3_S3_T2_PKS4_S6_PKS3_PKT1_21rocsparse_index_base_S6_S6_S8_PS9_SD_SC_S6_S6_S8_SD_SD_SC_SD_SD_,comdat
	.globl	_ZN9rocsparseL14kernel_freerunILi1024ELi64E21rocsparse_complex_numIfEiiEEvT3_S3_T2_PKS4_S6_PKS3_PKT1_21rocsparse_index_base_S6_S6_S8_PS9_SD_SC_S6_S6_S8_SD_SD_SC_SD_SD_ ; -- Begin function _ZN9rocsparseL14kernel_freerunILi1024ELi64E21rocsparse_complex_numIfEiiEEvT3_S3_T2_PKS4_S6_PKS3_PKT1_21rocsparse_index_base_S6_S6_S8_PS9_SD_SC_S6_S6_S8_SD_SD_SC_SD_SD_
	.p2align	8
	.type	_ZN9rocsparseL14kernel_freerunILi1024ELi64E21rocsparse_complex_numIfEiiEEvT3_S3_T2_PKS4_S6_PKS3_PKT1_21rocsparse_index_base_S6_S6_S8_PS9_SD_SC_S6_S6_S8_SD_SD_SC_SD_SD_,@function
_ZN9rocsparseL14kernel_freerunILi1024ELi64E21rocsparse_complex_numIfEiiEEvT3_S3_T2_PKS4_S6_PKS3_PKT1_21rocsparse_index_base_S6_S6_S8_PS9_SD_SC_S6_S6_S8_SD_SD_SC_SD_SD_: ; @_ZN9rocsparseL14kernel_freerunILi1024ELi64E21rocsparse_complex_numIfEiiEEvT3_S3_T2_PKS4_S6_PKS3_PKT1_21rocsparse_index_base_S6_S6_S8_PS9_SD_SC_S6_S6_S8_SD_SD_SC_SD_SD_
; %bb.0:
	s_load_dwordx2 s[10:11], s[4:5], 0x0
	v_lshrrev_b32_e32 v1, 6, v0
	s_lshl_b32 s69, s6, 10
	v_or_b32_e32 v20, s69, v1
	s_mov_b32 s33, 0
	s_waitcnt lgkmcnt(0)
	s_cmp_gt_i32 s10, 0
	v_cmp_gt_i32_e32 vcc, s11, v20
	s_cselect_b64 s[0:1], -1, 0
	s_and_b64 s[0:1], vcc, s[0:1]
	s_and_saveexec_b64 s[2:3], s[0:1]
	s_cbranch_execz .LBB34_72
; %bb.1:
	s_load_dwordx4 s[28:31], s[4:5], 0x98
	s_load_dwordx8 s[12:19], s[4:5], 0x68
	s_load_dwordx8 s[20:27], s[4:5], 0x38
	;; [unrolled: 1-line block ×3, first 2 shown]
	s_load_dword s66, s[4:5], 0x30
	s_load_dwordx2 s[34:35], s[4:5], 0x58
	s_load_dword s67, s[4:5], 0x60
	s_load_dwordx2 s[44:45], s[4:5], 0x88
	s_load_dword s68, s[4:5], 0x90
	v_and_b32_e32 v0, 63, v0
	s_addk_i32 s69, 0x400
	s_waitcnt lgkmcnt(0)
	v_subrev_u32_e32 v21, s66, v0
	v_cmp_gt_u32_e64 s[0:1], s69, v20
	v_subrev_u32_e32 v22, s67, v0
	v_subrev_u32_e32 v23, s68, v0
	v_cmp_eq_u32_e64 s[2:3], 0, v0
	s_mov_b32 s70, 0xf800000
	v_mov_b32_e32 v24, 0x260
	s_movk_i32 s71, 0x1f8
	v_mov_b32_e32 v1, 0
	s_branch .LBB34_3
.LBB34_2:                               ;   in Loop: Header=BB34_3 Depth=1
	s_or_b64 exec, exec, s[4:5]
	s_add_i32 s33, s33, 1
	s_cmp_eq_u32 s33, s10
	s_cbranch_scc1 .LBB34_72
.LBB34_3:                               ; =>This Loop Header: Depth=1
                                        ;     Child Loop BB34_5 Depth 2
                                        ;       Child Loop BB34_9 Depth 3
                                        ;         Child Loop BB34_13 Depth 4
                                        ;         Child Loop BB34_43 Depth 4
                                        ;         Child Loop BB34_53 Depth 4
                                        ;     Child Loop BB34_63 Depth 2
                                        ;       Child Loop BB34_66 Depth 3
                                        ;       Child Loop BB34_69 Depth 3
	s_mov_b32 s72, 0
	s_branch .LBB34_5
.LBB34_4:                               ;   in Loop: Header=BB34_5 Depth=2
	s_or_b64 exec, exec, s[46:47]
	s_add_i32 s72, s72, 1
	s_cmp_eq_u32 s72, 64
	s_cbranch_scc1 .LBB34_60
.LBB34_5:                               ;   Parent Loop BB34_3 Depth=1
                                        ; =>  This Loop Header: Depth=2
                                        ;       Child Loop BB34_9 Depth 3
                                        ;         Child Loop BB34_13 Depth 4
                                        ;         Child Loop BB34_43 Depth 4
	;; [unrolled: 1-line block ×3, first 2 shown]
	v_lshl_add_u32 v2, s72, 4, v20
	v_cmp_gt_i32_e32 vcc, s11, v2
	s_and_saveexec_b64 s[46:47], vcc
	s_cbranch_execz .LBB34_4
; %bb.6:                                ;   in Loop: Header=BB34_5 Depth=2
	v_ashrrev_i32_e32 v3, 31, v2
	v_lshlrev_b64 v[6:7], 2, v[2:3]
	v_mov_b32_e32 v0, s37
	v_add_co_u32_e32 v4, vcc, s36, v6
	v_addc_co_u32_e32 v5, vcc, v0, v7, vcc
	global_load_dword v0, v[4:5], off
	v_mov_b32_e32 v3, s39
	v_add_co_u32_e32 v4, vcc, s38, v6
	v_addc_co_u32_e32 v5, vcc, v3, v7, vcc
	global_load_dword v3, v[4:5], off
	s_waitcnt vmcnt(1)
	v_add_u32_e32 v4, v21, v0
	s_waitcnt vmcnt(0)
	v_subrev_u32_e32 v3, s66, v3
	v_cmp_lt_i32_e32 vcc, v4, v3
	s_and_b64 exec, exec, vcc
	s_cbranch_execz .LBB34_4
; %bb.7:                                ;   in Loop: Header=BB34_5 Depth=2
	v_mov_b32_e32 v0, s23
	v_add_co_u32_e32 v8, vcc, s22, v6
	v_addc_co_u32_e32 v9, vcc, v0, v7, vcc
	v_mov_b32_e32 v0, s21
	v_add_co_u32_e32 v6, vcc, s20, v6
	v_addc_co_u32_e32 v7, vcc, v0, v7, vcc
	global_load_dword v0, v[6:7], off
	global_load_dword v5, v[8:9], off
	v_mov_b32_e32 v12, s25
	v_mov_b32_e32 v13, s27
	s_mov_b64 s[48:49], 0
	s_waitcnt vmcnt(1)
	v_subrev_u32_e32 v6, s67, v0
	v_ashrrev_i32_e32 v7, 31, v6
	v_lshlrev_b64 v[8:9], 2, v[6:7]
	v_lshlrev_b64 v[10:11], 3, v[6:7]
	v_add_co_u32_e32 v7, vcc, s24, v8
	v_addc_co_u32_e32 v26, vcc, v12, v9, vcc
	s_waitcnt vmcnt(0)
	v_sub_u32_e32 v25, v5, v0
	v_add_co_u32_e32 v27, vcc, s26, v10
	v_cmp_lt_i32_e64 s[4:5], 0, v25
	v_addc_co_u32_e32 v28, vcc, v13, v11, vcc
	s_branch .LBB34_9
.LBB34_8:                               ;   in Loop: Header=BB34_9 Depth=3
	s_or_b64 exec, exec, s[8:9]
	v_add_u32_e32 v4, 64, v4
	v_cmp_ge_i32_e32 vcc, v4, v3
	s_or_b64 s[48:49], vcc, s[48:49]
	s_andn2_b64 exec, exec, s[48:49]
	s_cbranch_execz .LBB34_4
.LBB34_9:                               ;   Parent Loop BB34_3 Depth=1
                                        ;     Parent Loop BB34_5 Depth=2
                                        ; =>    This Loop Header: Depth=3
                                        ;         Child Loop BB34_13 Depth 4
                                        ;         Child Loop BB34_43 Depth 4
                                        ;         Child Loop BB34_53 Depth 4
	v_ashrrev_i32_e32 v5, 31, v4
	v_lshlrev_b64 v[8:9], 2, v[4:5]
	v_mov_b32_e32 v0, s41
	v_add_co_u32_e32 v8, vcc, s40, v8
	v_addc_co_u32_e32 v9, vcc, v0, v9, vcc
	global_load_dword v0, v[8:9], off
	v_mov_b32_e32 v13, s13
	v_mov_b32_e32 v14, s15
	s_waitcnt vmcnt(0)
	v_subrev_u32_e32 v10, s66, v0
	v_ashrrev_i32_e32 v11, 31, v10
	v_lshlrev_b64 v[8:9], 2, v[10:11]
	v_add_co_u32_e32 v12, vcc, s12, v8
	v_addc_co_u32_e32 v13, vcc, v13, v9, vcc
	v_add_co_u32_e32 v8, vcc, s14, v8
	v_addc_co_u32_e32 v9, vcc, v14, v9, vcc
	global_load_dword v13, v[12:13], off
	s_nop 0
	global_load_dword v14, v[8:9], off
	v_mov_b32_e32 v9, 0
	v_mov_b32_e32 v0, 0
	;; [unrolled: 1-line block ×3, first 2 shown]
	s_waitcnt vmcnt(1)
	v_subrev_u32_e32 v12, s68, v13
	s_waitcnt vmcnt(0)
	v_sub_u32_e32 v29, v14, v13
	v_mov_b32_e32 v14, 0
	s_and_saveexec_b64 s[6:7], s[4:5]
	s_cbranch_execz .LBB34_17
; %bb.10:                               ;   in Loop: Header=BB34_9 Depth=3
	v_ashrrev_i32_e32 v13, 31, v12
	v_lshlrev_b64 v[8:9], 2, v[12:13]
	v_mov_b32_e32 v0, s17
	v_add_co_u32_e32 v16, vcc, s16, v8
	v_addc_co_u32_e32 v17, vcc, v0, v9, vcc
	v_lshlrev_b64 v[8:9], 3, v[12:13]
	v_mov_b32_e32 v0, s19
	v_add_co_u32_e32 v13, vcc, s18, v8
	v_mov_b32_e32 v14, 0
	v_mov_b32_e32 v8, 0
	v_addc_co_u32_e32 v18, vcc, v0, v9, vcc
	s_mov_b64 s[8:9], 0
	v_mov_b32_e32 v0, v14
	v_mov_b32_e32 v9, v8
                                        ; implicit-def: $sgpr50_sgpr51
	s_branch .LBB34_13
.LBB34_11:                              ;   in Loop: Header=BB34_13 Depth=4
	s_or_b64 exec, exec, s[54:55]
	v_cmp_le_i32_e32 vcc, v19, v30
	v_addc_co_u32_e32 v0, vcc, 0, v0, vcc
	v_cmp_ge_i32_e32 vcc, v19, v30
	v_addc_co_u32_e32 v14, vcc, 0, v14, vcc
	v_cmp_ge_i32_e32 vcc, v0, v25
	s_andn2_b64 s[50:51], s[50:51], exec
	s_and_b64 s[54:55], vcc, exec
	s_or_b64 s[50:51], s[50:51], s[54:55]
.LBB34_12:                              ;   in Loop: Header=BB34_13 Depth=4
	s_or_b64 exec, exec, s[52:53]
	s_and_b64 s[52:53], exec, s[50:51]
	s_or_b64 s[8:9], s[52:53], s[8:9]
	s_andn2_b64 exec, exec, s[8:9]
	s_cbranch_execz .LBB34_16
.LBB34_13:                              ;   Parent Loop BB34_3 Depth=1
                                        ;     Parent Loop BB34_5 Depth=2
                                        ;       Parent Loop BB34_9 Depth=3
                                        ; =>      This Inner Loop Header: Depth=4
	v_cmp_lt_i32_e32 vcc, v14, v29
	s_or_b64 s[50:51], s[50:51], exec
	s_and_saveexec_b64 s[52:53], vcc
	s_cbranch_execz .LBB34_12
; %bb.14:                               ;   in Loop: Header=BB34_13 Depth=4
	v_lshlrev_b64 v[30:31], 2, v[0:1]
	v_add_co_u32_e32 v30, vcc, v7, v30
	v_addc_co_u32_e32 v31, vcc, v26, v31, vcc
	v_mov_b32_e32 v15, v1
	global_load_dword v19, v[30:31], off
	v_lshlrev_b64 v[30:31], 2, v[14:15]
	v_add_co_u32_e32 v30, vcc, v16, v30
	v_addc_co_u32_e32 v31, vcc, v17, v31, vcc
	global_load_dword v30, v[30:31], off
	s_waitcnt vmcnt(1)
	v_subrev_u32_e32 v19, s67, v19
	s_waitcnt vmcnt(0)
	v_subrev_u32_e32 v30, s68, v30
	v_cmp_eq_u32_e32 vcc, v19, v30
	s_and_saveexec_b64 s[54:55], vcc
	s_cbranch_execz .LBB34_11
; %bb.15:                               ;   in Loop: Header=BB34_13 Depth=4
	v_lshlrev_b64 v[32:33], 3, v[0:1]
	v_add_co_u32_e32 v32, vcc, v27, v32
	v_addc_co_u32_e32 v33, vcc, v28, v33, vcc
	v_lshlrev_b64 v[34:35], 3, v[14:15]
	v_add_co_u32_e32 v34, vcc, v13, v34
	v_addc_co_u32_e32 v35, vcc, v18, v35, vcc
	global_load_dwordx2 v[34:35], v[34:35], off
	s_nop 0
	global_load_dwordx2 v[32:33], v[32:33], off
	s_waitcnt vmcnt(0)
	v_pk_fma_f32 v[8:9], v[32:33], v[34:35], v[8:9] op_sel_hi:[1,0,1]
	v_pk_fma_f32 v[8:9], v[32:33], v[34:35], v[8:9] op_sel:[1,1,0] op_sel_hi:[0,1,1] neg_lo:[1,0,0]
	s_branch .LBB34_11
.LBB34_16:                              ;   in Loop: Header=BB34_9 Depth=3
	s_or_b64 exec, exec, s[8:9]
.LBB34_17:                              ;   in Loop: Header=BB34_9 Depth=3
	s_or_b64 exec, exec, s[6:7]
	v_lshlrev_b64 v[16:17], 3, v[4:5]
	v_mov_b32_e32 v5, s43
	v_add_co_u32_e32 v16, vcc, s42, v16
	v_addc_co_u32_e32 v17, vcc, v5, v17, vcc
	global_load_dwordx2 v[16:17], v[16:17], off
	v_cmp_le_i32_e64 s[6:7], v2, v10
	v_cmp_gt_i32_e32 vcc, v2, v10
	s_waitcnt vmcnt(0)
	v_pk_add_f32 v[8:9], v[16:17], v[8:9] neg_lo:[0,1] neg_hi:[0,1]
	s_and_saveexec_b64 s[50:51], vcc
	s_cbranch_execz .LBB34_27
; %bb.18:                               ;   in Loop: Header=BB34_9 Depth=3
	v_lshlrev_b64 v[16:17], 3, v[10:11]
	v_mov_b32_e32 v5, s29
	v_add_co_u32_e32 v16, vcc, s28, v16
	v_addc_co_u32_e32 v17, vcc, v5, v17, vcc
	global_load_dwordx2 v[16:17], v[16:17], off
                                        ; implicit-def: $vgpr15
	s_waitcnt vmcnt(0)
	v_cmp_gt_f32_e32 vcc, 0, v16
	v_cndmask_b32_e64 v5, v16, -v16, vcc
	v_cmp_gt_f32_e32 vcc, 0, v17
	v_cndmask_b32_e64 v13, v17, -v17, vcc
	v_cmp_ngt_f32_e32 vcc, v5, v13
	s_and_saveexec_b64 s[8:9], vcc
	s_xor_b64 s[52:53], exec, s[8:9]
	s_cbranch_execz .LBB34_22
; %bb.19:                               ;   in Loop: Header=BB34_9 Depth=3
	v_cmp_neq_f32_e32 vcc, 0, v17
	v_mov_b32_e32 v15, 0
	s_and_saveexec_b64 s[54:55], vcc
	s_cbranch_execz .LBB34_21
; %bb.20:                               ;   in Loop: Header=BB34_9 Depth=3
	v_div_scale_f32 v15, s[8:9], v13, v13, v5
	v_rcp_f32_e32 v18, v15
	v_div_scale_f32 v19, vcc, v5, v13, v5
	v_fma_f32 v30, -v15, v18, 1.0
	v_fmac_f32_e32 v18, v30, v18
	v_mul_f32_e32 v30, v19, v18
	v_fma_f32 v31, -v15, v30, v19
	v_fmac_f32_e32 v30, v31, v18
	v_fma_f32 v15, -v15, v30, v19
	v_div_fmas_f32 v15, v15, v18, v30
	v_div_fixup_f32 v5, v15, v13, v5
	v_fma_f32 v5, v5, v5, 1.0
	v_mul_f32_e32 v15, 0x4f800000, v5
	v_cmp_gt_f32_e32 vcc, s70, v5
	v_cndmask_b32_e32 v5, v5, v15, vcc
	v_sqrt_f32_e32 v15, v5
	v_add_u32_e32 v18, -1, v15
	v_fma_f32 v19, -v18, v15, v5
	v_cmp_ge_f32_e64 s[8:9], 0, v19
	v_add_u32_e32 v19, 1, v15
	v_cndmask_b32_e64 v18, v15, v18, s[8:9]
	v_fma_f32 v15, -v19, v15, v5
	v_cmp_lt_f32_e64 s[8:9], 0, v15
	v_cndmask_b32_e64 v15, v18, v19, s[8:9]
	v_mul_f32_e32 v18, 0x37800000, v15
	v_cndmask_b32_e32 v15, v15, v18, vcc
	v_cmp_class_f32_e32 vcc, v5, v24
	v_cndmask_b32_e32 v5, v15, v5, vcc
	v_mul_f32_e32 v15, v13, v5
.LBB34_21:                              ;   in Loop: Header=BB34_9 Depth=3
	s_or_b64 exec, exec, s[54:55]
                                        ; implicit-def: $vgpr5
                                        ; implicit-def: $vgpr13
.LBB34_22:                              ;   in Loop: Header=BB34_9 Depth=3
	s_andn2_saveexec_b64 s[52:53], s[52:53]
	s_cbranch_execz .LBB34_24
; %bb.23:                               ;   in Loop: Header=BB34_9 Depth=3
	v_div_scale_f32 v15, s[8:9], v5, v5, v13
	v_rcp_f32_e32 v18, v15
	v_div_scale_f32 v19, vcc, v13, v5, v13
	v_fma_f32 v30, -v15, v18, 1.0
	v_fmac_f32_e32 v18, v30, v18
	v_mul_f32_e32 v30, v19, v18
	v_fma_f32 v31, -v15, v30, v19
	v_fmac_f32_e32 v30, v31, v18
	v_fma_f32 v15, -v15, v30, v19
	v_div_fmas_f32 v15, v15, v18, v30
	v_div_fixup_f32 v13, v15, v5, v13
	v_fma_f32 v13, v13, v13, 1.0
	v_mul_f32_e32 v15, 0x4f800000, v13
	v_cmp_gt_f32_e32 vcc, s70, v13
	v_cndmask_b32_e32 v13, v13, v15, vcc
	v_sqrt_f32_e32 v15, v13
	v_add_u32_e32 v18, -1, v15
	v_fma_f32 v19, -v18, v15, v13
	v_cmp_ge_f32_e64 s[8:9], 0, v19
	v_add_u32_e32 v19, 1, v15
	v_cndmask_b32_e64 v18, v15, v18, s[8:9]
	v_fma_f32 v15, -v19, v15, v13
	v_cmp_lt_f32_e64 s[8:9], 0, v15
	v_cndmask_b32_e64 v15, v18, v19, s[8:9]
	v_mul_f32_e32 v18, 0x37800000, v15
	v_cndmask_b32_e32 v15, v15, v18, vcc
	v_cmp_class_f32_e32 vcc, v13, v24
	v_cndmask_b32_e32 v13, v15, v13, vcc
	v_mul_f32_e32 v15, v5, v13
.LBB34_24:                              ;   in Loop: Header=BB34_9 Depth=3
	s_or_b64 exec, exec, s[52:53]
	v_cmp_lt_f32_e32 vcc, 0, v15
	v_mov_b32_e32 v19, 0
	v_mov_b32_e32 v18, 0
	s_and_saveexec_b64 s[8:9], vcc
	s_cbranch_execz .LBB34_26
; %bb.25:                               ;   in Loop: Header=BB34_9 Depth=3
	v_mul_f32_e32 v5, v17, v17
	v_fmac_f32_e32 v5, v16, v16
	v_div_scale_f32 v13, s[52:53], v5, v5, 1.0
	v_rcp_f32_e32 v15, v13
	v_div_scale_f32 v18, vcc, 1.0, v5, 1.0
	v_xor_b32_e32 v31, 0x80000000, v8
	v_fma_f32 v19, -v13, v15, 1.0
	v_fmac_f32_e32 v15, v19, v15
	v_mul_f32_e32 v19, v18, v15
	v_fma_f32 v30, -v13, v19, v18
	v_fmac_f32_e32 v19, v30, v15
	v_fma_f32 v13, -v13, v19, v18
	v_mov_b32_e32 v30, v9
	v_div_fmas_f32 v13, v13, v15, v19
	v_pk_mul_f32 v[30:31], v[30:31], v[16:17] op_sel:[0,1]
	v_div_fixup_f32 v18, v13, v5, 1.0
	v_pk_fma_f32 v[8:9], v[8:9], v[16:17], v[30:31] op_sel_hi:[1,0,1]
	v_pk_mul_f32 v[18:19], v[8:9], v[18:19] op_sel_hi:[1,0]
.LBB34_26:                              ;   in Loop: Header=BB34_9 Depth=3
	s_or_b64 exec, exec, s[8:9]
	v_mov_b32_e32 v9, v19
	v_mov_b32_e32 v8, v18
.LBB34_27:                              ;   in Loop: Header=BB34_9 Depth=3
	s_or_b64 exec, exec, s[50:51]
	v_cmp_gt_f32_e32 vcc, 0, v8
	v_cndmask_b32_e64 v5, v8, -v8, vcc
	v_cmp_gt_f32_e32 vcc, 0, v9
	v_cndmask_b32_e64 v13, v9, -v9, vcc
	v_cmp_ngt_f32_e32 vcc, v5, v13
                                        ; implicit-def: $vgpr15
	s_and_saveexec_b64 s[8:9], vcc
	s_xor_b64 s[50:51], exec, s[8:9]
	s_cbranch_execnz .LBB34_30
; %bb.28:                               ;   in Loop: Header=BB34_9 Depth=3
	s_andn2_saveexec_b64 s[50:51], s[50:51]
	s_cbranch_execnz .LBB34_33
.LBB34_29:                              ;   in Loop: Header=BB34_9 Depth=3
	s_or_b64 exec, exec, s[50:51]
	v_cmp_class_f32_e64 s[50:51], v15, s71
	s_and_saveexec_b64 s[8:9], s[50:51]
	s_cbranch_execz .LBB34_8
	s_branch .LBB34_34
.LBB34_30:                              ;   in Loop: Header=BB34_9 Depth=3
	v_cmp_neq_f32_e32 vcc, 0, v9
	v_mov_b32_e32 v15, 0
	s_and_saveexec_b64 s[52:53], vcc
	s_cbranch_execz .LBB34_32
; %bb.31:                               ;   in Loop: Header=BB34_9 Depth=3
	v_div_scale_f32 v15, s[8:9], v13, v13, v5
	v_rcp_f32_e32 v16, v15
	v_div_scale_f32 v17, vcc, v5, v13, v5
	v_fma_f32 v18, -v15, v16, 1.0
	v_fmac_f32_e32 v16, v18, v16
	v_mul_f32_e32 v18, v17, v16
	v_fma_f32 v19, -v15, v18, v17
	v_fmac_f32_e32 v18, v19, v16
	v_fma_f32 v15, -v15, v18, v17
	v_div_fmas_f32 v15, v15, v16, v18
	v_div_fixup_f32 v5, v15, v13, v5
	v_fma_f32 v5, v5, v5, 1.0
	v_mul_f32_e32 v15, 0x4f800000, v5
	v_cmp_gt_f32_e32 vcc, s70, v5
	v_cndmask_b32_e32 v5, v5, v15, vcc
	v_sqrt_f32_e32 v15, v5
	v_add_u32_e32 v16, -1, v15
	v_fma_f32 v17, -v16, v15, v5
	v_cmp_ge_f32_e64 s[8:9], 0, v17
	v_add_u32_e32 v17, 1, v15
	v_cndmask_b32_e64 v16, v15, v16, s[8:9]
	v_fma_f32 v15, -v17, v15, v5
	v_cmp_lt_f32_e64 s[8:9], 0, v15
	v_cndmask_b32_e64 v15, v16, v17, s[8:9]
	v_mul_f32_e32 v16, 0x37800000, v15
	v_cndmask_b32_e32 v15, v15, v16, vcc
	v_cmp_class_f32_e32 vcc, v5, v24
	v_cndmask_b32_e32 v5, v15, v5, vcc
	v_mul_f32_e32 v15, v13, v5
.LBB34_32:                              ;   in Loop: Header=BB34_9 Depth=3
	s_or_b64 exec, exec, s[52:53]
                                        ; implicit-def: $vgpr5
                                        ; implicit-def: $vgpr13
	s_andn2_saveexec_b64 s[50:51], s[50:51]
	s_cbranch_execz .LBB34_29
.LBB34_33:                              ;   in Loop: Header=BB34_9 Depth=3
	v_div_scale_f32 v15, s[8:9], v5, v5, v13
	v_rcp_f32_e32 v16, v15
	v_div_scale_f32 v17, vcc, v13, v5, v13
	v_fma_f32 v18, -v15, v16, 1.0
	v_fmac_f32_e32 v16, v18, v16
	v_mul_f32_e32 v18, v17, v16
	v_fma_f32 v19, -v15, v18, v17
	v_fmac_f32_e32 v18, v19, v16
	v_fma_f32 v15, -v15, v18, v17
	v_div_fmas_f32 v15, v15, v16, v18
	v_div_fixup_f32 v13, v15, v5, v13
	v_fma_f32 v13, v13, v13, 1.0
	v_mul_f32_e32 v15, 0x4f800000, v13
	v_cmp_gt_f32_e32 vcc, s70, v13
	v_cndmask_b32_e32 v13, v13, v15, vcc
	v_sqrt_f32_e32 v15, v13
	v_add_u32_e32 v16, -1, v15
	v_fma_f32 v17, -v16, v15, v13
	v_cmp_ge_f32_e64 s[8:9], 0, v17
	v_add_u32_e32 v17, 1, v15
	v_cndmask_b32_e64 v16, v15, v16, s[8:9]
	v_fma_f32 v15, -v17, v15, v13
	v_cmp_lt_f32_e64 s[8:9], 0, v15
	v_cndmask_b32_e64 v15, v16, v17, s[8:9]
	v_mul_f32_e32 v16, 0x37800000, v15
	v_cndmask_b32_e32 v15, v15, v16, vcc
	v_cmp_class_f32_e32 vcc, v13, v24
	v_cndmask_b32_e32 v13, v15, v13, vcc
	v_mul_f32_e32 v15, v5, v13
	s_or_b64 exec, exec, s[50:51]
	v_cmp_class_f32_e64 s[50:51], v15, s71
	s_and_saveexec_b64 s[8:9], s[50:51]
	s_cbranch_execz .LBB34_8
.LBB34_34:                              ;   in Loop: Header=BB34_9 Depth=3
	s_mov_b64 s[50:51], 0
                                        ; implicit-def: $vgpr16_vgpr17
	s_and_saveexec_b64 s[52:53], s[6:7]
	s_xor_b64 s[6:7], exec, s[52:53]
	s_cbranch_execnz .LBB34_37
; %bb.35:                               ;   in Loop: Header=BB34_9 Depth=3
	s_andn2_saveexec_b64 s[6:7], s[6:7]
	s_cbranch_execnz .LBB34_50
.LBB34_36:                              ;   in Loop: Header=BB34_9 Depth=3
	s_or_b64 exec, exec, s[6:7]
	s_and_b64 exec, exec, s[50:51]
	s_cbranch_execz .LBB34_8
	s_branch .LBB34_59
.LBB34_37:                              ;   in Loop: Header=BB34_9 Depth=3
	v_cmp_ge_i32_e32 vcc, v2, v10
                                        ; implicit-def: $vgpr16_vgpr17
	s_and_saveexec_b64 s[52:53], vcc
	s_xor_b64 s[52:53], exec, s[52:53]
; %bb.38:                               ;   in Loop: Header=BB34_9 Depth=3
	v_lshlrev_b64 v[10:11], 3, v[10:11]
	v_mov_b32_e32 v0, s31
	v_add_co_u32_e32 v16, vcc, s30, v10
	s_mov_b64 s[50:51], exec
	v_addc_co_u32_e32 v17, vcc, v0, v11, vcc
                                        ; implicit-def: $vgpr14
                                        ; implicit-def: $vgpr29
                                        ; implicit-def: $vgpr12
; %bb.39:                               ;   in Loop: Header=BB34_9 Depth=3
	s_andn2_saveexec_b64 s[52:53], s[52:53]
	s_cbranch_execz .LBB34_49
; %bb.40:                               ;   in Loop: Header=BB34_9 Depth=3
	v_cmp_lt_i32_e32 vcc, v14, v29
	s_mov_b64 s[56:57], s[50:51]
                                        ; implicit-def: $vgpr16_vgpr17
	s_and_saveexec_b64 s[54:55], vcc
	s_cbranch_execz .LBB34_48
; %bb.41:                               ;   in Loop: Header=BB34_9 Depth=3
	s_mov_b64 s[58:59], 0
                                        ; implicit-def: $sgpr56_sgpr57
                                        ; implicit-def: $sgpr62_sgpr63
                                        ; implicit-def: $sgpr60_sgpr61
	s_branch .LBB34_43
.LBB34_42:                              ;   in Loop: Header=BB34_43 Depth=4
	s_or_b64 exec, exec, s[64:65]
	s_and_b64 s[64:65], exec, s[62:63]
	s_or_b64 s[58:59], s[64:65], s[58:59]
	s_andn2_b64 s[56:57], s[56:57], exec
	s_and_b64 s[64:65], s[60:61], exec
	s_or_b64 s[56:57], s[56:57], s[64:65]
	s_andn2_b64 exec, exec, s[58:59]
	s_cbranch_execz .LBB34_45
.LBB34_43:                              ;   Parent Loop BB34_3 Depth=1
                                        ;     Parent Loop BB34_5 Depth=2
                                        ;       Parent Loop BB34_9 Depth=3
                                        ; =>      This Inner Loop Header: Depth=4
	v_add_u32_e32 v10, v12, v14
	v_ashrrev_i32_e32 v11, 31, v10
	v_lshlrev_b64 v[16:17], 2, v[10:11]
	v_mov_b32_e32 v0, s17
	v_add_co_u32_e32 v16, vcc, s16, v16
	v_addc_co_u32_e32 v17, vcc, v0, v17, vcc
	global_load_dword v0, v[16:17], off
	s_or_b64 s[60:61], s[60:61], exec
	s_or_b64 s[62:63], s[62:63], exec
	s_waitcnt vmcnt(0)
	v_subrev_u32_e32 v0, s68, v0
	v_cmp_ne_u32_e32 vcc, v0, v2
	s_and_saveexec_b64 s[64:65], vcc
	s_cbranch_execz .LBB34_42
; %bb.44:                               ;   in Loop: Header=BB34_43 Depth=4
	v_add_u32_e32 v14, 1, v14
	v_cmp_ge_i32_e32 vcc, v14, v29
	s_andn2_b64 s[62:63], s[62:63], exec
	s_and_b64 s[74:75], vcc, exec
	s_andn2_b64 s[60:61], s[60:61], exec
	s_or_b64 s[62:63], s[62:63], s[74:75]
	s_branch .LBB34_42
.LBB34_45:                              ;   in Loop: Header=BB34_9 Depth=3
	s_or_b64 exec, exec, s[58:59]
	s_mov_b64 s[58:59], s[50:51]
                                        ; implicit-def: $vgpr16_vgpr17
	s_and_saveexec_b64 s[60:61], s[56:57]
	s_xor_b64 s[56:57], exec, s[60:61]
; %bb.46:                               ;   in Loop: Header=BB34_9 Depth=3
	v_lshlrev_b64 v[10:11], 3, v[10:11]
	v_mov_b32_e32 v0, s45
	v_add_co_u32_e32 v16, vcc, s44, v10
	v_addc_co_u32_e32 v17, vcc, v0, v11, vcc
	s_or_b64 s[58:59], s[50:51], exec
; %bb.47:                               ;   in Loop: Header=BB34_9 Depth=3
	s_or_b64 exec, exec, s[56:57]
	s_andn2_b64 s[56:57], s[50:51], exec
	s_and_b64 s[58:59], s[58:59], exec
	s_or_b64 s[56:57], s[56:57], s[58:59]
.LBB34_48:                              ;   in Loop: Header=BB34_9 Depth=3
	s_or_b64 exec, exec, s[54:55]
	s_andn2_b64 s[50:51], s[50:51], exec
	s_and_b64 s[54:55], s[56:57], exec
	s_or_b64 s[50:51], s[50:51], s[54:55]
.LBB34_49:                              ;   in Loop: Header=BB34_9 Depth=3
	s_or_b64 exec, exec, s[52:53]
	s_and_b64 s[50:51], s[50:51], exec
                                        ; implicit-def: $vgpr10_vgpr11
	s_andn2_saveexec_b64 s[6:7], s[6:7]
	s_cbranch_execz .LBB34_36
.LBB34_50:                              ;   in Loop: Header=BB34_9 Depth=3
	v_cmp_lt_i32_e32 vcc, v0, v25
	s_mov_b64 s[54:55], s[50:51]
                                        ; implicit-def: $vgpr16_vgpr17
	s_and_saveexec_b64 s[52:53], vcc
	s_cbranch_execz .LBB34_58
; %bb.51:                               ;   in Loop: Header=BB34_9 Depth=3
	s_mov_b64 s[56:57], 0
                                        ; implicit-def: $sgpr54_sgpr55
                                        ; implicit-def: $sgpr60_sgpr61
                                        ; implicit-def: $sgpr58_sgpr59
	s_branch .LBB34_53
.LBB34_52:                              ;   in Loop: Header=BB34_53 Depth=4
	s_or_b64 exec, exec, s[62:63]
	s_and_b64 s[62:63], exec, s[60:61]
	s_or_b64 s[56:57], s[62:63], s[56:57]
	s_andn2_b64 s[54:55], s[54:55], exec
	s_and_b64 s[62:63], s[58:59], exec
	s_or_b64 s[54:55], s[54:55], s[62:63]
	s_andn2_b64 exec, exec, s[56:57]
	s_cbranch_execz .LBB34_55
.LBB34_53:                              ;   Parent Loop BB34_3 Depth=1
                                        ;     Parent Loop BB34_5 Depth=2
                                        ;       Parent Loop BB34_9 Depth=3
                                        ; =>      This Inner Loop Header: Depth=4
	v_add_u32_e32 v12, v6, v0
	v_ashrrev_i32_e32 v13, 31, v12
	v_lshlrev_b64 v[14:15], 2, v[12:13]
	v_mov_b32_e32 v5, s25
	v_add_co_u32_e32 v14, vcc, s24, v14
	v_addc_co_u32_e32 v15, vcc, v5, v15, vcc
	global_load_dword v5, v[14:15], off
	s_or_b64 s[58:59], s[58:59], exec
	s_or_b64 s[60:61], s[60:61], exec
	s_waitcnt vmcnt(0)
	v_subrev_u32_e32 v5, s67, v5
	v_cmp_ne_u32_e32 vcc, v5, v10
	s_and_saveexec_b64 s[62:63], vcc
	s_cbranch_execz .LBB34_52
; %bb.54:                               ;   in Loop: Header=BB34_53 Depth=4
	v_add_u32_e32 v0, 1, v0
	v_cmp_ge_i32_e32 vcc, v0, v25
	s_andn2_b64 s[60:61], s[60:61], exec
	s_and_b64 s[64:65], vcc, exec
	s_andn2_b64 s[58:59], s[58:59], exec
	s_or_b64 s[60:61], s[60:61], s[64:65]
	s_branch .LBB34_52
.LBB34_55:                              ;   in Loop: Header=BB34_9 Depth=3
	s_or_b64 exec, exec, s[56:57]
	s_mov_b64 s[56:57], s[50:51]
                                        ; implicit-def: $vgpr16_vgpr17
	s_and_saveexec_b64 s[58:59], s[54:55]
	s_xor_b64 s[54:55], exec, s[58:59]
; %bb.56:                               ;   in Loop: Header=BB34_9 Depth=3
	v_lshlrev_b64 v[10:11], 3, v[12:13]
	v_mov_b32_e32 v0, s35
	v_add_co_u32_e32 v16, vcc, s34, v10
	v_addc_co_u32_e32 v17, vcc, v0, v11, vcc
	s_or_b64 s[56:57], s[50:51], exec
; %bb.57:                               ;   in Loop: Header=BB34_9 Depth=3
	s_or_b64 exec, exec, s[54:55]
	s_andn2_b64 s[54:55], s[50:51], exec
	s_and_b64 s[56:57], s[56:57], exec
	s_or_b64 s[54:55], s[54:55], s[56:57]
.LBB34_58:                              ;   in Loop: Header=BB34_9 Depth=3
	s_or_b64 exec, exec, s[52:53]
	s_andn2_b64 s[50:51], s[50:51], exec
	s_and_b64 s[52:53], s[54:55], exec
	s_or_b64 s[50:51], s[50:51], s[52:53]
	s_or_b64 exec, exec, s[6:7]
	s_and_b64 exec, exec, s[50:51]
	s_cbranch_execz .LBB34_8
.LBB34_59:                              ;   in Loop: Header=BB34_9 Depth=3
	global_store_dwordx2 v[16:17], v[8:9], off
	s_branch .LBB34_8
.LBB34_60:                              ;   in Loop: Header=BB34_3 Depth=1
	s_and_saveexec_b64 s[4:5], s[0:1]
	s_cbranch_execz .LBB34_2
; %bb.61:                               ;   in Loop: Header=BB34_3 Depth=1
	s_mov_b64 s[6:7], 0
	v_mov_b32_e32 v2, v20
	s_branch .LBB34_63
.LBB34_62:                              ;   in Loop: Header=BB34_63 Depth=2
	s_or_b64 exec, exec, s[8:9]
	v_add_u32_e32 v2, 16, v2
	v_cmp_le_u32_e32 vcc, s69, v2
	s_or_b64 s[6:7], vcc, s[6:7]
	s_andn2_b64 exec, exec, s[6:7]
	s_cbranch_execz .LBB34_2
.LBB34_63:                              ;   Parent Loop BB34_3 Depth=1
                                        ; =>  This Loop Header: Depth=2
                                        ;       Child Loop BB34_66 Depth 3
                                        ;       Child Loop BB34_69 Depth 3
	v_cmp_gt_i32_e32 vcc, s11, v2
	s_and_saveexec_b64 s[8:9], vcc
	s_cbranch_execz .LBB34_62
; %bb.64:                               ;   in Loop: Header=BB34_63 Depth=2
	v_ashrrev_i32_e32 v3, 31, v2
	v_lshlrev_b64 v[4:5], 2, v[2:3]
	v_mov_b32_e32 v0, s21
	v_add_co_u32_e32 v6, vcc, s20, v4
	v_addc_co_u32_e32 v7, vcc, v0, v5, vcc
	global_load_dword v0, v[6:7], off
	v_mov_b32_e32 v7, s23
	v_add_co_u32_e32 v6, vcc, s22, v4
	v_addc_co_u32_e32 v7, vcc, v7, v5, vcc
	global_load_dword v7, v[6:7], off
	s_waitcnt vmcnt(1)
	v_add_u32_e32 v6, v22, v0
	s_waitcnt vmcnt(0)
	v_subrev_u32_e32 v0, s67, v7
	v_cmp_lt_i32_e32 vcc, v6, v0
	s_and_saveexec_b64 s[46:47], vcc
	s_cbranch_execz .LBB34_67
; %bb.65:                               ;   in Loop: Header=BB34_63 Depth=2
	v_ashrrev_i32_e32 v7, 31, v6
	v_lshlrev_b64 v[10:11], 3, v[6:7]
	v_mov_b32_e32 v7, s35
	v_add_co_u32_e32 v8, vcc, s34, v10
	v_addc_co_u32_e32 v9, vcc, v7, v11, vcc
	v_mov_b32_e32 v7, s27
	v_add_co_u32_e32 v10, vcc, s26, v10
	v_addc_co_u32_e32 v11, vcc, v7, v11, vcc
	s_mov_b64 s[48:49], 0
.LBB34_66:                              ;   Parent Loop BB34_3 Depth=1
                                        ;     Parent Loop BB34_63 Depth=2
                                        ; =>    This Inner Loop Header: Depth=3
	global_load_dwordx2 v[12:13], v[8:9], off
	v_add_co_u32_e32 v8, vcc, 0x200, v8
	v_add_u32_e32 v6, 64, v6
	v_addc_co_u32_e32 v9, vcc, 0, v9, vcc
	v_cmp_ge_i32_e32 vcc, v6, v0
	s_or_b64 s[48:49], vcc, s[48:49]
	s_waitcnt vmcnt(0)
	global_store_dwordx2 v[10:11], v[12:13], off
	v_add_co_u32_e32 v10, vcc, 0x200, v10
	v_addc_co_u32_e32 v11, vcc, 0, v11, vcc
	s_andn2_b64 exec, exec, s[48:49]
	s_cbranch_execnz .LBB34_66
.LBB34_67:                              ;   in Loop: Header=BB34_63 Depth=2
	s_or_b64 exec, exec, s[46:47]
	v_mov_b32_e32 v0, s13
	v_add_co_u32_e32 v6, vcc, s12, v4
	v_addc_co_u32_e32 v7, vcc, v0, v5, vcc
	global_load_dword v0, v[6:7], off
	v_mov_b32_e32 v6, s15
	v_add_co_u32_e32 v4, vcc, s14, v4
	v_addc_co_u32_e32 v5, vcc, v6, v5, vcc
	global_load_dword v5, v[4:5], off
	s_waitcnt vmcnt(1)
	v_add_u32_e32 v4, v23, v0
	s_waitcnt vmcnt(0)
	v_subrev_u32_e32 v0, s68, v5
	v_cmp_lt_i32_e32 vcc, v4, v0
	s_and_saveexec_b64 s[46:47], vcc
	s_cbranch_execz .LBB34_70
; %bb.68:                               ;   in Loop: Header=BB34_63 Depth=2
	v_ashrrev_i32_e32 v5, 31, v4
	v_lshlrev_b64 v[8:9], 3, v[4:5]
	v_mov_b32_e32 v5, s45
	v_add_co_u32_e32 v6, vcc, s44, v8
	v_addc_co_u32_e32 v7, vcc, v5, v9, vcc
	v_mov_b32_e32 v5, s19
	v_add_co_u32_e32 v8, vcc, s18, v8
	v_addc_co_u32_e32 v9, vcc, v5, v9, vcc
	s_mov_b64 s[48:49], 0
.LBB34_69:                              ;   Parent Loop BB34_3 Depth=1
                                        ;     Parent Loop BB34_63 Depth=2
                                        ; =>    This Inner Loop Header: Depth=3
	global_load_dwordx2 v[10:11], v[6:7], off
	v_add_co_u32_e32 v6, vcc, 0x200, v6
	v_add_u32_e32 v4, 64, v4
	v_addc_co_u32_e32 v7, vcc, 0, v7, vcc
	v_cmp_ge_i32_e32 vcc, v4, v0
	s_or_b64 s[48:49], vcc, s[48:49]
	s_waitcnt vmcnt(0)
	global_store_dwordx2 v[8:9], v[10:11], off
	v_add_co_u32_e32 v8, vcc, 0x200, v8
	v_addc_co_u32_e32 v9, vcc, 0, v9, vcc
	s_andn2_b64 exec, exec, s[48:49]
	s_cbranch_execnz .LBB34_69
.LBB34_70:                              ;   in Loop: Header=BB34_63 Depth=2
	s_or_b64 exec, exec, s[46:47]
	s_and_b64 exec, exec, s[2:3]
	s_cbranch_execz .LBB34_62
; %bb.71:                               ;   in Loop: Header=BB34_63 Depth=2
	v_lshlrev_b64 v[4:5], 3, v[2:3]
	v_mov_b32_e32 v0, s31
	v_add_co_u32_e32 v6, vcc, s30, v4
	v_addc_co_u32_e32 v7, vcc, v0, v5, vcc
	global_load_dwordx2 v[6:7], v[6:7], off
	v_mov_b32_e32 v0, s29
	v_add_co_u32_e32 v4, vcc, s28, v4
	v_addc_co_u32_e32 v5, vcc, v0, v5, vcc
	s_waitcnt vmcnt(0)
	global_store_dwordx2 v[4:5], v[6:7], off
	s_branch .LBB34_62
.LBB34_72:
	s_endpgm
	.section	.rodata,"a",@progbits
	.p2align	6, 0x0
	.amdhsa_kernel _ZN9rocsparseL14kernel_freerunILi1024ELi64E21rocsparse_complex_numIfEiiEEvT3_S3_T2_PKS4_S6_PKS3_PKT1_21rocsparse_index_base_S6_S6_S8_PS9_SD_SC_S6_S6_S8_SD_SD_SC_SD_SD_
		.amdhsa_group_segment_fixed_size 0
		.amdhsa_private_segment_fixed_size 0
		.amdhsa_kernarg_size 168
		.amdhsa_user_sgpr_count 6
		.amdhsa_user_sgpr_private_segment_buffer 1
		.amdhsa_user_sgpr_dispatch_ptr 0
		.amdhsa_user_sgpr_queue_ptr 0
		.amdhsa_user_sgpr_kernarg_segment_ptr 1
		.amdhsa_user_sgpr_dispatch_id 0
		.amdhsa_user_sgpr_flat_scratch_init 0
		.amdhsa_user_sgpr_kernarg_preload_length 0
		.amdhsa_user_sgpr_kernarg_preload_offset 0
		.amdhsa_user_sgpr_private_segment_size 0
		.amdhsa_uses_dynamic_stack 0
		.amdhsa_system_sgpr_private_segment_wavefront_offset 0
		.amdhsa_system_sgpr_workgroup_id_x 1
		.amdhsa_system_sgpr_workgroup_id_y 0
		.amdhsa_system_sgpr_workgroup_id_z 0
		.amdhsa_system_sgpr_workgroup_info 0
		.amdhsa_system_vgpr_workitem_id 0
		.amdhsa_next_free_vgpr 36
		.amdhsa_next_free_sgpr 76
		.amdhsa_accum_offset 36
		.amdhsa_reserve_vcc 1
		.amdhsa_reserve_flat_scratch 0
		.amdhsa_float_round_mode_32 0
		.amdhsa_float_round_mode_16_64 0
		.amdhsa_float_denorm_mode_32 3
		.amdhsa_float_denorm_mode_16_64 3
		.amdhsa_dx10_clamp 1
		.amdhsa_ieee_mode 1
		.amdhsa_fp16_overflow 0
		.amdhsa_tg_split 0
		.amdhsa_exception_fp_ieee_invalid_op 0
		.amdhsa_exception_fp_denorm_src 0
		.amdhsa_exception_fp_ieee_div_zero 0
		.amdhsa_exception_fp_ieee_overflow 0
		.amdhsa_exception_fp_ieee_underflow 0
		.amdhsa_exception_fp_ieee_inexact 0
		.amdhsa_exception_int_div_zero 0
	.end_amdhsa_kernel
	.section	.text._ZN9rocsparseL14kernel_freerunILi1024ELi64E21rocsparse_complex_numIfEiiEEvT3_S3_T2_PKS4_S6_PKS3_PKT1_21rocsparse_index_base_S6_S6_S8_PS9_SD_SC_S6_S6_S8_SD_SD_SC_SD_SD_,"axG",@progbits,_ZN9rocsparseL14kernel_freerunILi1024ELi64E21rocsparse_complex_numIfEiiEEvT3_S3_T2_PKS4_S6_PKS3_PKT1_21rocsparse_index_base_S6_S6_S8_PS9_SD_SC_S6_S6_S8_SD_SD_SC_SD_SD_,comdat
.Lfunc_end34:
	.size	_ZN9rocsparseL14kernel_freerunILi1024ELi64E21rocsparse_complex_numIfEiiEEvT3_S3_T2_PKS4_S6_PKS3_PKT1_21rocsparse_index_base_S6_S6_S8_PS9_SD_SC_S6_S6_S8_SD_SD_SC_SD_SD_, .Lfunc_end34-_ZN9rocsparseL14kernel_freerunILi1024ELi64E21rocsparse_complex_numIfEiiEEvT3_S3_T2_PKS4_S6_PKS3_PKT1_21rocsparse_index_base_S6_S6_S8_PS9_SD_SC_S6_S6_S8_SD_SD_SC_SD_SD_
                                        ; -- End function
	.section	.AMDGPU.csdata,"",@progbits
; Kernel info:
; codeLenInByte = 3120
; NumSgprs: 80
; NumVgprs: 36
; NumAgprs: 0
; TotalNumVgprs: 36
; ScratchSize: 0
; MemoryBound: 0
; FloatMode: 240
; IeeeMode: 1
; LDSByteSize: 0 bytes/workgroup (compile time only)
; SGPRBlocks: 9
; VGPRBlocks: 4
; NumSGPRsForWavesPerEU: 80
; NumVGPRsForWavesPerEU: 36
; AccumOffset: 36
; Occupancy: 8
; WaveLimiterHint : 1
; COMPUTE_PGM_RSRC2:SCRATCH_EN: 0
; COMPUTE_PGM_RSRC2:USER_SGPR: 6
; COMPUTE_PGM_RSRC2:TRAP_HANDLER: 0
; COMPUTE_PGM_RSRC2:TGID_X_EN: 1
; COMPUTE_PGM_RSRC2:TGID_Y_EN: 0
; COMPUTE_PGM_RSRC2:TGID_Z_EN: 0
; COMPUTE_PGM_RSRC2:TIDIG_COMP_CNT: 0
; COMPUTE_PGM_RSRC3_GFX90A:ACCUM_OFFSET: 8
; COMPUTE_PGM_RSRC3_GFX90A:TG_SPLIT: 0
	.section	.text._ZN9rocsparseL6kernelILi1024ELi1E21rocsparse_complex_numIfEiiEEvbbbT3_PS3_NS_15floating_traitsIT1_E6data_tES3_T2_PKS9_SB_PKS3_PKS6_21rocsparse_index_base_SB_SB_SD_PS6_SH_SG_SB_SB_SD_SH_SH_SG_SH_SH_PS8_SI_PKS8_,"axG",@progbits,_ZN9rocsparseL6kernelILi1024ELi1E21rocsparse_complex_numIfEiiEEvbbbT3_PS3_NS_15floating_traitsIT1_E6data_tES3_T2_PKS9_SB_PKS3_PKS6_21rocsparse_index_base_SB_SB_SD_PS6_SH_SG_SB_SB_SD_SH_SH_SG_SH_SH_PS8_SI_PKS8_,comdat
	.globl	_ZN9rocsparseL6kernelILi1024ELi1E21rocsparse_complex_numIfEiiEEvbbbT3_PS3_NS_15floating_traitsIT1_E6data_tES3_T2_PKS9_SB_PKS3_PKS6_21rocsparse_index_base_SB_SB_SD_PS6_SH_SG_SB_SB_SD_SH_SH_SG_SH_SH_PS8_SI_PKS8_ ; -- Begin function _ZN9rocsparseL6kernelILi1024ELi1E21rocsparse_complex_numIfEiiEEvbbbT3_PS3_NS_15floating_traitsIT1_E6data_tES3_T2_PKS9_SB_PKS3_PKS6_21rocsparse_index_base_SB_SB_SD_PS6_SH_SG_SB_SB_SD_SH_SH_SG_SH_SH_PS8_SI_PKS8_
	.p2align	8
	.type	_ZN9rocsparseL6kernelILi1024ELi1E21rocsparse_complex_numIfEiiEEvbbbT3_PS3_NS_15floating_traitsIT1_E6data_tES3_T2_PKS9_SB_PKS3_PKS6_21rocsparse_index_base_SB_SB_SD_PS6_SH_SG_SB_SB_SD_SH_SH_SG_SH_SH_PS8_SI_PKS8_,@function
_ZN9rocsparseL6kernelILi1024ELi1E21rocsparse_complex_numIfEiiEEvbbbT3_PS3_NS_15floating_traitsIT1_E6data_tES3_T2_PKS9_SB_PKS3_PKS6_21rocsparse_index_base_SB_SB_SD_PS6_SH_SG_SB_SB_SD_SH_SH_SG_SH_SH_PS8_SI_PKS8_: ; @_ZN9rocsparseL6kernelILi1024ELi1E21rocsparse_complex_numIfEiiEEvbbbT3_PS3_NS_15floating_traitsIT1_E6data_tES3_T2_PKS9_SB_PKS3_PKS6_21rocsparse_index_base_SB_SB_SD_PS6_SH_SG_SB_SB_SD_SH_SH_SG_SH_SH_PS8_SI_PKS8_
; %bb.0:
	s_load_dword s0, s[4:5], 0x0
	s_load_dwordx2 s[2:3], s[4:5], 0x0
	s_load_dwordx2 s[70:71], s[4:5], 0x10
	s_load_dwordx4 s[20:23], s[4:5], 0xb8
	v_lshlrev_b32_e32 v1, 2, v0
	s_waitcnt lgkmcnt(0)
	s_bitcmp1_b32 s0, 0
	s_cselect_b64 s[66:67], -1, 0
	s_bitcmp1_b32 s0, 8
	s_cselect_b64 s[64:65], -1, 0
	;; [unrolled: 2-line block ×3, first 2 shown]
	s_lshl_b32 s0, s6, 10
	v_or_b32_e32 v4, s0, v0
	s_cmp_gt_i32 s3, 0
	v_cmp_gt_i32_e32 vcc, s71, v4
	s_mov_b32 s29, s3
	s_cselect_b64 s[2:3], -1, 0
	v_mov_b32_e32 v8, 0
	s_and_b64 s[2:3], s[2:3], vcc
	s_mov_b32 s74, 0
	v_mov_b32_e32 v6, 0
	v_mov_b32_e32 v2, 0
	ds_write_b32 v1, v8
	s_waitcnt lgkmcnt(0)
	s_barrier
	s_and_saveexec_b64 s[6:7], s[2:3]
	s_cbranch_execnz .LBB35_3
; %bb.1:
	s_or_b64 exec, exec, s[6:7]
	s_andn2_b64 vcc, exec, s[66:67]
	s_cbranch_vccz .LBB35_185
.LBB35_2:
	v_cmp_eq_u32_e32 vcc, 0, v0
	s_and_b64 s[0:1], vcc, s[64:65]
	s_and_saveexec_b64 s[4:5], s[0:1]
	s_cbranch_execnz .LBB35_209
	s_branch .LBB35_213
.LBB35_3:
	s_load_dwordx8 s[36:43], s[4:5], 0x48
	s_load_dwordx8 s[44:51], s[4:5], 0x20
	v_ashrrev_i32_e32 v5, 31, v4
	v_lshlrev_b64 v[2:3], 2, v[4:5]
	s_load_dwordx2 s[2:3], s[4:5], 0xc8
	s_waitcnt lgkmcnt(0)
	v_mov_b32_e32 v5, s39
	v_add_co_u32_e32 v6, vcc, s38, v2
	v_addc_co_u32_e32 v7, vcc, v5, v3, vcc
	global_load_dword v8, v[6:7], off
	v_mov_b32_e32 v5, s37
	v_add_co_u32_e32 v6, vcc, s36, v2
	v_addc_co_u32_e32 v7, vcc, v5, v3, vcc
	global_load_dword v10, v[6:7], off
	v_mov_b32_e32 v5, s45
	v_add_co_u32_e32 v6, vcc, s44, v2
	v_addc_co_u32_e32 v7, vcc, v5, v3, vcc
	v_mov_b32_e32 v5, s47
	v_add_co_u32_e32 v2, vcc, s46, v2
	s_load_dwordx4 s[44:47], s[4:5], 0xa8
	v_addc_co_u32_e32 v3, vcc, v5, v3, vcc
	global_load_dword v11, v[6:7], off
	global_load_dword v12, v[2:3], off
                                        ; implicit-def: $vgpr38 : SGPR spill to VGPR lane
	s_load_dword s33, s[4:5], 0x40
	s_load_dwordx2 s[80:81], s[4:5], 0x68
	s_load_dword s68, s[4:5], 0x70
	s_load_dwordx2 s[82:83], s[4:5], 0x98
	s_load_dword s69, s[4:5], 0xa0
	v_writelane_b32 v38, s6, 0
	v_writelane_b32 v38, s7, 1
	;; [unrolled: 1-line block ×4, first 2 shown]
	s_xor_b64 s[2:3], s[64:65], -1
	v_writelane_b32 v38, s2, 4
	v_writelane_b32 v38, s3, 5
	v_cmp_gt_u32_e64 s[2:3], 64, v0
	v_writelane_b32 v38, s2, 6
	v_writelane_b32 v38, s3, 7
	v_cmp_gt_u32_e64 s[2:3], 32, v0
	v_writelane_b32 v38, s2, 8
	v_writelane_b32 v38, s3, 9
	s_and_b64 s[24:25], s[64:65], s[34:35]
	v_writelane_b32 v38, s4, 10
	v_writelane_b32 v38, s5, 11
	s_load_dwordx8 s[52:59], s[4:5], 0x78
	s_xor_b64 s[4:5], s[24:25], -1
	v_mov_b32_e32 v16, s41
	s_addk_i32 s0, 0x400
	s_movk_i32 s18, 0x200
	s_movk_i32 s20, 0x100
	;; [unrolled: 1-line block ×3, first 2 shown]
	v_writelane_b32 v38, s4, 12
	v_mov_b32_e32 v17, s43
	v_cmp_gt_u32_e64 s[6:7], 16, v0
	v_cmp_gt_u32_e64 s[8:9], 8, v0
	;; [unrolled: 1-line block ×4, first 2 shown]
	v_cmp_eq_u32_e64 s[14:15], 0, v0
	s_mov_b64 s[84:85], 0
	v_mov_b32_e32 v9, 0
	s_mov_b32 s1, 0xf800000
	v_mov_b32_e32 v3, 0x260
	s_movk_i32 s2, 0x1f8
	v_mov_b32_e32 v5, 0
	v_mov_b32_e32 v2, 0
	;; [unrolled: 1-line block ×3, first 2 shown]
	s_mov_b32 s3, 0
	v_cmp_gt_u32_e64 s[16:17], s0, v4
	v_cmp_gt_u32_e64 s[18:19], s18, v0
	;; [unrolled: 1-line block ×4, first 2 shown]
	v_writelane_b32 v38, s5, 13
	s_mov_b32 s5, s29
	s_waitcnt vmcnt(2)
	v_sub_u32_e32 v7, v8, v10
	s_waitcnt lgkmcnt(0)
	v_subrev_u32_e32 v10, s68, v10
	v_cmp_lt_i32_e64 s[26:27], 0, v7
	s_waitcnt vmcnt(1)
	v_subrev_u32_e32 v30, s33, v11
	s_waitcnt vmcnt(0)
	v_cmp_lt_i32_e64 s[24:25], v11, v12
	v_ashrrev_i32_e32 v11, 31, v10
	v_subrev_u32_e32 v31, s33, v12
	v_lshlrev_b64 v[12:13], 2, v[10:11]
	v_lshlrev_b64 v[14:15], 3, v[10:11]
	v_add_co_u32_e32 v11, vcc, s40, v12
	v_addc_co_u32_e32 v32, vcc, v16, v13, vcc
	v_add_co_u32_e32 v33, vcc, s42, v14
	v_addc_co_u32_e32 v34, vcc, v17, v15, vcc
	s_branch .LBB35_5
.LBB35_4:                               ;   in Loop: Header=BB35_5 Depth=1
	s_or_b64 exec, exec, s[60:61]
	s_and_b64 s[28:29], exec, s[30:31]
	s_or_b64 s[84:85], s[28:29], s[84:85]
	s_andn2_b64 exec, exec, s[84:85]
	s_cbranch_execz .LBB35_184
.LBB35_5:                               ; =>This Loop Header: Depth=1
                                        ;     Child Loop BB35_12 Depth 2
                                        ;       Child Loop BB35_16 Depth 3
                                        ;       Child Loop BB35_51 Depth 3
	;; [unrolled: 1-line block ×5, first 2 shown]
                                        ;     Child Loop BB35_165 Depth 2
                                        ;       Child Loop BB35_168 Depth 3
                                        ;       Child Loop BB35_171 Depth 3
	v_cndmask_b32_e64 v6, v6, 0, s[64:65]
	v_cndmask_b32_e64 v2, v2, 0, s[34:35]
	s_and_saveexec_b64 s[88:89], s[24:25]
	s_cbranch_execnz .LBB35_9
; %bb.6:                                ;   in Loop: Header=BB35_5 Depth=1
	s_or_b64 exec, exec, s[88:89]
	s_andn2_b64 vcc, exec, s[64:65]
	s_cbranch_vccz .LBB35_120
.LBB35_7:                               ;   in Loop: Header=BB35_5 Depth=1
	s_andn2_b64 vcc, exec, s[34:35]
	s_cbranch_vccz .LBB35_141
.LBB35_8:                               ;   in Loop: Header=BB35_5 Depth=1
	s_and_saveexec_b64 s[28:29], s[16:17]
	s_cbranch_execnz .LBB35_162
	s_branch .LBB35_172
.LBB35_9:                               ;   in Loop: Header=BB35_5 Depth=1
	s_mov_b64 s[90:91], 0
	v_mov_b32_e32 v12, v30
	s_branch .LBB35_12
.LBB35_10:                              ;   in Loop: Header=BB35_12 Depth=2
	s_or_b64 exec, exec, s[28:29]
.LBB35_11:                              ;   in Loop: Header=BB35_12 Depth=2
	s_or_b64 exec, exec, s[30:31]
	v_add_u32_e32 v12, 1, v12
	v_cmp_ge_i32_e32 vcc, v12, v31
	s_or_b64 s[90:91], vcc, s[90:91]
	s_andn2_b64 exec, exec, s[90:91]
	s_cbranch_execz .LBB35_119
.LBB35_12:                              ;   Parent Loop BB35_5 Depth=1
                                        ; =>  This Loop Header: Depth=2
                                        ;       Child Loop BB35_16 Depth 3
                                        ;       Child Loop BB35_51 Depth 3
	;; [unrolled: 1-line block ×5, first 2 shown]
	v_ashrrev_i32_e32 v13, 31, v12
	v_lshlrev_b64 v[14:15], 2, v[12:13]
	v_mov_b32_e32 v8, s49
	v_add_co_u32_e32 v14, vcc, s48, v14
	v_addc_co_u32_e32 v15, vcc, v8, v15, vcc
	global_load_dword v8, v[14:15], off
	v_mov_b32_e32 v19, s53
	v_mov_b32_e32 v20, s55
	s_mov_b32 s75, s74
	v_mov_b32_e32 v22, 0
	s_waitcnt vmcnt(0)
	v_subrev_u32_e32 v14, s33, v8
	v_ashrrev_i32_e32 v15, 31, v14
	v_lshlrev_b64 v[16:17], 2, v[14:15]
	v_add_co_u32_e32 v18, vcc, s52, v16
	v_addc_co_u32_e32 v19, vcc, v19, v17, vcc
	v_add_co_u32_e32 v16, vcc, s54, v16
	v_addc_co_u32_e32 v17, vcc, v20, v17, vcc
	global_load_dword v18, v[18:19], off
	s_nop 0
	global_load_dword v19, v[16:17], off
	v_mov_b32_e32 v8, 0
	v_pk_mov_b32 v[16:17], s[74:75], s[74:75] op_sel:[0,1]
	s_waitcnt vmcnt(1)
	v_subrev_u32_e32 v20, s69, v18
	s_waitcnt vmcnt(0)
	v_sub_u32_e32 v35, v19, v18
	s_and_saveexec_b64 s[28:29], s[26:27]
	s_cbranch_execz .LBB35_20
; %bb.13:                               ;   in Loop: Header=BB35_12 Depth=2
	v_ashrrev_i32_e32 v21, 31, v20
	v_lshlrev_b64 v[16:17], 2, v[20:21]
	v_mov_b32_e32 v8, s57
	v_add_co_u32_e32 v18, vcc, s56, v16
	v_addc_co_u32_e32 v19, vcc, v8, v17, vcc
	v_lshlrev_b64 v[16:17], 3, v[20:21]
	v_mov_b32_e32 v8, s59
	v_add_co_u32_e32 v21, vcc, s58, v16
	v_mov_b32_e32 v22, 0
	v_addc_co_u32_e32 v24, vcc, v8, v17, vcc
	s_mov_b64 s[30:31], 0
	v_pk_mov_b32 v[16:17], s[74:75], s[74:75] op_sel:[0,1]
	v_mov_b32_e32 v8, v22
                                        ; implicit-def: $sgpr60_sgpr61
	s_branch .LBB35_16
.LBB35_14:                              ;   in Loop: Header=BB35_16 Depth=3
	s_or_b64 exec, exec, s[72:73]
	v_cmp_le_i32_e32 vcc, v25, v26
	v_addc_co_u32_e32 v8, vcc, 0, v8, vcc
	v_cmp_ge_i32_e32 vcc, v25, v26
	v_addc_co_u32_e32 v22, vcc, 0, v22, vcc
	v_cmp_ge_i32_e32 vcc, v8, v7
	s_andn2_b64 s[60:61], s[60:61], exec
	s_and_b64 s[72:73], vcc, exec
	s_or_b64 s[60:61], s[60:61], s[72:73]
.LBB35_15:                              ;   in Loop: Header=BB35_16 Depth=3
	s_or_b64 exec, exec, s[62:63]
	s_and_b64 s[62:63], exec, s[60:61]
	s_or_b64 s[30:31], s[62:63], s[30:31]
	s_andn2_b64 exec, exec, s[30:31]
	s_cbranch_execz .LBB35_19
.LBB35_16:                              ;   Parent Loop BB35_5 Depth=1
                                        ;     Parent Loop BB35_12 Depth=2
                                        ; =>    This Inner Loop Header: Depth=3
	v_cmp_lt_i32_e32 vcc, v22, v35
	s_or_b64 s[60:61], s[60:61], exec
	s_and_saveexec_b64 s[62:63], vcc
	s_cbranch_execz .LBB35_15
; %bb.17:                               ;   in Loop: Header=BB35_16 Depth=3
	v_lshlrev_b64 v[26:27], 2, v[8:9]
	v_add_co_u32_e32 v26, vcc, v11, v26
	v_addc_co_u32_e32 v27, vcc, v32, v27, vcc
	v_mov_b32_e32 v23, v9
	global_load_dword v25, v[26:27], off
	v_lshlrev_b64 v[26:27], 2, v[22:23]
	v_add_co_u32_e32 v26, vcc, v18, v26
	v_addc_co_u32_e32 v27, vcc, v19, v27, vcc
	global_load_dword v26, v[26:27], off
	s_waitcnt vmcnt(1)
	v_subrev_u32_e32 v25, s68, v25
	s_waitcnt vmcnt(0)
	v_subrev_u32_e32 v26, s69, v26
	v_cmp_eq_u32_e32 vcc, v25, v26
	s_and_saveexec_b64 s[72:73], vcc
	s_cbranch_execz .LBB35_14
; %bb.18:                               ;   in Loop: Header=BB35_16 Depth=3
	v_lshlrev_b64 v[28:29], 3, v[8:9]
	v_add_co_u32_e32 v28, vcc, v33, v28
	v_addc_co_u32_e32 v29, vcc, v34, v29, vcc
	v_lshlrev_b64 v[36:37], 3, v[22:23]
	v_add_co_u32_e32 v36, vcc, v21, v36
	v_addc_co_u32_e32 v37, vcc, v24, v37, vcc
	global_load_dwordx2 v[36:37], v[36:37], off
	s_nop 0
	global_load_dwordx2 v[28:29], v[28:29], off
	s_waitcnt vmcnt(0)
	v_pk_fma_f32 v[16:17], v[28:29], v[36:37], v[16:17] op_sel_hi:[1,0,1]
	v_pk_fma_f32 v[16:17], v[28:29], v[36:37], v[16:17] op_sel:[1,1,0] op_sel_hi:[0,1,1] neg_lo:[1,0,0]
	s_branch .LBB35_14
.LBB35_19:                              ;   in Loop: Header=BB35_12 Depth=2
	s_or_b64 exec, exec, s[30:31]
.LBB35_20:                              ;   in Loop: Header=BB35_12 Depth=2
	s_or_b64 exec, exec, s[28:29]
	v_lshlrev_b64 v[18:19], 3, v[12:13]
	v_mov_b32_e32 v13, s51
	v_add_co_u32_e32 v18, vcc, s50, v18
	v_addc_co_u32_e32 v19, vcc, v13, v19, vcc
	global_load_dwordx2 v[18:19], v[18:19], off
	v_cmp_le_i32_e64 s[28:29], v4, v14
	v_cmp_gt_i32_e32 vcc, v4, v14
	s_waitcnt vmcnt(0)
	v_pk_add_f32 v[24:25], v[18:19], v[16:17] neg_lo:[0,1] neg_hi:[0,1]
	s_and_saveexec_b64 s[72:73], vcc
	s_cbranch_execz .LBB35_30
; %bb.21:                               ;   in Loop: Header=BB35_12 Depth=2
	v_lshlrev_b64 v[26:27], 3, v[14:15]
	v_mov_b32_e32 v13, s45
	v_add_co_u32_e32 v26, vcc, s44, v26
	v_addc_co_u32_e32 v27, vcc, v13, v27, vcc
	global_load_dwordx2 v[26:27], v[26:27], off
                                        ; implicit-def: $vgpr23
	s_waitcnt vmcnt(0)
	v_cmp_gt_f32_e32 vcc, 0, v26
	v_cndmask_b32_e64 v13, v26, -v26, vcc
	v_cmp_gt_f32_e32 vcc, 0, v27
	v_cndmask_b32_e64 v21, v27, -v27, vcc
	v_cmp_ngt_f32_e32 vcc, v13, v21
	s_and_saveexec_b64 s[30:31], vcc
	s_xor_b64 s[60:61], exec, s[30:31]
	s_cbranch_execz .LBB35_25
; %bb.22:                               ;   in Loop: Header=BB35_12 Depth=2
	v_cmp_neq_f32_e32 vcc, 0, v27
	v_mov_b32_e32 v23, 0
	s_and_saveexec_b64 s[62:63], vcc
	s_cbranch_execz .LBB35_24
; %bb.23:                               ;   in Loop: Header=BB35_12 Depth=2
	v_div_scale_f32 v23, s[30:31], v21, v21, v13
	v_rcp_f32_e32 v28, v23
	v_div_scale_f32 v29, vcc, v13, v21, v13
	v_fma_f32 v36, -v23, v28, 1.0
	v_fmac_f32_e32 v28, v36, v28
	v_mul_f32_e32 v36, v29, v28
	v_fma_f32 v37, -v23, v36, v29
	v_fmac_f32_e32 v36, v37, v28
	v_fma_f32 v23, -v23, v36, v29
	v_div_fmas_f32 v23, v23, v28, v36
	v_div_fixup_f32 v13, v23, v21, v13
	v_fma_f32 v13, v13, v13, 1.0
	v_mul_f32_e32 v23, 0x4f800000, v13
	v_cmp_gt_f32_e32 vcc, s1, v13
	v_cndmask_b32_e32 v13, v13, v23, vcc
	v_sqrt_f32_e32 v23, v13
	v_add_u32_e32 v28, -1, v23
	v_fma_f32 v36, -v28, v23, v13
	v_add_u32_e32 v29, 1, v23
	v_cmp_ge_f32_e64 s[30:31], 0, v36
	v_cndmask_b32_e64 v28, v23, v28, s[30:31]
	v_fma_f32 v23, -v29, v23, v13
	v_cmp_lt_f32_e64 s[30:31], 0, v23
	v_cndmask_b32_e64 v23, v28, v29, s[30:31]
	v_mul_f32_e32 v28, 0x37800000, v23
	v_cndmask_b32_e32 v23, v23, v28, vcc
	v_cmp_class_f32_e32 vcc, v13, v3
	v_cndmask_b32_e32 v13, v23, v13, vcc
	v_mul_f32_e32 v23, v21, v13
.LBB35_24:                              ;   in Loop: Header=BB35_12 Depth=2
	s_or_b64 exec, exec, s[62:63]
                                        ; implicit-def: $vgpr13
                                        ; implicit-def: $vgpr21
.LBB35_25:                              ;   in Loop: Header=BB35_12 Depth=2
	s_andn2_saveexec_b64 s[60:61], s[60:61]
	s_cbranch_execz .LBB35_27
; %bb.26:                               ;   in Loop: Header=BB35_12 Depth=2
	v_div_scale_f32 v23, s[30:31], v13, v13, v21
	v_rcp_f32_e32 v28, v23
	v_div_scale_f32 v29, vcc, v21, v13, v21
	v_fma_f32 v36, -v23, v28, 1.0
	v_fmac_f32_e32 v28, v36, v28
	v_mul_f32_e32 v36, v29, v28
	v_fma_f32 v37, -v23, v36, v29
	v_fmac_f32_e32 v36, v37, v28
	v_fma_f32 v23, -v23, v36, v29
	v_div_fmas_f32 v23, v23, v28, v36
	v_div_fixup_f32 v21, v23, v13, v21
	v_fma_f32 v21, v21, v21, 1.0
	v_mul_f32_e32 v23, 0x4f800000, v21
	v_cmp_gt_f32_e32 vcc, s1, v21
	v_cndmask_b32_e32 v21, v21, v23, vcc
	v_sqrt_f32_e32 v23, v21
	v_add_u32_e32 v28, -1, v23
	v_fma_f32 v29, -v28, v23, v21
	v_cmp_ge_f32_e64 s[30:31], 0, v29
	v_add_u32_e32 v29, 1, v23
	v_cndmask_b32_e64 v28, v23, v28, s[30:31]
	v_fma_f32 v23, -v29, v23, v21
	v_cmp_lt_f32_e64 s[30:31], 0, v23
	v_cndmask_b32_e64 v23, v28, v29, s[30:31]
	v_mul_f32_e32 v28, 0x37800000, v23
	v_cndmask_b32_e32 v23, v23, v28, vcc
	v_cmp_class_f32_e32 vcc, v21, v3
	v_cndmask_b32_e32 v21, v23, v21, vcc
	v_mul_f32_e32 v23, v13, v21
.LBB35_27:                              ;   in Loop: Header=BB35_12 Depth=2
	s_or_b64 exec, exec, s[60:61]
	v_cmp_lt_f32_e32 vcc, 0, v23
	v_mov_b32_e32 v29, 0
	v_mov_b32_e32 v28, 0
	s_and_saveexec_b64 s[30:31], vcc
	s_cbranch_execz .LBB35_29
; %bb.28:                               ;   in Loop: Header=BB35_12 Depth=2
	v_mul_f32_e32 v13, v27, v27
	v_fmac_f32_e32 v13, v26, v26
	v_div_scale_f32 v21, s[60:61], v13, v13, 1.0
	v_rcp_f32_e32 v23, v21
	v_div_scale_f32 v28, vcc, 1.0, v13, 1.0
	v_xor_b32_e32 v37, 0x80000000, v24
	v_fma_f32 v29, -v21, v23, 1.0
	v_fmac_f32_e32 v23, v29, v23
	v_mul_f32_e32 v29, v28, v23
	v_fma_f32 v36, -v21, v29, v28
	v_fmac_f32_e32 v29, v36, v23
	v_fma_f32 v21, -v21, v29, v28
	v_mov_b32_e32 v36, v25
	v_div_fmas_f32 v21, v21, v23, v29
	v_pk_mul_f32 v[36:37], v[36:37], v[26:27] op_sel:[0,1]
	v_div_fixup_f32 v28, v21, v13, 1.0
	v_pk_fma_f32 v[24:25], v[24:25], v[26:27], v[36:37] op_sel_hi:[1,0,1]
	v_pk_mul_f32 v[28:29], v[24:25], v[28:29] op_sel_hi:[1,0]
.LBB35_29:                              ;   in Loop: Header=BB35_12 Depth=2
	s_or_b64 exec, exec, s[30:31]
	v_mov_b32_e32 v25, v29
	v_mov_b32_e32 v24, v28
.LBB35_30:                              ;   in Loop: Header=BB35_12 Depth=2
	s_or_b64 exec, exec, s[72:73]
	v_cmp_gt_f32_e32 vcc, 0, v24
	v_cndmask_b32_e64 v13, v24, -v24, vcc
	v_cmp_gt_f32_e32 vcc, 0, v25
	v_cndmask_b32_e64 v21, v25, -v25, vcc
	v_cmp_ngt_f32_e32 vcc, v13, v21
                                        ; implicit-def: $vgpr23
	s_and_saveexec_b64 s[30:31], vcc
	s_xor_b64 s[60:61], exec, s[30:31]
	s_cbranch_execnz .LBB35_34
; %bb.31:                               ;   in Loop: Header=BB35_12 Depth=2
	s_andn2_saveexec_b64 s[60:61], s[60:61]
	s_cbranch_execnz .LBB35_37
.LBB35_32:                              ;   in Loop: Header=BB35_12 Depth=2
	s_or_b64 exec, exec, s[60:61]
	v_cmp_class_f32_e64 s[30:31], v23, s2
	s_and_saveexec_b64 s[92:93], s[30:31]
	s_cbranch_execnz .LBB35_38
.LBB35_33:                              ;   in Loop: Header=BB35_12 Depth=2
	s_or_b64 exec, exec, s[92:93]
	s_and_b64 s[28:29], s[30:31], s[34:35]
	s_and_saveexec_b64 s[30:31], s[28:29]
	s_cbranch_execz .LBB35_11
	s_branch .LBB35_79
.LBB35_34:                              ;   in Loop: Header=BB35_12 Depth=2
	v_cmp_neq_f32_e32 vcc, 0, v25
	v_mov_b32_e32 v23, 0
	s_and_saveexec_b64 s[62:63], vcc
	s_cbranch_execz .LBB35_36
; %bb.35:                               ;   in Loop: Header=BB35_12 Depth=2
	v_div_scale_f32 v23, s[30:31], v21, v21, v13
	v_rcp_f32_e32 v26, v23
	v_div_scale_f32 v27, vcc, v13, v21, v13
	v_fma_f32 v28, -v23, v26, 1.0
	v_fmac_f32_e32 v26, v28, v26
	v_mul_f32_e32 v28, v27, v26
	v_fma_f32 v29, -v23, v28, v27
	v_fmac_f32_e32 v28, v29, v26
	v_fma_f32 v23, -v23, v28, v27
	v_div_fmas_f32 v23, v23, v26, v28
	v_div_fixup_f32 v13, v23, v21, v13
	v_fma_f32 v13, v13, v13, 1.0
	v_mul_f32_e32 v23, 0x4f800000, v13
	v_cmp_gt_f32_e32 vcc, s1, v13
	v_cndmask_b32_e32 v13, v13, v23, vcc
	v_sqrt_f32_e32 v23, v13
	v_add_u32_e32 v26, -1, v23
	v_fma_f32 v27, -v26, v23, v13
	v_cmp_ge_f32_e64 s[30:31], 0, v27
	v_add_u32_e32 v27, 1, v23
	v_cndmask_b32_e64 v26, v23, v26, s[30:31]
	v_fma_f32 v23, -v27, v23, v13
	v_cmp_lt_f32_e64 s[30:31], 0, v23
	v_cndmask_b32_e64 v23, v26, v27, s[30:31]
	v_mul_f32_e32 v26, 0x37800000, v23
	v_cndmask_b32_e32 v23, v23, v26, vcc
	v_cmp_class_f32_e32 vcc, v13, v3
	v_cndmask_b32_e32 v13, v23, v13, vcc
	v_mul_f32_e32 v23, v21, v13
.LBB35_36:                              ;   in Loop: Header=BB35_12 Depth=2
	s_or_b64 exec, exec, s[62:63]
                                        ; implicit-def: $vgpr13
                                        ; implicit-def: $vgpr21
	s_andn2_saveexec_b64 s[60:61], s[60:61]
	s_cbranch_execz .LBB35_32
.LBB35_37:                              ;   in Loop: Header=BB35_12 Depth=2
	v_div_scale_f32 v23, s[30:31], v13, v13, v21
	v_rcp_f32_e32 v26, v23
	v_div_scale_f32 v27, vcc, v21, v13, v21
	v_fma_f32 v28, -v23, v26, 1.0
	v_fmac_f32_e32 v26, v28, v26
	v_mul_f32_e32 v28, v27, v26
	v_fma_f32 v29, -v23, v28, v27
	v_fmac_f32_e32 v28, v29, v26
	v_fma_f32 v23, -v23, v28, v27
	v_div_fmas_f32 v23, v23, v26, v28
	v_div_fixup_f32 v21, v23, v13, v21
	v_fma_f32 v21, v21, v21, 1.0
	v_mul_f32_e32 v23, 0x4f800000, v21
	v_cmp_gt_f32_e32 vcc, s1, v21
	v_cndmask_b32_e32 v21, v21, v23, vcc
	v_sqrt_f32_e32 v23, v21
	v_add_u32_e32 v26, -1, v23
	v_fma_f32 v27, -v26, v23, v21
	v_cmp_ge_f32_e64 s[30:31], 0, v27
	v_add_u32_e32 v27, 1, v23
	v_cndmask_b32_e64 v26, v23, v26, s[30:31]
	v_fma_f32 v23, -v27, v23, v21
	v_cmp_lt_f32_e64 s[30:31], 0, v23
	v_cndmask_b32_e64 v23, v26, v27, s[30:31]
	v_mul_f32_e32 v26, 0x37800000, v23
	v_cndmask_b32_e32 v23, v23, v26, vcc
	v_cmp_class_f32_e32 vcc, v21, v3
	v_cndmask_b32_e32 v21, v23, v21, vcc
	v_mul_f32_e32 v23, v13, v21
	s_or_b64 exec, exec, s[60:61]
	v_cmp_class_f32_e64 s[30:31], v23, s2
	s_and_saveexec_b64 s[92:93], s[30:31]
	s_cbranch_execz .LBB35_33
.LBB35_38:                              ;   in Loop: Header=BB35_12 Depth=2
	s_and_saveexec_b64 s[60:61], s[28:29]
	s_xor_b64 s[94:95], exec, s[60:61]
	s_cbranch_execz .LBB35_63
; %bb.39:                               ;   in Loop: Header=BB35_12 Depth=2
	v_cmp_ge_i32_e32 vcc, v4, v14
	s_and_saveexec_b64 s[28:29], vcc
	s_xor_b64 s[72:73], exec, s[28:29]
	s_cbranch_execz .LBB35_47
; %bb.40:                               ;   in Loop: Header=BB35_12 Depth=2
	v_lshlrev_b64 v[26:27], 3, v[14:15]
	v_mov_b32_e32 v13, s47
	v_add_co_u32_e32 v28, vcc, s46, v26
	v_addc_co_u32_e32 v29, vcc, v13, v27, vcc
	s_andn2_b64 vcc, exec, s[64:65]
	global_store_dwordx2 v[28:29], v[24:25], off
	s_cbranch_vccnz .LBB35_46
; %bb.41:                               ;   in Loop: Header=BB35_12 Depth=2
	v_mov_b32_e32 v13, s45
	v_add_co_u32_e32 v26, vcc, s44, v26
	v_addc_co_u32_e32 v27, vcc, v13, v27, vcc
	global_load_dwordx2 v[26:27], v[26:27], off
                                        ; implicit-def: $vgpr23
	s_waitcnt vmcnt(0)
	v_sub_f32_e32 v13, v26, v24
	v_sub_f32_e32 v24, v27, v25
	v_cmp_gt_f32_e32 vcc, 0, v13
	v_cndmask_b32_e64 v13, v13, -v13, vcc
	v_cmp_gt_f32_e32 vcc, 0, v24
	v_cndmask_b32_e64 v21, v24, -v24, vcc
	v_cmp_ngt_f32_e32 vcc, v13, v21
	s_and_saveexec_b64 s[28:29], vcc
	s_xor_b64 s[60:61], exec, s[28:29]
	s_cbranch_execnz .LBB35_107
; %bb.42:                               ;   in Loop: Header=BB35_12 Depth=2
	s_andn2_saveexec_b64 s[60:61], s[60:61]
	s_cbranch_execnz .LBB35_110
.LBB35_43:                              ;   in Loop: Header=BB35_12 Depth=2
	s_or_b64 exec, exec, s[60:61]
	v_cmp_class_f32_e64 s[60:61], v23, s2
	s_and_saveexec_b64 s[28:29], s[60:61]
.LBB35_44:                              ;   in Loop: Header=BB35_12 Depth=2
	v_cmp_lt_f32_e32 vcc, v6, v23
	v_cndmask_b32_e32 v6, v6, v23, vcc
.LBB35_45:                              ;   in Loop: Header=BB35_12 Depth=2
	s_or_b64 exec, exec, s[28:29]
.LBB35_46:                              ;   in Loop: Header=BB35_12 Depth=2
                                        ; implicit-def: $vgpr24_vgpr25
.LBB35_47:                              ;   in Loop: Header=BB35_12 Depth=2
	s_andn2_saveexec_b64 s[72:73], s[72:73]
	s_cbranch_execz .LBB35_62
; %bb.48:                               ;   in Loop: Header=BB35_12 Depth=2
	v_cmp_lt_i32_e32 vcc, v22, v35
	s_and_saveexec_b64 s[78:79], vcc
	s_cbranch_execz .LBB35_61
; %bb.49:                               ;   in Loop: Header=BB35_12 Depth=2
	s_mov_b64 s[28:29], 0
	v_mov_b32_e32 v13, v22
                                        ; implicit-def: $sgpr60_sgpr61
                                        ; implicit-def: $sgpr76_sgpr77
                                        ; implicit-def: $sgpr62_sgpr63
	s_branch .LBB35_51
.LBB35_50:                              ;   in Loop: Header=BB35_51 Depth=3
	s_or_b64 exec, exec, s[86:87]
	s_and_b64 s[86:87], exec, s[76:77]
	s_or_b64 s[28:29], s[86:87], s[28:29]
	s_andn2_b64 s[60:61], s[60:61], exec
	s_and_b64 s[86:87], s[62:63], exec
	s_or_b64 s[60:61], s[60:61], s[86:87]
	s_andn2_b64 exec, exec, s[28:29]
	s_cbranch_execz .LBB35_53
.LBB35_51:                              ;   Parent Loop BB35_5 Depth=1
                                        ;     Parent Loop BB35_12 Depth=2
                                        ; =>    This Inner Loop Header: Depth=3
	v_add_u32_e32 v26, v20, v13
	v_ashrrev_i32_e32 v27, 31, v26
	v_lshlrev_b64 v[28:29], 2, v[26:27]
	v_mov_b32_e32 v21, s57
	v_add_co_u32_e32 v28, vcc, s56, v28
	v_addc_co_u32_e32 v29, vcc, v21, v29, vcc
	global_load_dword v21, v[28:29], off
	s_or_b64 s[62:63], s[62:63], exec
	s_or_b64 s[76:77], s[76:77], exec
	s_waitcnt vmcnt(0)
	v_subrev_u32_e32 v21, s69, v21
	v_cmp_ne_u32_e32 vcc, v21, v4
	s_and_saveexec_b64 s[86:87], vcc
	s_cbranch_execz .LBB35_50
; %bb.52:                               ;   in Loop: Header=BB35_51 Depth=3
	v_add_u32_e32 v13, 1, v13
	v_cmp_ge_i32_e32 vcc, v13, v35
	s_andn2_b64 s[76:77], s[76:77], exec
	s_and_b64 vcc, vcc, exec
	s_andn2_b64 s[62:63], s[62:63], exec
	s_or_b64 s[76:77], s[76:77], vcc
	s_branch .LBB35_50
.LBB35_53:                              ;   in Loop: Header=BB35_12 Depth=2
	s_or_b64 exec, exec, s[28:29]
	s_and_saveexec_b64 s[28:29], s[60:61]
	s_xor_b64 s[60:61], exec, s[28:29]
	s_cbranch_execz .LBB35_60
; %bb.54:                               ;   in Loop: Header=BB35_12 Depth=2
	v_lshlrev_b64 v[26:27], 3, v[26:27]
	v_mov_b32_e32 v13, s83
	v_add_co_u32_e32 v28, vcc, s82, v26
	v_addc_co_u32_e32 v29, vcc, v13, v27, vcc
	s_andn2_b64 vcc, exec, s[64:65]
	global_store_dwordx2 v[28:29], v[24:25], off
	s_cbranch_vccnz .LBB35_60
; %bb.55:                               ;   in Loop: Header=BB35_12 Depth=2
	v_mov_b32_e32 v13, s59
	v_add_co_u32_e32 v26, vcc, s58, v26
	v_addc_co_u32_e32 v27, vcc, v13, v27, vcc
	global_load_dwordx2 v[26:27], v[26:27], off
                                        ; implicit-def: $vgpr23
	s_waitcnt vmcnt(0)
	v_sub_f32_e32 v13, v26, v24
	v_sub_f32_e32 v24, v27, v25
	v_cmp_gt_f32_e32 vcc, 0, v13
	v_cndmask_b32_e64 v13, v13, -v13, vcc
	v_cmp_gt_f32_e32 vcc, 0, v24
	v_cndmask_b32_e64 v21, v24, -v24, vcc
	v_cmp_ngt_f32_e32 vcc, v13, v21
	s_and_saveexec_b64 s[28:29], vcc
	s_xor_b64 s[62:63], exec, s[28:29]
	s_cbranch_execnz .LBB35_115
; %bb.56:                               ;   in Loop: Header=BB35_12 Depth=2
	s_andn2_saveexec_b64 s[62:63], s[62:63]
	s_cbranch_execnz .LBB35_118
.LBB35_57:                              ;   in Loop: Header=BB35_12 Depth=2
	s_or_b64 exec, exec, s[62:63]
	v_cmp_class_f32_e64 s[62:63], v23, s2
	s_and_saveexec_b64 s[28:29], s[62:63]
.LBB35_58:                              ;   in Loop: Header=BB35_12 Depth=2
	v_cmp_lt_f32_e32 vcc, v6, v23
	v_cndmask_b32_e32 v6, v6, v23, vcc
.LBB35_59:                              ;   in Loop: Header=BB35_12 Depth=2
	s_or_b64 exec, exec, s[28:29]
.LBB35_60:                              ;   in Loop: Header=BB35_12 Depth=2
	s_or_b64 exec, exec, s[60:61]
.LBB35_61:                              ;   in Loop: Header=BB35_12 Depth=2
	s_or_b64 exec, exec, s[78:79]
.LBB35_62:                              ;   in Loop: Header=BB35_12 Depth=2
	s_or_b64 exec, exec, s[72:73]
                                        ; implicit-def: $vgpr24_vgpr25
.LBB35_63:                              ;   in Loop: Header=BB35_12 Depth=2
	s_andn2_saveexec_b64 s[94:95], s[94:95]
	s_cbranch_execz .LBB35_78
; %bb.64:                               ;   in Loop: Header=BB35_12 Depth=2
	v_cmp_lt_i32_e32 vcc, v8, v7
	s_and_saveexec_b64 s[72:73], vcc
	s_cbranch_execz .LBB35_77
; %bb.65:                               ;   in Loop: Header=BB35_12 Depth=2
	s_mov_b64 s[28:29], 0
	v_mov_b32_e32 v13, v8
                                        ; implicit-def: $sgpr60_sgpr61
                                        ; implicit-def: $sgpr76_sgpr77
                                        ; implicit-def: $sgpr62_sgpr63
	s_branch .LBB35_67
.LBB35_66:                              ;   in Loop: Header=BB35_67 Depth=3
	s_or_b64 exec, exec, s[78:79]
	s_and_b64 s[78:79], exec, s[76:77]
	s_or_b64 s[28:29], s[78:79], s[28:29]
	s_andn2_b64 s[60:61], s[60:61], exec
	s_and_b64 s[78:79], s[62:63], exec
	s_or_b64 s[60:61], s[60:61], s[78:79]
	s_andn2_b64 exec, exec, s[28:29]
	s_cbranch_execz .LBB35_69
.LBB35_67:                              ;   Parent Loop BB35_5 Depth=1
                                        ;     Parent Loop BB35_12 Depth=2
                                        ; =>    This Inner Loop Header: Depth=3
	v_add_u32_e32 v26, v10, v13
	v_ashrrev_i32_e32 v27, 31, v26
	v_lshlrev_b64 v[28:29], 2, v[26:27]
	v_mov_b32_e32 v21, s41
	v_add_co_u32_e32 v28, vcc, s40, v28
	v_addc_co_u32_e32 v29, vcc, v21, v29, vcc
	global_load_dword v21, v[28:29], off
	s_or_b64 s[62:63], s[62:63], exec
	s_or_b64 s[76:77], s[76:77], exec
	s_waitcnt vmcnt(0)
	v_subrev_u32_e32 v21, s68, v21
	v_cmp_ne_u32_e32 vcc, v21, v14
	s_and_saveexec_b64 s[78:79], vcc
	s_cbranch_execz .LBB35_66
; %bb.68:                               ;   in Loop: Header=BB35_67 Depth=3
	v_add_u32_e32 v13, 1, v13
	v_cmp_ge_i32_e32 vcc, v13, v7
	s_andn2_b64 s[76:77], s[76:77], exec
	s_and_b64 s[86:87], vcc, exec
	s_andn2_b64 s[62:63], s[62:63], exec
	s_or_b64 s[76:77], s[76:77], s[86:87]
	s_branch .LBB35_66
.LBB35_69:                              ;   in Loop: Header=BB35_12 Depth=2
	s_or_b64 exec, exec, s[28:29]
	s_and_saveexec_b64 s[28:29], s[60:61]
	s_xor_b64 s[60:61], exec, s[28:29]
	s_cbranch_execz .LBB35_76
; %bb.70:                               ;   in Loop: Header=BB35_12 Depth=2
	v_lshlrev_b64 v[26:27], 3, v[26:27]
	v_mov_b32_e32 v13, s81
	v_add_co_u32_e32 v28, vcc, s80, v26
	v_addc_co_u32_e32 v29, vcc, v13, v27, vcc
	s_andn2_b64 vcc, exec, s[64:65]
	global_store_dwordx2 v[28:29], v[24:25], off
	s_cbranch_vccnz .LBB35_76
; %bb.71:                               ;   in Loop: Header=BB35_12 Depth=2
	v_mov_b32_e32 v13, s43
	v_add_co_u32_e32 v26, vcc, s42, v26
	v_addc_co_u32_e32 v27, vcc, v13, v27, vcc
	global_load_dwordx2 v[26:27], v[26:27], off
                                        ; implicit-def: $vgpr23
	s_waitcnt vmcnt(0)
	v_sub_f32_e32 v13, v26, v24
	v_sub_f32_e32 v24, v27, v25
	v_cmp_gt_f32_e32 vcc, 0, v13
	v_cndmask_b32_e64 v13, v13, -v13, vcc
	v_cmp_gt_f32_e32 vcc, 0, v24
	v_cndmask_b32_e64 v21, v24, -v24, vcc
	v_cmp_ngt_f32_e32 vcc, v13, v21
	s_and_saveexec_b64 s[28:29], vcc
	s_xor_b64 s[62:63], exec, s[28:29]
	s_cbranch_execnz .LBB35_111
; %bb.72:                               ;   in Loop: Header=BB35_12 Depth=2
	s_andn2_saveexec_b64 s[62:63], s[62:63]
	s_cbranch_execnz .LBB35_114
.LBB35_73:                              ;   in Loop: Header=BB35_12 Depth=2
	s_or_b64 exec, exec, s[62:63]
	v_cmp_class_f32_e64 s[62:63], v23, s2
	s_and_saveexec_b64 s[28:29], s[62:63]
.LBB35_74:                              ;   in Loop: Header=BB35_12 Depth=2
	v_cmp_lt_f32_e32 vcc, v6, v23
	v_cndmask_b32_e32 v6, v6, v23, vcc
.LBB35_75:                              ;   in Loop: Header=BB35_12 Depth=2
	s_or_b64 exec, exec, s[28:29]
.LBB35_76:                              ;   in Loop: Header=BB35_12 Depth=2
	s_or_b64 exec, exec, s[60:61]
.LBB35_77:                              ;   in Loop: Header=BB35_12 Depth=2
	s_or_b64 exec, exec, s[72:73]
.LBB35_78:                              ;   in Loop: Header=BB35_12 Depth=2
	s_or_b64 exec, exec, s[94:95]
	s_or_b64 exec, exec, s[92:93]
	s_and_b64 s[28:29], s[30:31], s[34:35]
	s_and_saveexec_b64 s[30:31], s[28:29]
	s_cbranch_execz .LBB35_11
.LBB35_79:                              ;   in Loop: Header=BB35_12 Depth=2
	v_cmp_ge_i32_e32 vcc, v22, v35
	s_and_saveexec_b64 s[28:29], vcc
	s_xor_b64 s[28:29], exec, s[28:29]
	s_cbranch_execnz .LBB35_86
; %bb.80:                               ;   in Loop: Header=BB35_12 Depth=2
	s_andn2_saveexec_b64 s[28:29], s[28:29]
	s_cbranch_execnz .LBB35_100
.LBB35_81:                              ;   in Loop: Header=BB35_12 Depth=2
	s_or_b64 exec, exec, s[28:29]
	v_cmp_eq_u32_e32 vcc, v4, v14
	s_and_saveexec_b64 s[28:29], vcc
	s_cbranch_execz .LBB35_83
.LBB35_82:                              ;   in Loop: Header=BB35_12 Depth=2
	v_lshlrev_b64 v[14:15], 3, v[14:15]
	v_mov_b32_e32 v8, s45
	v_add_co_u32_e32 v14, vcc, s44, v14
	v_addc_co_u32_e32 v15, vcc, v8, v15, vcc
	global_load_dwordx2 v[14:15], v[14:15], off
	s_waitcnt vmcnt(0)
	v_pk_add_f32 v[16:17], v[16:17], v[14:15]
.LBB35_83:                              ;   in Loop: Header=BB35_12 Depth=2
	s_or_b64 exec, exec, s[28:29]
	v_pk_add_f32 v[14:15], v[18:19], v[16:17] neg_lo:[0,1] neg_hi:[0,1]
	v_cmp_gt_f32_e32 vcc, 0, v14
	v_cndmask_b32_e64 v8, v14, -v14, vcc
	v_cmp_gt_f32_e32 vcc, 0, v15
	v_cndmask_b32_e64 v13, v15, -v15, vcc
	v_cmp_ngt_f32_e32 vcc, v8, v13
                                        ; implicit-def: $vgpr14
	s_and_saveexec_b64 s[28:29], vcc
	s_xor_b64 s[60:61], exec, s[28:29]
	s_cbranch_execnz .LBB35_91
; %bb.84:                               ;   in Loop: Header=BB35_12 Depth=2
	s_andn2_saveexec_b64 s[60:61], s[60:61]
	s_cbranch_execnz .LBB35_94
.LBB35_85:                              ;   in Loop: Header=BB35_12 Depth=2
	s_or_b64 exec, exec, s[60:61]
	v_cmp_class_f32_e64 s[60:61], v14, s2
	s_and_saveexec_b64 s[28:29], s[60:61]
	s_cbranch_execz .LBB35_10
	s_branch .LBB35_95
.LBB35_86:                              ;   in Loop: Header=BB35_12 Depth=2
	v_cmp_lt_i32_e32 vcc, v8, v7
	s_and_saveexec_b64 s[60:61], vcc
	s_cbranch_execz .LBB35_99
; %bb.87:                               ;   in Loop: Header=BB35_12 Depth=2
	s_mov_b64 s[62:63], 0
                                        ; implicit-def: $sgpr72_sgpr73
                                        ; implicit-def: $sgpr76_sgpr77
                                        ; implicit-def: $sgpr78_sgpr79
	s_branch .LBB35_89
.LBB35_88:                              ;   in Loop: Header=BB35_89 Depth=3
	s_or_b64 exec, exec, s[86:87]
	s_and_b64 s[86:87], exec, s[76:77]
	s_or_b64 s[62:63], s[86:87], s[62:63]
	s_andn2_b64 s[72:73], s[72:73], exec
	s_and_b64 s[86:87], s[78:79], exec
	s_or_b64 s[72:73], s[72:73], s[86:87]
	s_andn2_b64 exec, exec, s[62:63]
	s_cbranch_execz .LBB35_96
.LBB35_89:                              ;   Parent Loop BB35_5 Depth=1
                                        ;     Parent Loop BB35_12 Depth=2
                                        ; =>    This Inner Loop Header: Depth=3
	v_add_u32_e32 v20, v10, v8
	v_ashrrev_i32_e32 v21, 31, v20
	v_lshlrev_b64 v[22:23], 2, v[20:21]
	v_mov_b32_e32 v13, s41
	v_add_co_u32_e32 v22, vcc, s40, v22
	v_addc_co_u32_e32 v23, vcc, v13, v23, vcc
	global_load_dword v13, v[22:23], off
	s_or_b64 s[78:79], s[78:79], exec
	s_or_b64 s[76:77], s[76:77], exec
	s_waitcnt vmcnt(0)
	v_subrev_u32_e32 v13, s68, v13
	v_cmp_ne_u32_e32 vcc, v13, v14
	s_and_saveexec_b64 s[86:87], vcc
	s_cbranch_execz .LBB35_88
; %bb.90:                               ;   in Loop: Header=BB35_89 Depth=3
	v_add_u32_e32 v8, 1, v8
	v_cmp_ge_i32_e32 vcc, v8, v7
	s_andn2_b64 s[76:77], s[76:77], exec
	s_and_b64 s[92:93], vcc, exec
	s_andn2_b64 s[78:79], s[78:79], exec
	s_or_b64 s[76:77], s[76:77], s[92:93]
	s_branch .LBB35_88
.LBB35_91:                              ;   in Loop: Header=BB35_12 Depth=2
	v_cmp_neq_f32_e32 vcc, 0, v15
	v_mov_b32_e32 v14, 0
	s_and_saveexec_b64 s[62:63], vcc
	s_cbranch_execz .LBB35_93
; %bb.92:                               ;   in Loop: Header=BB35_12 Depth=2
	v_div_scale_f32 v14, s[28:29], v13, v13, v8
	v_rcp_f32_e32 v15, v14
	v_div_scale_f32 v16, vcc, v8, v13, v8
	v_fma_f32 v17, -v14, v15, 1.0
	v_fmac_f32_e32 v15, v17, v15
	v_mul_f32_e32 v17, v16, v15
	v_fma_f32 v18, -v14, v17, v16
	v_fmac_f32_e32 v17, v18, v15
	v_fma_f32 v14, -v14, v17, v16
	v_div_fmas_f32 v14, v14, v15, v17
	v_div_fixup_f32 v8, v14, v13, v8
	v_fma_f32 v8, v8, v8, 1.0
	v_mul_f32_e32 v14, 0x4f800000, v8
	v_cmp_gt_f32_e32 vcc, s1, v8
	v_cndmask_b32_e32 v8, v8, v14, vcc
	v_sqrt_f32_e32 v14, v8
	v_add_u32_e32 v15, -1, v14
	v_fma_f32 v16, -v15, v14, v8
	v_cmp_ge_f32_e64 s[28:29], 0, v16
	v_add_u32_e32 v16, 1, v14
	v_cndmask_b32_e64 v15, v14, v15, s[28:29]
	v_fma_f32 v14, -v16, v14, v8
	v_cmp_lt_f32_e64 s[28:29], 0, v14
	v_cndmask_b32_e64 v14, v15, v16, s[28:29]
	v_mul_f32_e32 v15, 0x37800000, v14
	v_cndmask_b32_e32 v14, v14, v15, vcc
	v_cmp_class_f32_e32 vcc, v8, v3
	v_cndmask_b32_e32 v8, v14, v8, vcc
	v_mul_f32_e32 v14, v13, v8
.LBB35_93:                              ;   in Loop: Header=BB35_12 Depth=2
	s_or_b64 exec, exec, s[62:63]
                                        ; implicit-def: $vgpr8
                                        ; implicit-def: $vgpr13
	s_andn2_saveexec_b64 s[60:61], s[60:61]
	s_cbranch_execz .LBB35_85
.LBB35_94:                              ;   in Loop: Header=BB35_12 Depth=2
	v_div_scale_f32 v14, s[28:29], v8, v8, v13
	v_rcp_f32_e32 v15, v14
	v_div_scale_f32 v16, vcc, v13, v8, v13
	v_fma_f32 v17, -v14, v15, 1.0
	v_fmac_f32_e32 v15, v17, v15
	v_mul_f32_e32 v17, v16, v15
	v_fma_f32 v18, -v14, v17, v16
	v_fmac_f32_e32 v17, v18, v15
	v_fma_f32 v14, -v14, v17, v16
	v_div_fmas_f32 v14, v14, v15, v17
	v_div_fixup_f32 v13, v14, v8, v13
	v_fma_f32 v13, v13, v13, 1.0
	v_mul_f32_e32 v14, 0x4f800000, v13
	v_cmp_gt_f32_e32 vcc, s1, v13
	v_cndmask_b32_e32 v13, v13, v14, vcc
	v_sqrt_f32_e32 v14, v13
	v_add_u32_e32 v15, -1, v14
	v_fma_f32 v16, -v15, v14, v13
	v_cmp_ge_f32_e64 s[28:29], 0, v16
	v_add_u32_e32 v16, 1, v14
	v_cndmask_b32_e64 v15, v14, v15, s[28:29]
	v_fma_f32 v14, -v16, v14, v13
	v_cmp_lt_f32_e64 s[28:29], 0, v14
	v_cndmask_b32_e64 v14, v15, v16, s[28:29]
	v_mul_f32_e32 v15, 0x37800000, v14
	v_cndmask_b32_e32 v14, v14, v15, vcc
	v_cmp_class_f32_e32 vcc, v13, v3
	v_cndmask_b32_e32 v13, v14, v13, vcc
	v_mul_f32_e32 v14, v8, v13
	s_or_b64 exec, exec, s[60:61]
	v_cmp_class_f32_e64 s[60:61], v14, s2
	s_and_saveexec_b64 s[28:29], s[60:61]
	s_cbranch_execz .LBB35_10
.LBB35_95:                              ;   in Loop: Header=BB35_12 Depth=2
	v_cmp_lt_f32_e32 vcc, v2, v14
	v_cndmask_b32_e32 v2, v2, v14, vcc
	s_branch .LBB35_10
.LBB35_96:                              ;   in Loop: Header=BB35_12 Depth=2
	s_or_b64 exec, exec, s[62:63]
	s_and_saveexec_b64 s[62:63], s[72:73]
	s_xor_b64 s[62:63], exec, s[62:63]
	s_cbranch_execz .LBB35_98
; %bb.97:                               ;   in Loop: Header=BB35_12 Depth=2
	v_lshlrev_b64 v[20:21], 3, v[20:21]
	v_mov_b32_e32 v8, s43
	v_add_co_u32_e32 v20, vcc, s42, v20
	v_addc_co_u32_e32 v21, vcc, v8, v21, vcc
	v_lshlrev_b64 v[22:23], 3, v[14:15]
	v_mov_b32_e32 v8, s45
	v_add_co_u32_e32 v22, vcc, s44, v22
	v_addc_co_u32_e32 v23, vcc, v8, v23, vcc
	global_load_dwordx2 v[20:21], v[20:21], off
	s_nop 0
	global_load_dwordx2 v[22:23], v[22:23], off
	s_waitcnt vmcnt(0)
	v_pk_mul_f32 v[24:25], v[22:23], v[20:21] op_sel:[1,1] op_sel_hi:[1,0] neg_lo:[0,1]
	v_pk_fma_f32 v[20:21], v[20:21], v[22:23], v[24:25] op_sel_hi:[1,0,1]
	v_pk_add_f32 v[16:17], v[16:17], v[20:21]
.LBB35_98:                              ;   in Loop: Header=BB35_12 Depth=2
	s_or_b64 exec, exec, s[62:63]
.LBB35_99:                              ;   in Loop: Header=BB35_12 Depth=2
	s_or_b64 exec, exec, s[60:61]
                                        ; implicit-def: $vgpr22
                                        ; implicit-def: $vgpr20
                                        ; implicit-def: $vgpr35
	s_andn2_saveexec_b64 s[28:29], s[28:29]
	s_cbranch_execz .LBB35_81
.LBB35_100:                             ;   in Loop: Header=BB35_12 Depth=2
	s_mov_b64 s[60:61], 0
                                        ; implicit-def: $sgpr62_sgpr63
                                        ; implicit-def: $sgpr76_sgpr77
                                        ; implicit-def: $sgpr72_sgpr73
	s_branch .LBB35_102
.LBB35_101:                             ;   in Loop: Header=BB35_102 Depth=3
	s_or_b64 exec, exec, s[78:79]
	s_and_b64 s[78:79], exec, s[76:77]
	s_or_b64 s[60:61], s[78:79], s[60:61]
	s_andn2_b64 s[62:63], s[62:63], exec
	s_and_b64 s[78:79], s[72:73], exec
	s_or_b64 s[62:63], s[62:63], s[78:79]
	s_andn2_b64 exec, exec, s[60:61]
	s_cbranch_execz .LBB35_104
.LBB35_102:                             ;   Parent Loop BB35_5 Depth=1
                                        ;     Parent Loop BB35_12 Depth=2
                                        ; =>    This Inner Loop Header: Depth=3
	v_add_u32_e32 v24, v20, v22
	v_ashrrev_i32_e32 v25, 31, v24
	v_lshlrev_b64 v[26:27], 2, v[24:25]
	v_mov_b32_e32 v8, s57
	v_add_co_u32_e32 v26, vcc, s56, v26
	v_addc_co_u32_e32 v27, vcc, v8, v27, vcc
	global_load_dword v8, v[26:27], off
	s_or_b64 s[72:73], s[72:73], exec
	s_or_b64 s[76:77], s[76:77], exec
	s_waitcnt vmcnt(0)
	v_subrev_u32_e32 v8, s69, v8
	v_cmp_ne_u32_e32 vcc, v8, v4
	s_and_saveexec_b64 s[78:79], vcc
	s_cbranch_execz .LBB35_101
; %bb.103:                              ;   in Loop: Header=BB35_102 Depth=3
	v_add_u32_e32 v22, 1, v22
	v_cmp_ge_i32_e32 vcc, v22, v35
	s_andn2_b64 s[76:77], s[76:77], exec
	s_and_b64 s[86:87], vcc, exec
	s_andn2_b64 s[72:73], s[72:73], exec
	s_or_b64 s[76:77], s[76:77], s[86:87]
	s_branch .LBB35_101
.LBB35_104:                             ;   in Loop: Header=BB35_12 Depth=2
	s_or_b64 exec, exec, s[60:61]
	s_and_saveexec_b64 s[60:61], s[62:63]
	s_xor_b64 s[60:61], exec, s[60:61]
	s_cbranch_execz .LBB35_106
; %bb.105:                              ;   in Loop: Header=BB35_12 Depth=2
	v_lshlrev_b64 v[20:21], 3, v[24:25]
	v_mov_b32_e32 v8, s59
	v_add_co_u32_e32 v20, vcc, s58, v20
	v_addc_co_u32_e32 v21, vcc, v8, v21, vcc
	global_load_dwordx2 v[20:21], v[20:21], off
	s_waitcnt vmcnt(0)
	v_pk_add_f32 v[16:17], v[16:17], v[20:21]
.LBB35_106:                             ;   in Loop: Header=BB35_12 Depth=2
	s_or_b64 exec, exec, s[60:61]
	s_or_b64 exec, exec, s[28:29]
	v_cmp_eq_u32_e32 vcc, v4, v14
	s_and_saveexec_b64 s[28:29], vcc
	s_cbranch_execnz .LBB35_82
	s_branch .LBB35_83
.LBB35_107:                             ;   in Loop: Header=BB35_12 Depth=2
	v_cmp_neq_f32_e32 vcc, 0, v24
	v_mov_b32_e32 v23, 0
	s_and_saveexec_b64 s[62:63], vcc
	s_cbranch_execz .LBB35_109
; %bb.108:                              ;   in Loop: Header=BB35_12 Depth=2
	v_div_scale_f32 v23, s[28:29], v21, v21, v13
	v_rcp_f32_e32 v24, v23
	v_div_scale_f32 v25, vcc, v13, v21, v13
	v_fma_f32 v26, -v23, v24, 1.0
	v_fmac_f32_e32 v24, v26, v24
	v_mul_f32_e32 v26, v25, v24
	v_fma_f32 v27, -v23, v26, v25
	v_fmac_f32_e32 v26, v27, v24
	v_fma_f32 v23, -v23, v26, v25
	v_div_fmas_f32 v23, v23, v24, v26
	v_div_fixup_f32 v13, v23, v21, v13
	v_fma_f32 v13, v13, v13, 1.0
	v_mul_f32_e32 v23, 0x4f800000, v13
	v_cmp_gt_f32_e32 vcc, s1, v13
	v_cndmask_b32_e32 v13, v13, v23, vcc
	v_sqrt_f32_e32 v23, v13
	v_add_u32_e32 v24, -1, v23
	v_fma_f32 v26, -v24, v23, v13
	v_add_u32_e32 v25, 1, v23
	v_cmp_ge_f32_e64 s[28:29], 0, v26
	v_cndmask_b32_e64 v24, v23, v24, s[28:29]
	v_fma_f32 v23, -v25, v23, v13
	v_cmp_lt_f32_e64 s[28:29], 0, v23
	v_cndmask_b32_e64 v23, v24, v25, s[28:29]
	v_mul_f32_e32 v24, 0x37800000, v23
	v_cndmask_b32_e32 v23, v23, v24, vcc
	v_cmp_class_f32_e32 vcc, v13, v3
	v_cndmask_b32_e32 v13, v23, v13, vcc
	v_mul_f32_e32 v23, v21, v13
.LBB35_109:                             ;   in Loop: Header=BB35_12 Depth=2
	s_or_b64 exec, exec, s[62:63]
                                        ; implicit-def: $vgpr13
                                        ; implicit-def: $vgpr21
	s_andn2_saveexec_b64 s[60:61], s[60:61]
	s_cbranch_execz .LBB35_43
.LBB35_110:                             ;   in Loop: Header=BB35_12 Depth=2
	v_div_scale_f32 v23, s[28:29], v13, v13, v21
	v_rcp_f32_e32 v24, v23
	v_div_scale_f32 v25, vcc, v21, v13, v21
	v_fma_f32 v26, -v23, v24, 1.0
	v_fmac_f32_e32 v24, v26, v24
	v_mul_f32_e32 v26, v25, v24
	v_fma_f32 v27, -v23, v26, v25
	v_fmac_f32_e32 v26, v27, v24
	v_fma_f32 v23, -v23, v26, v25
	v_div_fmas_f32 v23, v23, v24, v26
	v_div_fixup_f32 v21, v23, v13, v21
	v_fma_f32 v21, v21, v21, 1.0
	v_mul_f32_e32 v23, 0x4f800000, v21
	v_cmp_gt_f32_e32 vcc, s1, v21
	v_cndmask_b32_e32 v21, v21, v23, vcc
	v_sqrt_f32_e32 v23, v21
	v_add_u32_e32 v24, -1, v23
	v_fma_f32 v26, -v24, v23, v21
	v_add_u32_e32 v25, 1, v23
	v_cmp_ge_f32_e64 s[28:29], 0, v26
	v_cndmask_b32_e64 v24, v23, v24, s[28:29]
	v_fma_f32 v23, -v25, v23, v21
	v_cmp_lt_f32_e64 s[28:29], 0, v23
	v_cndmask_b32_e64 v23, v24, v25, s[28:29]
	v_mul_f32_e32 v24, 0x37800000, v23
	v_cndmask_b32_e32 v23, v23, v24, vcc
	v_cmp_class_f32_e32 vcc, v21, v3
	v_cndmask_b32_e32 v21, v23, v21, vcc
	v_mul_f32_e32 v23, v13, v21
	s_or_b64 exec, exec, s[60:61]
	v_cmp_class_f32_e64 s[60:61], v23, s2
	s_and_saveexec_b64 s[28:29], s[60:61]
	s_cbranch_execnz .LBB35_44
	s_branch .LBB35_45
.LBB35_111:                             ;   in Loop: Header=BB35_12 Depth=2
	v_cmp_neq_f32_e32 vcc, 0, v24
	v_mov_b32_e32 v23, 0
	s_and_saveexec_b64 s[76:77], vcc
	s_cbranch_execz .LBB35_113
; %bb.112:                              ;   in Loop: Header=BB35_12 Depth=2
	v_div_scale_f32 v23, s[28:29], v21, v21, v13
	v_rcp_f32_e32 v24, v23
	v_div_scale_f32 v25, vcc, v13, v21, v13
	v_fma_f32 v26, -v23, v24, 1.0
	v_fmac_f32_e32 v24, v26, v24
	v_mul_f32_e32 v26, v25, v24
	v_fma_f32 v27, -v23, v26, v25
	v_fmac_f32_e32 v26, v27, v24
	v_fma_f32 v23, -v23, v26, v25
	v_div_fmas_f32 v23, v23, v24, v26
	v_div_fixup_f32 v13, v23, v21, v13
	v_fma_f32 v13, v13, v13, 1.0
	v_mul_f32_e32 v23, 0x4f800000, v13
	v_cmp_gt_f32_e32 vcc, s1, v13
	v_cndmask_b32_e32 v13, v13, v23, vcc
	v_sqrt_f32_e32 v23, v13
	v_add_u32_e32 v24, -1, v23
	v_fma_f32 v26, -v24, v23, v13
	v_add_u32_e32 v25, 1, v23
	v_cmp_ge_f32_e64 s[28:29], 0, v26
	v_cndmask_b32_e64 v24, v23, v24, s[28:29]
	v_fma_f32 v23, -v25, v23, v13
	v_cmp_lt_f32_e64 s[28:29], 0, v23
	v_cndmask_b32_e64 v23, v24, v25, s[28:29]
	v_mul_f32_e32 v24, 0x37800000, v23
	v_cndmask_b32_e32 v23, v23, v24, vcc
	v_cmp_class_f32_e32 vcc, v13, v3
	v_cndmask_b32_e32 v13, v23, v13, vcc
	v_mul_f32_e32 v23, v21, v13
.LBB35_113:                             ;   in Loop: Header=BB35_12 Depth=2
	s_or_b64 exec, exec, s[76:77]
                                        ; implicit-def: $vgpr13
                                        ; implicit-def: $vgpr21
	s_andn2_saveexec_b64 s[62:63], s[62:63]
	s_cbranch_execz .LBB35_73
.LBB35_114:                             ;   in Loop: Header=BB35_12 Depth=2
	v_div_scale_f32 v23, s[28:29], v13, v13, v21
	v_rcp_f32_e32 v24, v23
	v_div_scale_f32 v25, vcc, v21, v13, v21
	v_fma_f32 v26, -v23, v24, 1.0
	v_fmac_f32_e32 v24, v26, v24
	v_mul_f32_e32 v26, v25, v24
	v_fma_f32 v27, -v23, v26, v25
	v_fmac_f32_e32 v26, v27, v24
	v_fma_f32 v23, -v23, v26, v25
	v_div_fmas_f32 v23, v23, v24, v26
	v_div_fixup_f32 v21, v23, v13, v21
	v_fma_f32 v21, v21, v21, 1.0
	v_mul_f32_e32 v23, 0x4f800000, v21
	v_cmp_gt_f32_e32 vcc, s1, v21
	v_cndmask_b32_e32 v21, v21, v23, vcc
	v_sqrt_f32_e32 v23, v21
	v_add_u32_e32 v24, -1, v23
	v_fma_f32 v26, -v24, v23, v21
	v_add_u32_e32 v25, 1, v23
	v_cmp_ge_f32_e64 s[28:29], 0, v26
	v_cndmask_b32_e64 v24, v23, v24, s[28:29]
	v_fma_f32 v23, -v25, v23, v21
	v_cmp_lt_f32_e64 s[28:29], 0, v23
	v_cndmask_b32_e64 v23, v24, v25, s[28:29]
	v_mul_f32_e32 v24, 0x37800000, v23
	v_cndmask_b32_e32 v23, v23, v24, vcc
	v_cmp_class_f32_e32 vcc, v21, v3
	v_cndmask_b32_e32 v21, v23, v21, vcc
	v_mul_f32_e32 v23, v13, v21
	s_or_b64 exec, exec, s[62:63]
	v_cmp_class_f32_e64 s[62:63], v23, s2
	s_and_saveexec_b64 s[28:29], s[62:63]
	s_cbranch_execnz .LBB35_74
	s_branch .LBB35_75
.LBB35_115:                             ;   in Loop: Header=BB35_12 Depth=2
	v_cmp_neq_f32_e32 vcc, 0, v24
	v_mov_b32_e32 v23, 0
	s_and_saveexec_b64 s[76:77], vcc
	s_cbranch_execz .LBB35_117
; %bb.116:                              ;   in Loop: Header=BB35_12 Depth=2
	v_div_scale_f32 v23, s[28:29], v21, v21, v13
	v_rcp_f32_e32 v24, v23
	v_div_scale_f32 v25, vcc, v13, v21, v13
	v_fma_f32 v26, -v23, v24, 1.0
	v_fmac_f32_e32 v24, v26, v24
	v_mul_f32_e32 v26, v25, v24
	v_fma_f32 v27, -v23, v26, v25
	v_fmac_f32_e32 v26, v27, v24
	v_fma_f32 v23, -v23, v26, v25
	v_div_fmas_f32 v23, v23, v24, v26
	v_div_fixup_f32 v13, v23, v21, v13
	v_fma_f32 v13, v13, v13, 1.0
	v_mul_f32_e32 v23, 0x4f800000, v13
	v_cmp_gt_f32_e32 vcc, s1, v13
	v_cndmask_b32_e32 v13, v13, v23, vcc
	v_sqrt_f32_e32 v23, v13
	v_add_u32_e32 v24, -1, v23
	v_fma_f32 v26, -v24, v23, v13
	v_add_u32_e32 v25, 1, v23
	v_cmp_ge_f32_e64 s[28:29], 0, v26
	v_cndmask_b32_e64 v24, v23, v24, s[28:29]
	v_fma_f32 v23, -v25, v23, v13
	v_cmp_lt_f32_e64 s[28:29], 0, v23
	v_cndmask_b32_e64 v23, v24, v25, s[28:29]
	v_mul_f32_e32 v24, 0x37800000, v23
	v_cndmask_b32_e32 v23, v23, v24, vcc
	v_cmp_class_f32_e32 vcc, v13, v3
	v_cndmask_b32_e32 v13, v23, v13, vcc
	v_mul_f32_e32 v23, v21, v13
.LBB35_117:                             ;   in Loop: Header=BB35_12 Depth=2
	s_or_b64 exec, exec, s[76:77]
                                        ; implicit-def: $vgpr13
                                        ; implicit-def: $vgpr21
	s_andn2_saveexec_b64 s[62:63], s[62:63]
	s_cbranch_execz .LBB35_57
.LBB35_118:                             ;   in Loop: Header=BB35_12 Depth=2
	v_div_scale_f32 v23, s[28:29], v13, v13, v21
	v_rcp_f32_e32 v24, v23
	v_div_scale_f32 v25, vcc, v21, v13, v21
	v_fma_f32 v26, -v23, v24, 1.0
	v_fmac_f32_e32 v24, v26, v24
	v_mul_f32_e32 v26, v25, v24
	v_fma_f32 v27, -v23, v26, v25
	v_fmac_f32_e32 v26, v27, v24
	v_fma_f32 v23, -v23, v26, v25
	v_div_fmas_f32 v23, v23, v24, v26
	v_div_fixup_f32 v21, v23, v13, v21
	v_fma_f32 v21, v21, v21, 1.0
	v_mul_f32_e32 v23, 0x4f800000, v21
	v_cmp_gt_f32_e32 vcc, s1, v21
	v_cndmask_b32_e32 v21, v21, v23, vcc
	v_sqrt_f32_e32 v23, v21
	v_add_u32_e32 v24, -1, v23
	v_fma_f32 v26, -v24, v23, v21
	v_add_u32_e32 v25, 1, v23
	v_cmp_ge_f32_e64 s[28:29], 0, v26
	v_cndmask_b32_e64 v24, v23, v24, s[28:29]
	v_fma_f32 v23, -v25, v23, v21
	v_cmp_lt_f32_e64 s[28:29], 0, v23
	v_cndmask_b32_e64 v23, v24, v25, s[28:29]
	v_mul_f32_e32 v24, 0x37800000, v23
	v_cndmask_b32_e32 v23, v23, v24, vcc
	v_cmp_class_f32_e32 vcc, v21, v3
	v_cndmask_b32_e32 v21, v23, v21, vcc
	v_mul_f32_e32 v23, v13, v21
	s_or_b64 exec, exec, s[62:63]
	v_cmp_class_f32_e64 s[62:63], v23, s2
	s_and_saveexec_b64 s[28:29], s[62:63]
	s_cbranch_execnz .LBB35_58
	s_branch .LBB35_59
.LBB35_119:                             ;   in Loop: Header=BB35_5 Depth=1
	s_or_b64 exec, exec, s[90:91]
	s_or_b64 exec, exec, s[88:89]
	s_andn2_b64 vcc, exec, s[64:65]
	s_cbranch_vccnz .LBB35_7
.LBB35_120:                             ;   in Loop: Header=BB35_5 Depth=1
	ds_write_b32 v1, v6
	s_waitcnt lgkmcnt(0)
	s_barrier
	s_and_saveexec_b64 s[28:29], s[18:19]
	s_cbranch_execz .LBB35_122
; %bb.121:                              ;   in Loop: Header=BB35_5 Depth=1
	ds_read2st64_b32 v[12:13], v1 offset1:8
	s_waitcnt lgkmcnt(0)
	v_cmp_lt_f32_e32 vcc, v12, v13
	v_cndmask_b32_e32 v6, v12, v13, vcc
	ds_write_b32 v1, v6
.LBB35_122:                             ;   in Loop: Header=BB35_5 Depth=1
	s_or_b64 exec, exec, s[28:29]
	s_waitcnt lgkmcnt(0)
	s_barrier
	s_and_saveexec_b64 s[28:29], s[20:21]
	s_cbranch_execz .LBB35_124
; %bb.123:                              ;   in Loop: Header=BB35_5 Depth=1
	ds_read2st64_b32 v[12:13], v1 offset1:4
	s_waitcnt lgkmcnt(0)
	v_cmp_lt_f32_e32 vcc, v12, v13
	v_cndmask_b32_e32 v6, v12, v13, vcc
	ds_write_b32 v1, v6
.LBB35_124:                             ;   in Loop: Header=BB35_5 Depth=1
	s_or_b64 exec, exec, s[28:29]
	;; [unrolled: 12-line block ×3, first 2 shown]
	s_waitcnt lgkmcnt(0)
	s_barrier
	s_mov_b64 s[28:29], exec
	v_readlane_b32 s30, v38, 6
	v_readlane_b32 s31, v38, 7
	s_and_b64 s[30:31], s[28:29], s[30:31]
	s_mov_b64 exec, s[30:31]
	s_cbranch_execz .LBB35_128
; %bb.127:                              ;   in Loop: Header=BB35_5 Depth=1
	ds_read2st64_b32 v[12:13], v1 offset1:1
	s_waitcnt lgkmcnt(0)
	v_cmp_lt_f32_e32 vcc, v12, v13
	v_cndmask_b32_e32 v6, v12, v13, vcc
	ds_write_b32 v1, v6
.LBB35_128:                             ;   in Loop: Header=BB35_5 Depth=1
	s_or_b64 exec, exec, s[28:29]
	s_waitcnt lgkmcnt(0)
	s_barrier
	s_mov_b64 s[28:29], exec
	v_readlane_b32 s30, v38, 8
	v_readlane_b32 s31, v38, 9
	s_and_b64 s[30:31], s[28:29], s[30:31]
	s_mov_b64 exec, s[30:31]
	s_cbranch_execz .LBB35_130
; %bb.129:                              ;   in Loop: Header=BB35_5 Depth=1
	ds_read2_b32 v[12:13], v1 offset1:32
	s_waitcnt lgkmcnt(0)
	v_cmp_lt_f32_e32 vcc, v12, v13
	v_cndmask_b32_e32 v6, v12, v13, vcc
	ds_write_b32 v1, v6
.LBB35_130:                             ;   in Loop: Header=BB35_5 Depth=1
	s_or_b64 exec, exec, s[28:29]
	s_waitcnt lgkmcnt(0)
	s_barrier
	s_and_saveexec_b64 s[28:29], s[6:7]
	s_cbranch_execz .LBB35_132
; %bb.131:                              ;   in Loop: Header=BB35_5 Depth=1
	ds_read2_b32 v[12:13], v1 offset1:16
	s_waitcnt lgkmcnt(0)
	v_cmp_lt_f32_e32 vcc, v12, v13
	v_cndmask_b32_e32 v6, v12, v13, vcc
	ds_write_b32 v1, v6
.LBB35_132:                             ;   in Loop: Header=BB35_5 Depth=1
	s_or_b64 exec, exec, s[28:29]
	s_waitcnt lgkmcnt(0)
	s_barrier
	s_and_saveexec_b64 s[28:29], s[8:9]
	;; [unrolled: 12-line block ×5, first 2 shown]
	s_cbranch_execz .LBB35_140
; %bb.139:                              ;   in Loop: Header=BB35_5 Depth=1
	ds_read_b64 v[12:13], v5
	s_waitcnt lgkmcnt(0)
	v_cmp_lt_f32_e32 vcc, v12, v13
	v_cndmask_b32_e32 v6, v12, v13, vcc
	ds_write_b32 v5, v6
.LBB35_140:                             ;   in Loop: Header=BB35_5 Depth=1
	s_or_b64 exec, exec, s[28:29]
	v_readlane_b32 s28, v38, 2
	v_readlane_b32 s29, v38, 3
	s_waitcnt lgkmcnt(0)
	s_barrier
	ds_read_b32 v6, v5
	s_load_dword s30, s[28:29], 0x0
	s_waitcnt lgkmcnt(0)
	v_div_scale_f32 v8, s[28:29], s30, s30, v6
	v_rcp_f32_e32 v12, v8
	v_div_scale_f32 v13, vcc, v6, s30, v6
	v_fma_f32 v14, -v8, v12, 1.0
	v_fmac_f32_e32 v12, v14, v12
	v_mul_f32_e32 v14, v13, v12
	v_fma_f32 v15, -v8, v14, v13
	v_fmac_f32_e32 v14, v15, v12
	v_fma_f32 v8, -v8, v14, v13
	v_div_fmas_f32 v8, v8, v12, v14
	v_div_fixup_f32 v6, v8, s30, v6
	s_andn2_b64 vcc, exec, s[34:35]
	s_cbranch_vccnz .LBB35_8
.LBB35_141:                             ;   in Loop: Header=BB35_5 Depth=1
	ds_write_b32 v1, v2
	s_waitcnt lgkmcnt(0)
	s_barrier
	s_and_saveexec_b64 s[28:29], s[18:19]
	s_cbranch_execz .LBB35_143
; %bb.142:                              ;   in Loop: Header=BB35_5 Depth=1
	ds_read2st64_b32 v[12:13], v1 offset1:8
	s_waitcnt lgkmcnt(0)
	v_cmp_lt_f32_e32 vcc, v12, v13
	v_cndmask_b32_e32 v2, v12, v13, vcc
	ds_write_b32 v1, v2
.LBB35_143:                             ;   in Loop: Header=BB35_5 Depth=1
	s_or_b64 exec, exec, s[28:29]
	s_waitcnt lgkmcnt(0)
	s_barrier
	s_and_saveexec_b64 s[28:29], s[20:21]
	s_cbranch_execz .LBB35_145
; %bb.144:                              ;   in Loop: Header=BB35_5 Depth=1
	ds_read2st64_b32 v[12:13], v1 offset1:4
	s_waitcnt lgkmcnt(0)
	v_cmp_lt_f32_e32 vcc, v12, v13
	v_cndmask_b32_e32 v2, v12, v13, vcc
	ds_write_b32 v1, v2
.LBB35_145:                             ;   in Loop: Header=BB35_5 Depth=1
	s_or_b64 exec, exec, s[28:29]
	;; [unrolled: 12-line block ×3, first 2 shown]
	s_waitcnt lgkmcnt(0)
	s_barrier
	s_mov_b64 s[28:29], exec
	v_readlane_b32 s30, v38, 6
	v_readlane_b32 s31, v38, 7
	s_and_b64 s[30:31], s[28:29], s[30:31]
	s_mov_b64 exec, s[30:31]
	s_cbranch_execz .LBB35_149
; %bb.148:                              ;   in Loop: Header=BB35_5 Depth=1
	ds_read2st64_b32 v[12:13], v1 offset1:1
	s_waitcnt lgkmcnt(0)
	v_cmp_lt_f32_e32 vcc, v12, v13
	v_cndmask_b32_e32 v2, v12, v13, vcc
	ds_write_b32 v1, v2
.LBB35_149:                             ;   in Loop: Header=BB35_5 Depth=1
	s_or_b64 exec, exec, s[28:29]
	s_waitcnt lgkmcnt(0)
	s_barrier
	s_mov_b64 s[28:29], exec
	v_readlane_b32 s30, v38, 8
	v_readlane_b32 s31, v38, 9
	s_and_b64 s[30:31], s[28:29], s[30:31]
	s_mov_b64 exec, s[30:31]
	s_cbranch_execz .LBB35_151
; %bb.150:                              ;   in Loop: Header=BB35_5 Depth=1
	ds_read2_b32 v[12:13], v1 offset1:32
	s_waitcnt lgkmcnt(0)
	v_cmp_lt_f32_e32 vcc, v12, v13
	v_cndmask_b32_e32 v2, v12, v13, vcc
	ds_write_b32 v1, v2
.LBB35_151:                             ;   in Loop: Header=BB35_5 Depth=1
	s_or_b64 exec, exec, s[28:29]
	s_waitcnt lgkmcnt(0)
	s_barrier
	s_and_saveexec_b64 s[28:29], s[6:7]
	s_cbranch_execz .LBB35_153
; %bb.152:                              ;   in Loop: Header=BB35_5 Depth=1
	ds_read2_b32 v[12:13], v1 offset1:16
	s_waitcnt lgkmcnt(0)
	v_cmp_lt_f32_e32 vcc, v12, v13
	v_cndmask_b32_e32 v2, v12, v13, vcc
	ds_write_b32 v1, v2
.LBB35_153:                             ;   in Loop: Header=BB35_5 Depth=1
	s_or_b64 exec, exec, s[28:29]
	s_waitcnt lgkmcnt(0)
	s_barrier
	s_and_saveexec_b64 s[28:29], s[8:9]
	;; [unrolled: 12-line block ×5, first 2 shown]
	s_cbranch_execz .LBB35_161
; %bb.160:                              ;   in Loop: Header=BB35_5 Depth=1
	ds_read_b64 v[12:13], v5
	s_waitcnt lgkmcnt(0)
	v_cmp_lt_f32_e32 vcc, v12, v13
	v_cndmask_b32_e32 v2, v12, v13, vcc
	ds_write_b32 v5, v2
.LBB35_161:                             ;   in Loop: Header=BB35_5 Depth=1
	s_or_b64 exec, exec, s[28:29]
	v_readlane_b32 s28, v38, 2
	v_readlane_b32 s29, v38, 3
	s_waitcnt lgkmcnt(0)
	s_barrier
	ds_read_b32 v2, v5
	s_load_dword s30, s[28:29], 0x0
	s_waitcnt lgkmcnt(0)
	v_div_scale_f32 v8, s[28:29], s30, s30, v2
	v_rcp_f32_e32 v12, v8
	v_div_scale_f32 v13, vcc, v2, s30, v2
	v_fma_f32 v14, -v8, v12, 1.0
	v_fmac_f32_e32 v12, v14, v12
	v_mul_f32_e32 v14, v13, v12
	v_fma_f32 v15, -v8, v14, v13
	v_fmac_f32_e32 v14, v15, v12
	v_fma_f32 v8, -v8, v14, v13
	v_div_fmas_f32 v8, v8, v12, v14
	v_div_fixup_f32 v2, v8, s30, v2
	s_and_saveexec_b64 s[28:29], s[16:17]
	s_cbranch_execz .LBB35_172
.LBB35_162:                             ;   in Loop: Header=BB35_5 Depth=1
	s_mov_b64 s[30:31], 0
	v_mov_b32_e32 v12, v4
	s_branch .LBB35_165
.LBB35_163:                             ;   in Loop: Header=BB35_165 Depth=2
	s_or_b64 exec, exec, s[60:61]
	v_lshlrev_b64 v[14:15], 3, v[12:13]
	v_mov_b32_e32 v8, s47
	v_add_co_u32_e32 v16, vcc, s46, v14
	v_addc_co_u32_e32 v17, vcc, v8, v15, vcc
	global_load_dwordx2 v[16:17], v[16:17], off
	v_mov_b32_e32 v8, s45
	v_add_co_u32_e32 v14, vcc, s44, v14
	v_addc_co_u32_e32 v15, vcc, v8, v15, vcc
	s_waitcnt vmcnt(0)
	global_store_dwordx2 v[14:15], v[16:17], off
.LBB35_164:                             ;   in Loop: Header=BB35_165 Depth=2
	s_or_b64 exec, exec, s[72:73]
	v_add_u32_e32 v12, 0x400, v12
	v_cmp_le_u32_e32 vcc, s0, v12
	s_or_b64 s[30:31], vcc, s[30:31]
	s_andn2_b64 exec, exec, s[30:31]
	s_cbranch_execz .LBB35_172
.LBB35_165:                             ;   Parent Loop BB35_5 Depth=1
                                        ; =>  This Loop Header: Depth=2
                                        ;       Child Loop BB35_168 Depth 3
                                        ;       Child Loop BB35_171 Depth 3
	v_cmp_gt_i32_e32 vcc, s71, v12
	s_and_saveexec_b64 s[72:73], vcc
	s_cbranch_execz .LBB35_164
; %bb.166:                              ;   in Loop: Header=BB35_165 Depth=2
	v_ashrrev_i32_e32 v13, 31, v12
	v_lshlrev_b64 v[14:15], 2, v[12:13]
	v_mov_b32_e32 v8, s37
	v_add_co_u32_e32 v16, vcc, s36, v14
	v_addc_co_u32_e32 v17, vcc, v8, v15, vcc
	v_mov_b32_e32 v8, s39
	v_add_co_u32_e32 v18, vcc, s38, v14
	v_addc_co_u32_e32 v19, vcc, v8, v15, vcc
	global_load_dword v16, v[16:17], off
	s_nop 0
	global_load_dword v8, v[18:19], off
	s_waitcnt vmcnt(0)
	v_cmp_lt_i32_e32 vcc, v16, v8
	s_and_saveexec_b64 s[60:61], vcc
	s_cbranch_execz .LBB35_169
; %bb.167:                              ;   in Loop: Header=BB35_165 Depth=2
	v_subrev_u32_e32 v16, s68, v16
	v_ashrrev_i32_e32 v17, 31, v16
	v_lshlrev_b64 v[20:21], 3, v[16:17]
	v_mov_b32_e32 v17, s81
	v_add_co_u32_e32 v18, vcc, s80, v20
	v_addc_co_u32_e32 v19, vcc, v17, v21, vcc
	v_mov_b32_e32 v17, s43
	v_add_co_u32_e32 v20, vcc, s42, v20
	v_subrev_u32_e32 v8, s68, v8
	v_addc_co_u32_e32 v21, vcc, v17, v21, vcc
	s_mov_b64 s[62:63], 0
.LBB35_168:                             ;   Parent Loop BB35_5 Depth=1
                                        ;     Parent Loop BB35_165 Depth=2
                                        ; =>    This Inner Loop Header: Depth=3
	global_load_dwordx2 v[22:23], v[18:19], off
	v_add_co_u32_e32 v18, vcc, 8, v18
	v_add_u32_e32 v16, 1, v16
	v_addc_co_u32_e32 v19, vcc, 0, v19, vcc
	v_cmp_ge_i32_e32 vcc, v16, v8
	s_or_b64 s[62:63], vcc, s[62:63]
	s_waitcnt vmcnt(0)
	global_store_dwordx2 v[20:21], v[22:23], off
	v_add_co_u32_e32 v20, vcc, 8, v20
	v_addc_co_u32_e32 v21, vcc, 0, v21, vcc
	s_andn2_b64 exec, exec, s[62:63]
	s_cbranch_execnz .LBB35_168
.LBB35_169:                             ;   in Loop: Header=BB35_165 Depth=2
	s_or_b64 exec, exec, s[60:61]
	v_mov_b32_e32 v8, s53
	v_add_co_u32_e32 v16, vcc, s52, v14
	v_addc_co_u32_e32 v17, vcc, v8, v15, vcc
	v_mov_b32_e32 v8, s55
	v_add_co_u32_e32 v14, vcc, s54, v14
	v_addc_co_u32_e32 v15, vcc, v8, v15, vcc
	global_load_dword v16, v[16:17], off
	s_nop 0
	global_load_dword v8, v[14:15], off
	s_waitcnt vmcnt(0)
	v_cmp_lt_i32_e32 vcc, v16, v8
	s_and_saveexec_b64 s[60:61], vcc
	s_cbranch_execz .LBB35_163
; %bb.170:                              ;   in Loop: Header=BB35_165 Depth=2
	v_subrev_u32_e32 v14, s69, v16
	v_ashrrev_i32_e32 v15, 31, v14
	v_lshlrev_b64 v[18:19], 3, v[14:15]
	v_mov_b32_e32 v15, s83
	v_add_co_u32_e32 v16, vcc, s82, v18
	v_addc_co_u32_e32 v17, vcc, v15, v19, vcc
	v_mov_b32_e32 v15, s59
	v_add_co_u32_e32 v18, vcc, s58, v18
	v_subrev_u32_e32 v8, s69, v8
	v_addc_co_u32_e32 v19, vcc, v15, v19, vcc
	s_mov_b64 s[62:63], 0
.LBB35_171:                             ;   Parent Loop BB35_5 Depth=1
                                        ;     Parent Loop BB35_165 Depth=2
                                        ; =>    This Inner Loop Header: Depth=3
	global_load_dwordx2 v[20:21], v[16:17], off
	v_add_co_u32_e32 v16, vcc, 8, v16
	v_add_u32_e32 v14, 1, v14
	v_addc_co_u32_e32 v17, vcc, 0, v17, vcc
	v_cmp_ge_i32_e32 vcc, v14, v8
	s_or_b64 s[62:63], vcc, s[62:63]
	s_waitcnt vmcnt(0)
	global_store_dwordx2 v[18:19], v[20:21], off
	v_add_co_u32_e32 v18, vcc, 8, v18
	v_addc_co_u32_e32 v19, vcc, 0, v19, vcc
	s_andn2_b64 exec, exec, s[62:63]
	s_cbranch_execnz .LBB35_171
	s_branch .LBB35_163
.LBB35_172:                             ;   in Loop: Header=BB35_5 Depth=1
	s_or_b64 exec, exec, s[28:29]
	s_mov_b64 s[30:31], -1
	s_mov_b64 s[28:29], -1
	s_and_b64 vcc, exec, s[66:67]
	s_cbranch_vccz .LBB35_182
; %bb.173:                              ;   in Loop: Header=BB35_5 Depth=1
	v_readlane_b32 s60, v38, 12
	v_readlane_b32 s61, v38, 13
	s_and_b64 vcc, exec, s[60:61]
                                        ; implicit-def: $sgpr60_sgpr61
	s_cbranch_vccz .LBB35_179
; %bb.174:                              ;   in Loop: Header=BB35_5 Depth=1
	v_readlane_b32 s60, v38, 4
	v_readlane_b32 s61, v38, 5
	s_and_b64 vcc, exec, s[60:61]
                                        ; implicit-def: $sgpr60_sgpr61
	s_cbranch_vccz .LBB35_176
; %bb.175:                              ;   in Loop: Header=BB35_5 Depth=1
	v_cmp_ge_f32_e32 vcc, s70, v2
	s_mov_b64 s[28:29], 0
	s_and_b64 s[60:61], vcc, exec
.LBB35_176:                             ;   in Loop: Header=BB35_5 Depth=1
	s_andn2_b64 vcc, exec, s[28:29]
	s_cbranch_vccnz .LBB35_178
; %bb.177:                              ;   in Loop: Header=BB35_5 Depth=1
	v_cmp_ge_f32_e32 vcc, s70, v6
	s_andn2_b64 s[28:29], s[60:61], exec
	s_and_b64 s[60:61], vcc, exec
	s_or_b64 s[60:61], s[28:29], s[60:61]
.LBB35_178:                             ;   in Loop: Header=BB35_5 Depth=1
	s_mov_b64 s[28:29], 0
.LBB35_179:                             ;   in Loop: Header=BB35_5 Depth=1
	s_andn2_b64 vcc, exec, s[28:29]
	s_cbranch_vccnz .LBB35_181
; %bb.180:                              ;   in Loop: Header=BB35_5 Depth=1
	v_cmp_ge_f32_e32 vcc, s70, v6
	v_cmp_ge_f32_e64 s[28:29], s70, v2
	s_and_b64 s[28:29], vcc, s[28:29]
	s_andn2_b64 s[60:61], s[60:61], exec
	s_and_b64 s[28:29], s[28:29], exec
	s_or_b64 s[60:61], s[60:61], s[28:29]
.LBB35_181:                             ;   in Loop: Header=BB35_5 Depth=1
	s_xor_b64 s[28:29], s[60:61], -1
.LBB35_182:                             ;   in Loop: Header=BB35_5 Depth=1
	v_mov_b32_e32 v8, s3
	s_and_saveexec_b64 s[60:61], s[28:29]
	s_cbranch_execz .LBB35_4
; %bb.183:                              ;   in Loop: Header=BB35_5 Depth=1
	s_add_i32 s3, s3, 1
	s_cmp_eq_u32 s3, s5
	s_cselect_b64 s[28:29], -1, 0
	v_mov_b32_e32 v8, s5
	s_orn2_b64 s[30:31], s[28:29], exec
	s_branch .LBB35_4
.LBB35_184:
	s_or_b64 exec, exec, s[84:85]
	v_readlane_b32 s4, v38, 10
	v_readlane_b32 s5, v38, 11
	s_load_dwordx4 s[20:23], s[4:5], 0xb8
	v_readlane_b32 s6, v38, 0
	v_readlane_b32 s7, v38, 1
	s_or_b64 exec, exec, s[6:7]
	s_andn2_b64 vcc, exec, s[66:67]
	s_cbranch_vccnz .LBB35_2
.LBB35_185:
	s_movk_i32 s0, 0x200
	v_or_b32_e32 v3, 0x1000, v1
	v_cmp_gt_u32_e32 vcc, s0, v0
	ds_write_b32 v1, v8 offset:4096
	s_waitcnt lgkmcnt(0)
	s_barrier
	s_and_saveexec_b64 s[0:1], vcc
	s_cbranch_execz .LBB35_187
; %bb.186:
	ds_read2st64_b32 v[4:5], v3 offset1:8
	s_waitcnt lgkmcnt(0)
	v_max_i32_e32 v1, v4, v5
	ds_write_b32 v3, v1
.LBB35_187:
	s_or_b64 exec, exec, s[0:1]
	s_movk_i32 s0, 0x100
	v_cmp_gt_u32_e32 vcc, s0, v0
	s_waitcnt lgkmcnt(0)
	s_barrier
	s_and_saveexec_b64 s[0:1], vcc
	s_cbranch_execz .LBB35_189
; %bb.188:
	ds_read2st64_b32 v[4:5], v3 offset1:4
	s_waitcnt lgkmcnt(0)
	v_max_i32_e32 v1, v4, v5
	ds_write_b32 v3, v1
.LBB35_189:
	s_or_b64 exec, exec, s[0:1]
	s_movk_i32 s0, 0x80
	v_cmp_gt_u32_e32 vcc, s0, v0
	s_waitcnt lgkmcnt(0)
	s_barrier
	s_and_saveexec_b64 s[0:1], vcc
	s_cbranch_execz .LBB35_191
; %bb.190:
	ds_read2st64_b32 v[4:5], v3 offset1:2
	s_waitcnt lgkmcnt(0)
	v_max_i32_e32 v1, v4, v5
	ds_write_b32 v3, v1
.LBB35_191:
	s_or_b64 exec, exec, s[0:1]
	v_cmp_gt_u32_e32 vcc, 64, v0
	s_waitcnt lgkmcnt(0)
	s_barrier
	s_and_saveexec_b64 s[0:1], vcc
	s_cbranch_execz .LBB35_193
; %bb.192:
	ds_read2st64_b32 v[4:5], v3 offset1:1
	s_waitcnt lgkmcnt(0)
	v_max_i32_e32 v1, v4, v5
	ds_write_b32 v3, v1
.LBB35_193:
	s_or_b64 exec, exec, s[0:1]
	v_cmp_gt_u32_e32 vcc, 32, v0
	s_waitcnt lgkmcnt(0)
	s_barrier
	s_and_saveexec_b64 s[0:1], vcc
	s_cbranch_execz .LBB35_195
; %bb.194:
	ds_read2_b32 v[4:5], v3 offset1:32
	s_waitcnt lgkmcnt(0)
	v_max_i32_e32 v1, v4, v5
	ds_write_b32 v3, v1
.LBB35_195:
	s_or_b64 exec, exec, s[0:1]
	v_cmp_gt_u32_e32 vcc, 16, v0
	s_waitcnt lgkmcnt(0)
	s_barrier
	s_and_saveexec_b64 s[0:1], vcc
	s_cbranch_execz .LBB35_197
; %bb.196:
	ds_read2_b32 v[4:5], v3 offset1:16
	s_waitcnt lgkmcnt(0)
	v_max_i32_e32 v1, v4, v5
	ds_write_b32 v3, v1
.LBB35_197:
	;; [unrolled: 12-line block ×5, first 2 shown]
	s_or_b64 exec, exec, s[0:1]
	v_cmp_eq_u32_e32 vcc, 0, v0
	s_waitcnt lgkmcnt(0)
	s_barrier
	s_and_saveexec_b64 s[0:1], vcc
	s_cbranch_execz .LBB35_205
; %bb.204:
	v_mov_b32_e32 v1, 0
	ds_read_b64 v[4:5], v1 offset:4096
	s_waitcnt lgkmcnt(0)
	v_max_i32_e32 v3, v4, v5
	ds_write_b32 v1, v3 offset:4096
.LBB35_205:
	s_or_b64 exec, exec, s[0:1]
	s_waitcnt lgkmcnt(0)
	s_barrier
	s_and_saveexec_b64 s[0:1], vcc
	s_cbranch_execz .LBB35_208
; %bb.206:
	v_mbcnt_lo_u32_b32 v1, exec_lo, 0
	v_mbcnt_hi_u32_b32 v1, exec_hi, v1
	v_cmp_eq_u32_e32 vcc, 0, v1
	s_and_b64 exec, exec, vcc
	s_cbranch_execz .LBB35_208
; %bb.207:
	v_mov_b32_e32 v1, 0
	ds_read_b32 v3, v1 offset:4096
	s_load_dwordx2 s[2:3], s[4:5], 0x8
	s_waitcnt lgkmcnt(0)
	v_add_u32_e32 v3, 1, v3
	global_atomic_smax v1, v3, s[2:3]
.LBB35_208:
	s_or_b64 exec, exec, s[0:1]
	v_cmp_eq_u32_e32 vcc, 0, v0
	s_and_b64 s[0:1], vcc, s[64:65]
	s_and_saveexec_b64 s[4:5], s[0:1]
	s_cbranch_execz .LBB35_213
.LBB35_209:
	v_mov_b32_e32 v0, 0
	s_waitcnt lgkmcnt(0)
	global_load_dword v7, v0, s[20:21] glc
	s_brev_b32 s2, 1
	v_cmp_eq_f32_e64 s[0:1], 0, v6
	s_mov_b64 s[6:7], 0
                                        ; implicit-def: $sgpr8_sgpr9
                                        ; implicit-def: $sgpr12_sgpr13
	s_waitcnt vmcnt(0)
	v_cmp_eq_u32_e64 s[10:11], s2, v7
	s_branch .LBB35_211
.LBB35_210:                             ;   in Loop: Header=BB35_211 Depth=1
	s_or_b64 exec, exec, s[14:15]
	s_and_b64 s[2:3], exec, s[8:9]
	s_or_b64 s[6:7], s[2:3], s[6:7]
	s_andn2_b64 s[2:3], s[10:11], exec
	s_and_b64 s[10:11], s[12:13], exec
	s_or_b64 s[10:11], s[2:3], s[10:11]
	s_andn2_b64 exec, exec, s[6:7]
	s_cbranch_execz .LBB35_213
.LBB35_211:                             ; =>This Inner Loop Header: Depth=1
	v_cmp_lt_f32_e64 s[2:3], v7, v6
	s_and_b64 s[14:15], s[0:1], s[10:11]
	s_or_b64 s[2:3], s[2:3], s[14:15]
	s_andn2_b64 s[12:13], s[12:13], exec
	s_or_b64 s[8:9], s[8:9], exec
	s_and_saveexec_b64 s[14:15], s[2:3]
	s_cbranch_execz .LBB35_210
; %bb.212:                              ;   in Loop: Header=BB35_211 Depth=1
	global_atomic_cmpswap v1, v0, v[6:7], s[20:21] glc
	s_andn2_b64 s[12:13], s[12:13], exec
	s_andn2_b64 s[8:9], s[8:9], exec
                                        ; implicit-def: $sgpr10_sgpr11
	s_waitcnt vmcnt(0)
	v_cmp_eq_u32_e64 s[2:3], v1, v7
	v_cndmask_b32_e64 v3, v1, v7, s[2:3]
	v_cmp_class_f32_e64 s[16:17], v3, 32
	s_and_b64 s[2:3], s[2:3], exec
	s_and_b64 s[16:17], s[16:17], exec
	s_or_b64 s[8:9], s[8:9], s[2:3]
	s_or_b64 s[12:13], s[12:13], s[16:17]
	v_mov_b32_e32 v7, v1
	s_branch .LBB35_210
.LBB35_213:
	s_or_b64 exec, exec, s[4:5]
	s_and_b64 s[0:1], vcc, s[34:35]
	s_and_saveexec_b64 s[2:3], s[0:1]
	s_cbranch_execz .LBB35_218
; %bb.214:
	v_mov_b32_e32 v0, 0
	s_waitcnt lgkmcnt(0)
	global_load_dword v3, v0, s[22:23] glc
	s_brev_b32 s0, 1
	v_cmp_eq_f32_e32 vcc, 0, v2
	s_mov_b64 s[2:3], 0
                                        ; implicit-def: $sgpr4_sgpr5
                                        ; implicit-def: $sgpr8_sgpr9
	s_waitcnt vmcnt(0)
	v_cmp_eq_u32_e64 s[6:7], s0, v3
	s_branch .LBB35_216
.LBB35_215:                             ;   in Loop: Header=BB35_216 Depth=1
	s_or_b64 exec, exec, s[10:11]
	s_and_b64 s[0:1], exec, s[4:5]
	s_or_b64 s[2:3], s[0:1], s[2:3]
	s_andn2_b64 s[0:1], s[6:7], exec
	s_and_b64 s[6:7], s[8:9], exec
	s_or_b64 s[6:7], s[0:1], s[6:7]
	s_andn2_b64 exec, exec, s[2:3]
	s_cbranch_execz .LBB35_218
.LBB35_216:                             ; =>This Inner Loop Header: Depth=1
	v_cmp_lt_f32_e64 s[0:1], v3, v2
	s_and_b64 s[10:11], vcc, s[6:7]
	s_or_b64 s[0:1], s[0:1], s[10:11]
	s_andn2_b64 s[8:9], s[8:9], exec
	s_or_b64 s[4:5], s[4:5], exec
	s_and_saveexec_b64 s[10:11], s[0:1]
	s_cbranch_execz .LBB35_215
; %bb.217:                              ;   in Loop: Header=BB35_216 Depth=1
	global_atomic_cmpswap v1, v0, v[2:3], s[22:23] glc
	s_andn2_b64 s[8:9], s[8:9], exec
	s_andn2_b64 s[4:5], s[4:5], exec
                                        ; implicit-def: $sgpr6_sgpr7
	s_waitcnt vmcnt(0)
	v_cmp_eq_u32_e64 s[0:1], v1, v3
	v_cndmask_b32_e64 v3, v1, v3, s[0:1]
	v_cmp_class_f32_e64 s[12:13], v3, 32
	s_and_b64 s[0:1], s[0:1], exec
	s_and_b64 s[12:13], s[12:13], exec
	s_or_b64 s[4:5], s[4:5], s[0:1]
	s_or_b64 s[8:9], s[8:9], s[12:13]
	v_mov_b32_e32 v3, v1
	s_branch .LBB35_215
.LBB35_218:
	s_endpgm
	.section	.rodata,"a",@progbits
	.p2align	6, 0x0
	.amdhsa_kernel _ZN9rocsparseL6kernelILi1024ELi1E21rocsparse_complex_numIfEiiEEvbbbT3_PS3_NS_15floating_traitsIT1_E6data_tES3_T2_PKS9_SB_PKS3_PKS6_21rocsparse_index_base_SB_SB_SD_PS6_SH_SG_SB_SB_SD_SH_SH_SG_SH_SH_PS8_SI_PKS8_
		.amdhsa_group_segment_fixed_size 8192
		.amdhsa_private_segment_fixed_size 0
		.amdhsa_kernarg_size 208
		.amdhsa_user_sgpr_count 6
		.amdhsa_user_sgpr_private_segment_buffer 1
		.amdhsa_user_sgpr_dispatch_ptr 0
		.amdhsa_user_sgpr_queue_ptr 0
		.amdhsa_user_sgpr_kernarg_segment_ptr 1
		.amdhsa_user_sgpr_dispatch_id 0
		.amdhsa_user_sgpr_flat_scratch_init 0
		.amdhsa_user_sgpr_kernarg_preload_length 0
		.amdhsa_user_sgpr_kernarg_preload_offset 0
		.amdhsa_user_sgpr_private_segment_size 0
		.amdhsa_uses_dynamic_stack 0
		.amdhsa_system_sgpr_private_segment_wavefront_offset 0
		.amdhsa_system_sgpr_workgroup_id_x 1
		.amdhsa_system_sgpr_workgroup_id_y 0
		.amdhsa_system_sgpr_workgroup_id_z 0
		.amdhsa_system_sgpr_workgroup_info 0
		.amdhsa_system_vgpr_workitem_id 0
		.amdhsa_next_free_vgpr 39
		.amdhsa_next_free_sgpr 96
		.amdhsa_accum_offset 40
		.amdhsa_reserve_vcc 1
		.amdhsa_reserve_flat_scratch 0
		.amdhsa_float_round_mode_32 0
		.amdhsa_float_round_mode_16_64 0
		.amdhsa_float_denorm_mode_32 3
		.amdhsa_float_denorm_mode_16_64 3
		.amdhsa_dx10_clamp 1
		.amdhsa_ieee_mode 1
		.amdhsa_fp16_overflow 0
		.amdhsa_tg_split 0
		.amdhsa_exception_fp_ieee_invalid_op 0
		.amdhsa_exception_fp_denorm_src 0
		.amdhsa_exception_fp_ieee_div_zero 0
		.amdhsa_exception_fp_ieee_overflow 0
		.amdhsa_exception_fp_ieee_underflow 0
		.amdhsa_exception_fp_ieee_inexact 0
		.amdhsa_exception_int_div_zero 0
	.end_amdhsa_kernel
	.section	.text._ZN9rocsparseL6kernelILi1024ELi1E21rocsparse_complex_numIfEiiEEvbbbT3_PS3_NS_15floating_traitsIT1_E6data_tES3_T2_PKS9_SB_PKS3_PKS6_21rocsparse_index_base_SB_SB_SD_PS6_SH_SG_SB_SB_SD_SH_SH_SG_SH_SH_PS8_SI_PKS8_,"axG",@progbits,_ZN9rocsparseL6kernelILi1024ELi1E21rocsparse_complex_numIfEiiEEvbbbT3_PS3_NS_15floating_traitsIT1_E6data_tES3_T2_PKS9_SB_PKS3_PKS6_21rocsparse_index_base_SB_SB_SD_PS6_SH_SG_SB_SB_SD_SH_SH_SG_SH_SH_PS8_SI_PKS8_,comdat
.Lfunc_end35:
	.size	_ZN9rocsparseL6kernelILi1024ELi1E21rocsparse_complex_numIfEiiEEvbbbT3_PS3_NS_15floating_traitsIT1_E6data_tES3_T2_PKS9_SB_PKS3_PKS6_21rocsparse_index_base_SB_SB_SD_PS6_SH_SG_SB_SB_SD_SH_SH_SG_SH_SH_PS8_SI_PKS8_, .Lfunc_end35-_ZN9rocsparseL6kernelILi1024ELi1E21rocsparse_complex_numIfEiiEEvbbbT3_PS3_NS_15floating_traitsIT1_E6data_tES3_T2_PKS9_SB_PKS3_PKS6_21rocsparse_index_base_SB_SB_SD_PS6_SH_SG_SB_SB_SD_SH_SH_SG_SH_SH_PS8_SI_PKS8_
                                        ; -- End function
	.section	.AMDGPU.csdata,"",@progbits
; Kernel info:
; codeLenInByte = 8604
; NumSgprs: 100
; NumVgprs: 39
; NumAgprs: 0
; TotalNumVgprs: 39
; ScratchSize: 0
; MemoryBound: 0
; FloatMode: 240
; IeeeMode: 1
; LDSByteSize: 8192 bytes/workgroup (compile time only)
; SGPRBlocks: 12
; VGPRBlocks: 4
; NumSGPRsForWavesPerEU: 100
; NumVGPRsForWavesPerEU: 39
; AccumOffset: 40
; Occupancy: 8
; WaveLimiterHint : 1
; COMPUTE_PGM_RSRC2:SCRATCH_EN: 0
; COMPUTE_PGM_RSRC2:USER_SGPR: 6
; COMPUTE_PGM_RSRC2:TRAP_HANDLER: 0
; COMPUTE_PGM_RSRC2:TGID_X_EN: 1
; COMPUTE_PGM_RSRC2:TGID_Y_EN: 0
; COMPUTE_PGM_RSRC2:TGID_Z_EN: 0
; COMPUTE_PGM_RSRC2:TIDIG_COMP_CNT: 0
; COMPUTE_PGM_RSRC3_GFX90A:ACCUM_OFFSET: 9
; COMPUTE_PGM_RSRC3_GFX90A:TG_SPLIT: 0
	.section	.text._ZN9rocsparseL6kernelILi1024ELi2E21rocsparse_complex_numIfEiiEEvbbbT3_PS3_NS_15floating_traitsIT1_E6data_tES3_T2_PKS9_SB_PKS3_PKS6_21rocsparse_index_base_SB_SB_SD_PS6_SH_SG_SB_SB_SD_SH_SH_SG_SH_SH_PS8_SI_PKS8_,"axG",@progbits,_ZN9rocsparseL6kernelILi1024ELi2E21rocsparse_complex_numIfEiiEEvbbbT3_PS3_NS_15floating_traitsIT1_E6data_tES3_T2_PKS9_SB_PKS3_PKS6_21rocsparse_index_base_SB_SB_SD_PS6_SH_SG_SB_SB_SD_SH_SH_SG_SH_SH_PS8_SI_PKS8_,comdat
	.globl	_ZN9rocsparseL6kernelILi1024ELi2E21rocsparse_complex_numIfEiiEEvbbbT3_PS3_NS_15floating_traitsIT1_E6data_tES3_T2_PKS9_SB_PKS3_PKS6_21rocsparse_index_base_SB_SB_SD_PS6_SH_SG_SB_SB_SD_SH_SH_SG_SH_SH_PS8_SI_PKS8_ ; -- Begin function _ZN9rocsparseL6kernelILi1024ELi2E21rocsparse_complex_numIfEiiEEvbbbT3_PS3_NS_15floating_traitsIT1_E6data_tES3_T2_PKS9_SB_PKS3_PKS6_21rocsparse_index_base_SB_SB_SD_PS6_SH_SG_SB_SB_SD_SH_SH_SG_SH_SH_PS8_SI_PKS8_
	.p2align	8
	.type	_ZN9rocsparseL6kernelILi1024ELi2E21rocsparse_complex_numIfEiiEEvbbbT3_PS3_NS_15floating_traitsIT1_E6data_tES3_T2_PKS9_SB_PKS3_PKS6_21rocsparse_index_base_SB_SB_SD_PS6_SH_SG_SB_SB_SD_SH_SH_SG_SH_SH_PS8_SI_PKS8_,@function
_ZN9rocsparseL6kernelILi1024ELi2E21rocsparse_complex_numIfEiiEEvbbbT3_PS3_NS_15floating_traitsIT1_E6data_tES3_T2_PKS9_SB_PKS3_PKS6_21rocsparse_index_base_SB_SB_SD_PS6_SH_SG_SB_SB_SD_SH_SH_SG_SH_SH_PS8_SI_PKS8_: ; @_ZN9rocsparseL6kernelILi1024ELi2E21rocsparse_complex_numIfEiiEEvbbbT3_PS3_NS_15floating_traitsIT1_E6data_tES3_T2_PKS9_SB_PKS3_PKS6_21rocsparse_index_base_SB_SB_SD_PS6_SH_SG_SB_SB_SD_SH_SH_SG_SH_SH_PS8_SI_PKS8_
; %bb.0:
	s_load_dword s0, s[4:5], 0x0
	s_load_dwordx2 s[2:3], s[4:5], 0x0
	s_load_dwordx2 s[74:75], s[4:5], 0x10
	s_load_dwordx4 s[20:23], s[4:5], 0xb8
	v_lshrrev_b32_e32 v3, 1, v0
	s_waitcnt lgkmcnt(0)
	s_bitcmp1_b32 s0, 0
	s_cselect_b64 s[70:71], -1, 0
	s_bitcmp1_b32 s0, 8
	s_cselect_b64 s[68:69], -1, 0
	;; [unrolled: 2-line block ×3, first 2 shown]
	s_lshl_b32 s10, s6, 10
	s_mov_b32 s1, s3
                                        ; implicit-def: $vgpr44 : SGPR spill to VGPR lane
	v_or_b32_e32 v30, s10, v3
	v_writelane_b32 v44, s0, 0
	s_cmp_gt_i32 s3, 0
	v_cmp_gt_i32_e32 vcc, s75, v30
	v_writelane_b32 v44, s1, 1
	s_cselect_b64 s[0:1], -1, 0
	v_and_b32_e32 v5, 1, v0
	v_lshlrev_b32_e32 v1, 2, v0
	v_mov_b32_e32 v6, 0
	s_and_b64 s[0:1], s[0:1], vcc
	s_mov_b32 s78, 0
	v_mov_b32_e32 v4, 0
	v_mov_b32_e32 v2, 0
	ds_write_b32 v1, v6
	s_waitcnt lgkmcnt(0)
	s_barrier
	s_and_saveexec_b64 s[2:3], s[0:1]
	s_cbranch_execnz .LBB36_3
; %bb.1:
	s_or_b64 exec, exec, s[2:3]
	s_andn2_b64 vcc, exec, s[70:71]
	s_cbranch_vccz .LBB36_190
.LBB36_2:
	v_cmp_eq_u32_e32 vcc, 0, v0
	s_and_b64 s[0:1], vcc, s[68:69]
	s_and_saveexec_b64 s[4:5], s[0:1]
	s_cbranch_execnz .LBB36_214
	s_branch .LBB36_218
.LBB36_3:
	s_load_dwordx2 s[0:1], s[4:5], 0xc8
	v_writelane_b32 v44, s2, 2
	v_writelane_b32 v44, s3, 3
	s_load_dwordx4 s[64:67], s[4:5], 0xa8
	s_load_dwordx8 s[36:43], s[4:5], 0x78
	s_load_dwordx8 s[44:51], s[4:5], 0x48
	;; [unrolled: 1-line block ×3, first 2 shown]
	s_load_dword s33, s[4:5], 0x40
	s_load_dwordx2 s[84:85], s[4:5], 0x68
	s_load_dword s8, s[4:5], 0x70
	s_load_dwordx2 s[86:87], s[4:5], 0x98
	s_waitcnt lgkmcnt(0)
	v_writelane_b32 v44, s0, 4
	v_writelane_b32 v44, s1, 5
	s_xor_b64 s[0:1], s[68:69], -1
	v_writelane_b32 v44, s0, 6
	v_writelane_b32 v44, s1, 7
	;; [unrolled: 1-line block ×3, first 2 shown]
	s_addk_i32 s10, 0x400
	v_writelane_b32 v44, s5, 9
	v_cmp_gt_u32_e64 s[0:1], s10, v30
	v_writelane_b32 v44, s0, 10
	v_writelane_b32 v44, s1, 11
	v_cmp_ne_u32_e64 s[0:1], 0, v5
	v_writelane_b32 v44, s0, 12
	v_writelane_b32 v44, s1, 13
	s_movk_i32 s0, 0x100
	v_cmp_gt_u32_e64 s[0:1], s0, v0
	v_writelane_b32 v44, s0, 14
	v_writelane_b32 v44, s1, 15
	s_movk_i32 s0, 0x80
	v_cmp_gt_u32_e64 s[0:1], s0, v0
	s_load_dword s9, s[4:5], 0xa0
	v_writelane_b32 v44, s0, 16
	v_writelane_b32 v44, s1, 17
	v_cmp_gt_u32_e64 s[0:1], 64, v0
	v_writelane_b32 v44, s0, 18
	v_writelane_b32 v44, s1, 19
	s_and_b64 s[0:1], s[68:69], s[34:35]
	s_xor_b64 s[0:1], s[0:1], -1
	v_subrev_u32_e32 v31, s33, v5
	v_cmp_eq_u32_e64 s[2:3], 0, v5
	v_lshlrev_b32_e32 v32, 2, v3
	v_cmp_gt_u32_e64 s[14:15], 32, v0
	v_cmp_gt_u32_e64 s[16:17], 16, v0
	;; [unrolled: 1-line block ×5, first 2 shown]
	v_cmp_eq_u32_e64 s[24:25], 0, v0
	v_subrev_u32_e32 v33, s8, v5
	s_waitcnt lgkmcnt(0)
	v_subrev_u32_e32 v34, s9, v5
	v_writelane_b32 v44, s0, 20
	s_mov_b64 s[90:91], 0
	v_mov_b32_e32 v7, 0
	s_mov_b32 s11, 0xf800000
	v_mov_b32_e32 v35, 0x260
	s_movk_i32 s12, 0x1f8
	v_mov_b32_e32 v36, 0
	v_mov_b32_e32 v2, 0
	;; [unrolled: 1-line block ×3, first 2 shown]
	s_mov_b32 s13, 0
	v_writelane_b32 v44, s1, 21
	s_branch .LBB36_5
.LBB36_4:                               ;   in Loop: Header=BB36_5 Depth=1
	s_or_b64 exec, exec, s[4:5]
	s_and_b64 s[0:1], exec, s[28:29]
	s_or_b64 s[90:91], s[0:1], s[90:91]
	s_andn2_b64 exec, exec, s[90:91]
	s_cbranch_execz .LBB36_189
.LBB36_5:                               ; =>This Loop Header: Depth=1
                                        ;     Child Loop BB36_9 Depth 2
                                        ;       Child Loop BB36_14 Depth 3
                                        ;         Child Loop BB36_18 Depth 4
                                        ;         Child Loop BB36_53 Depth 4
	;; [unrolled: 1-line block ×5, first 2 shown]
                                        ;     Child Loop BB36_168 Depth 2
                                        ;       Child Loop BB36_171 Depth 3
                                        ;       Child Loop BB36_174 Depth 3
	v_cndmask_b32_e64 v4, v4, 0, s[68:69]
	v_cndmask_b32_e64 v2, v2, 0, s[34:35]
	s_mov_b64 s[92:93], -1
	s_mov_b32 s0, 0
	s_branch .LBB36_9
.LBB36_6:                               ;   in Loop: Header=BB36_9 Depth=2
	s_or_b64 exec, exec, s[82:83]
.LBB36_7:                               ;   in Loop: Header=BB36_9 Depth=2
	s_or_b64 exec, exec, s[76:77]
.LBB36_8:                               ;   in Loop: Header=BB36_9 Depth=2
	s_or_b64 exec, exec, s[94:95]
	s_xor_b64 s[4:5], s[92:93], -1
	s_movk_i32 s0, 0x200
	s_mov_b64 s[92:93], 0
	s_and_b64 vcc, exec, s[4:5]
	s_cbranch_vccnz .LBB36_121
.LBB36_9:                               ;   Parent Loop BB36_5 Depth=1
                                        ; =>  This Loop Header: Depth=2
                                        ;       Child Loop BB36_14 Depth 3
                                        ;         Child Loop BB36_18 Depth 4
                                        ;         Child Loop BB36_53 Depth 4
	;; [unrolled: 1-line block ×5, first 2 shown]
	v_or_b32_e32 v8, s0, v30
	v_cmp_gt_i32_e32 vcc, s75, v8
	s_and_saveexec_b64 s[94:95], vcc
	s_cbranch_execz .LBB36_8
; %bb.10:                               ;   in Loop: Header=BB36_9 Depth=2
	v_ashrrev_i32_e32 v9, 31, v8
	v_lshlrev_b64 v[12:13], 2, v[8:9]
	v_mov_b32_e32 v6, s53
	v_add_co_u32_e32 v10, vcc, s52, v12
	v_addc_co_u32_e32 v11, vcc, v6, v13, vcc
	global_load_dword v6, v[10:11], off
	v_mov_b32_e32 v9, s55
	v_add_co_u32_e32 v10, vcc, s54, v12
	v_addc_co_u32_e32 v11, vcc, v9, v13, vcc
	global_load_dword v9, v[10:11], off
	s_waitcnt vmcnt(1)
	v_add_u32_e32 v10, v31, v6
	s_waitcnt vmcnt(0)
	v_subrev_u32_e32 v9, s33, v9
	v_cmp_lt_i32_e32 vcc, v10, v9
	s_and_saveexec_b64 s[76:77], vcc
	s_cbranch_execz .LBB36_7
; %bb.11:                               ;   in Loop: Header=BB36_9 Depth=2
	v_mov_b32_e32 v6, s47
	v_add_co_u32_e32 v14, vcc, s46, v12
	v_addc_co_u32_e32 v15, vcc, v6, v13, vcc
	v_mov_b32_e32 v6, s45
	v_add_co_u32_e32 v12, vcc, s44, v12
	v_addc_co_u32_e32 v13, vcc, v6, v13, vcc
	global_load_dword v6, v[12:13], off
	global_load_dword v11, v[14:15], off
	v_mov_b32_e32 v18, s49
	v_mov_b32_e32 v19, s51
	s_mov_b64 s[82:83], 0
	s_waitcnt vmcnt(1)
	v_subrev_u32_e32 v12, s8, v6
	v_ashrrev_i32_e32 v13, 31, v12
	v_lshlrev_b64 v[14:15], 2, v[12:13]
	v_lshlrev_b64 v[16:17], 3, v[12:13]
	v_add_co_u32_e32 v13, vcc, s48, v14
	v_addc_co_u32_e32 v38, vcc, v18, v15, vcc
	s_waitcnt vmcnt(0)
	v_sub_u32_e32 v37, v11, v6
	v_add_co_u32_e32 v39, vcc, s50, v16
	v_cmp_lt_i32_e64 s[26:27], 0, v37
	v_addc_co_u32_e32 v40, vcc, v19, v17, vcc
	s_branch .LBB36_14
.LBB36_12:                              ;   in Loop: Header=BB36_14 Depth=3
	s_or_b64 exec, exec, s[0:1]
.LBB36_13:                              ;   in Loop: Header=BB36_14 Depth=3
	s_or_b64 exec, exec, s[30:31]
	v_add_u32_e32 v10, 2, v10
	v_cmp_ge_i32_e32 vcc, v10, v9
	s_or_b64 s[82:83], vcc, s[82:83]
	s_andn2_b64 exec, exec, s[82:83]
	s_cbranch_execz .LBB36_6
.LBB36_14:                              ;   Parent Loop BB36_5 Depth=1
                                        ;     Parent Loop BB36_9 Depth=2
                                        ; =>    This Loop Header: Depth=3
                                        ;         Child Loop BB36_18 Depth 4
                                        ;         Child Loop BB36_53 Depth 4
	;; [unrolled: 1-line block ×5, first 2 shown]
	v_ashrrev_i32_e32 v11, 31, v10
	v_lshlrev_b64 v[14:15], 2, v[10:11]
	v_mov_b32_e32 v6, s57
	v_add_co_u32_e32 v14, vcc, s56, v14
	v_addc_co_u32_e32 v15, vcc, v6, v15, vcc
	global_load_dword v6, v[14:15], off
	v_mov_b32_e32 v19, s37
	v_mov_b32_e32 v20, s39
	s_mov_b32 s79, s78
	v_mov_b32_e32 v22, 0
	s_waitcnt vmcnt(0)
	v_subrev_u32_e32 v14, s33, v6
	v_ashrrev_i32_e32 v15, 31, v14
	v_lshlrev_b64 v[16:17], 2, v[14:15]
	v_add_co_u32_e32 v18, vcc, s36, v16
	v_addc_co_u32_e32 v19, vcc, v19, v17, vcc
	v_add_co_u32_e32 v16, vcc, s38, v16
	v_addc_co_u32_e32 v17, vcc, v20, v17, vcc
	global_load_dword v18, v[18:19], off
	s_nop 0
	global_load_dword v19, v[16:17], off
	v_mov_b32_e32 v6, 0
	v_pk_mov_b32 v[16:17], s[78:79], s[78:79] op_sel:[0,1]
	s_waitcnt vmcnt(1)
	v_subrev_u32_e32 v20, s9, v18
	s_waitcnt vmcnt(0)
	v_sub_u32_e32 v41, v19, v18
	s_and_saveexec_b64 s[28:29], s[26:27]
	s_cbranch_execz .LBB36_22
; %bb.15:                               ;   in Loop: Header=BB36_14 Depth=3
	v_ashrrev_i32_e32 v21, 31, v20
	v_lshlrev_b64 v[16:17], 2, v[20:21]
	v_mov_b32_e32 v6, s41
	v_add_co_u32_e32 v18, vcc, s40, v16
	v_addc_co_u32_e32 v19, vcc, v6, v17, vcc
	v_lshlrev_b64 v[16:17], 3, v[20:21]
	v_mov_b32_e32 v6, s43
	v_add_co_u32_e32 v21, vcc, s42, v16
	v_mov_b32_e32 v22, 0
	v_addc_co_u32_e32 v24, vcc, v6, v17, vcc
	s_mov_b64 s[30:31], 0
	v_pk_mov_b32 v[16:17], s[78:79], s[78:79] op_sel:[0,1]
	v_mov_b32_e32 v6, v22
                                        ; implicit-def: $sgpr60_sgpr61
	s_branch .LBB36_18
.LBB36_16:                              ;   in Loop: Header=BB36_18 Depth=4
	s_or_b64 exec, exec, s[0:1]
	v_cmp_le_i32_e32 vcc, v25, v26
	v_addc_co_u32_e32 v6, vcc, 0, v6, vcc
	v_cmp_ge_i32_e32 vcc, v25, v26
	v_addc_co_u32_e32 v22, vcc, 0, v22, vcc
	v_cmp_ge_i32_e32 vcc, v6, v37
	s_andn2_b64 s[0:1], s[60:61], exec
	s_and_b64 s[4:5], vcc, exec
	s_or_b64 s[60:61], s[0:1], s[4:5]
.LBB36_17:                              ;   in Loop: Header=BB36_18 Depth=4
	s_or_b64 exec, exec, s[62:63]
	s_and_b64 s[0:1], exec, s[60:61]
	s_or_b64 s[30:31], s[0:1], s[30:31]
	s_andn2_b64 exec, exec, s[30:31]
	s_cbranch_execz .LBB36_21
.LBB36_18:                              ;   Parent Loop BB36_5 Depth=1
                                        ;     Parent Loop BB36_9 Depth=2
                                        ;       Parent Loop BB36_14 Depth=3
                                        ; =>      This Inner Loop Header: Depth=4
	v_cmp_lt_i32_e32 vcc, v22, v41
	s_or_b64 s[60:61], s[60:61], exec
	s_and_saveexec_b64 s[62:63], vcc
	s_cbranch_execz .LBB36_17
; %bb.19:                               ;   in Loop: Header=BB36_18 Depth=4
	v_lshlrev_b64 v[26:27], 2, v[6:7]
	v_add_co_u32_e32 v26, vcc, v13, v26
	v_addc_co_u32_e32 v27, vcc, v38, v27, vcc
	v_mov_b32_e32 v23, v7
	global_load_dword v25, v[26:27], off
	v_lshlrev_b64 v[26:27], 2, v[22:23]
	v_add_co_u32_e32 v26, vcc, v18, v26
	v_addc_co_u32_e32 v27, vcc, v19, v27, vcc
	global_load_dword v26, v[26:27], off
	s_waitcnt vmcnt(1)
	v_subrev_u32_e32 v25, s8, v25
	s_waitcnt vmcnt(0)
	v_subrev_u32_e32 v26, s9, v26
	v_cmp_eq_u32_e32 vcc, v25, v26
	s_and_saveexec_b64 s[0:1], vcc
	s_cbranch_execz .LBB36_16
; %bb.20:                               ;   in Loop: Header=BB36_18 Depth=4
	v_lshlrev_b64 v[28:29], 3, v[6:7]
	v_add_co_u32_e32 v28, vcc, v39, v28
	v_addc_co_u32_e32 v29, vcc, v40, v29, vcc
	v_lshlrev_b64 v[42:43], 3, v[22:23]
	v_add_co_u32_e32 v42, vcc, v21, v42
	v_addc_co_u32_e32 v43, vcc, v24, v43, vcc
	global_load_dwordx2 v[42:43], v[42:43], off
	s_nop 0
	global_load_dwordx2 v[28:29], v[28:29], off
	s_waitcnt vmcnt(0)
	v_pk_fma_f32 v[16:17], v[28:29], v[42:43], v[16:17] op_sel_hi:[1,0,1]
	v_pk_fma_f32 v[16:17], v[28:29], v[42:43], v[16:17] op_sel:[1,1,0] op_sel_hi:[0,1,1] neg_lo:[1,0,0]
	s_branch .LBB36_16
.LBB36_21:                              ;   in Loop: Header=BB36_14 Depth=3
	s_or_b64 exec, exec, s[30:31]
.LBB36_22:                              ;   in Loop: Header=BB36_14 Depth=3
	s_or_b64 exec, exec, s[28:29]
	v_lshlrev_b64 v[18:19], 3, v[10:11]
	v_mov_b32_e32 v11, s59
	v_add_co_u32_e32 v18, vcc, s58, v18
	v_addc_co_u32_e32 v19, vcc, v11, v19, vcc
	global_load_dwordx2 v[18:19], v[18:19], off
	v_cmp_le_i32_e64 s[28:29], v8, v14
	v_cmp_gt_i32_e32 vcc, v8, v14
	s_waitcnt vmcnt(0)
	v_pk_add_f32 v[24:25], v[18:19], v[16:17] neg_lo:[0,1] neg_hi:[0,1]
	s_and_saveexec_b64 s[60:61], vcc
	s_cbranch_execz .LBB36_32
; %bb.23:                               ;   in Loop: Header=BB36_14 Depth=3
	v_lshlrev_b64 v[26:27], 3, v[14:15]
	v_mov_b32_e32 v11, s65
	v_add_co_u32_e32 v26, vcc, s64, v26
	v_addc_co_u32_e32 v27, vcc, v11, v27, vcc
	global_load_dwordx2 v[26:27], v[26:27], off
                                        ; implicit-def: $vgpr23
	s_waitcnt vmcnt(0)
	v_cmp_gt_f32_e32 vcc, 0, v26
	v_cndmask_b32_e64 v11, v26, -v26, vcc
	v_cmp_gt_f32_e32 vcc, 0, v27
	v_cndmask_b32_e64 v21, v27, -v27, vcc
	v_cmp_ngt_f32_e32 vcc, v11, v21
	s_and_saveexec_b64 s[0:1], vcc
	s_xor_b64 s[0:1], exec, s[0:1]
	s_cbranch_execz .LBB36_27
; %bb.24:                               ;   in Loop: Header=BB36_14 Depth=3
	v_cmp_neq_f32_e32 vcc, 0, v27
	v_mov_b32_e32 v23, 0
	s_and_saveexec_b64 s[4:5], vcc
	s_cbranch_execz .LBB36_26
; %bb.25:                               ;   in Loop: Header=BB36_14 Depth=3
	v_div_scale_f32 v23, s[6:7], v21, v21, v11
	v_rcp_f32_e32 v28, v23
	v_div_scale_f32 v29, vcc, v11, v21, v11
	v_fma_f32 v42, -v23, v28, 1.0
	v_fmac_f32_e32 v28, v42, v28
	v_mul_f32_e32 v42, v29, v28
	v_fma_f32 v43, -v23, v42, v29
	v_fmac_f32_e32 v42, v43, v28
	v_fma_f32 v23, -v23, v42, v29
	v_div_fmas_f32 v23, v23, v28, v42
	v_div_fixup_f32 v11, v23, v21, v11
	v_fma_f32 v11, v11, v11, 1.0
	v_mul_f32_e32 v23, 0x4f800000, v11
	v_cmp_gt_f32_e32 vcc, s11, v11
	v_cndmask_b32_e32 v11, v11, v23, vcc
	v_sqrt_f32_e32 v23, v11
	v_add_u32_e32 v28, -1, v23
	v_fma_f32 v42, -v28, v23, v11
	v_add_u32_e32 v29, 1, v23
	v_cmp_ge_f32_e64 s[30:31], 0, v42
	v_cndmask_b32_e64 v28, v23, v28, s[30:31]
	v_fma_f32 v23, -v29, v23, v11
	v_cmp_lt_f32_e64 s[30:31], 0, v23
	v_cndmask_b32_e64 v23, v28, v29, s[30:31]
	v_mul_f32_e32 v28, 0x37800000, v23
	v_cndmask_b32_e32 v23, v23, v28, vcc
	v_cmp_class_f32_e32 vcc, v11, v35
	v_cndmask_b32_e32 v11, v23, v11, vcc
	v_mul_f32_e32 v23, v21, v11
.LBB36_26:                              ;   in Loop: Header=BB36_14 Depth=3
	s_or_b64 exec, exec, s[4:5]
                                        ; implicit-def: $vgpr11
                                        ; implicit-def: $vgpr21
.LBB36_27:                              ;   in Loop: Header=BB36_14 Depth=3
	s_andn2_saveexec_b64 s[0:1], s[0:1]
	s_cbranch_execz .LBB36_29
; %bb.28:                               ;   in Loop: Header=BB36_14 Depth=3
	v_div_scale_f32 v23, s[4:5], v11, v11, v21
	v_rcp_f32_e32 v28, v23
	v_div_scale_f32 v29, vcc, v21, v11, v21
	v_fma_f32 v42, -v23, v28, 1.0
	v_fmac_f32_e32 v28, v42, v28
	v_mul_f32_e32 v42, v29, v28
	v_fma_f32 v43, -v23, v42, v29
	v_fmac_f32_e32 v42, v43, v28
	v_fma_f32 v23, -v23, v42, v29
	v_div_fmas_f32 v23, v23, v28, v42
	v_div_fixup_f32 v21, v23, v11, v21
	v_fma_f32 v21, v21, v21, 1.0
	v_mul_f32_e32 v23, 0x4f800000, v21
	v_cmp_gt_f32_e32 vcc, s11, v21
	v_cndmask_b32_e32 v21, v21, v23, vcc
	v_sqrt_f32_e32 v23, v21
	v_add_u32_e32 v28, -1, v23
	v_fma_f32 v42, -v28, v23, v21
	v_add_u32_e32 v29, 1, v23
	v_cmp_ge_f32_e64 s[30:31], 0, v42
	v_cndmask_b32_e64 v28, v23, v28, s[30:31]
	v_fma_f32 v23, -v29, v23, v21
	v_cmp_lt_f32_e64 s[30:31], 0, v23
	v_cndmask_b32_e64 v23, v28, v29, s[30:31]
	v_mul_f32_e32 v28, 0x37800000, v23
	v_cndmask_b32_e32 v23, v23, v28, vcc
	v_cmp_class_f32_e32 vcc, v21, v35
	v_cndmask_b32_e32 v21, v23, v21, vcc
	v_mul_f32_e32 v23, v11, v21
.LBB36_29:                              ;   in Loop: Header=BB36_14 Depth=3
	s_or_b64 exec, exec, s[0:1]
	v_cmp_lt_f32_e32 vcc, 0, v23
	v_mov_b32_e32 v29, 0
	v_mov_b32_e32 v28, 0
	s_and_saveexec_b64 s[0:1], vcc
	s_cbranch_execz .LBB36_31
; %bb.30:                               ;   in Loop: Header=BB36_14 Depth=3
	v_mul_f32_e32 v11, v27, v27
	v_fmac_f32_e32 v11, v26, v26
	v_div_scale_f32 v21, s[4:5], v11, v11, 1.0
	v_rcp_f32_e32 v23, v21
	v_div_scale_f32 v28, vcc, 1.0, v11, 1.0
	v_xor_b32_e32 v43, 0x80000000, v24
	v_fma_f32 v29, -v21, v23, 1.0
	v_fmac_f32_e32 v23, v29, v23
	v_mul_f32_e32 v29, v28, v23
	v_fma_f32 v42, -v21, v29, v28
	v_fmac_f32_e32 v29, v42, v23
	v_fma_f32 v21, -v21, v29, v28
	v_mov_b32_e32 v42, v25
	v_div_fmas_f32 v21, v21, v23, v29
	v_pk_mul_f32 v[42:43], v[42:43], v[26:27] op_sel:[0,1]
	v_div_fixup_f32 v28, v21, v11, 1.0
	v_pk_fma_f32 v[24:25], v[24:25], v[26:27], v[42:43] op_sel_hi:[1,0,1]
	v_pk_mul_f32 v[28:29], v[24:25], v[28:29] op_sel_hi:[1,0]
.LBB36_31:                              ;   in Loop: Header=BB36_14 Depth=3
	s_or_b64 exec, exec, s[0:1]
	v_mov_b32_e32 v25, v29
	v_mov_b32_e32 v24, v28
.LBB36_32:                              ;   in Loop: Header=BB36_14 Depth=3
	s_or_b64 exec, exec, s[60:61]
	v_cmp_gt_f32_e32 vcc, 0, v24
	v_cndmask_b32_e64 v11, v24, -v24, vcc
	v_cmp_gt_f32_e32 vcc, 0, v25
	v_cndmask_b32_e64 v21, v25, -v25, vcc
	v_cmp_ngt_f32_e32 vcc, v11, v21
                                        ; implicit-def: $vgpr23
	s_and_saveexec_b64 s[0:1], vcc
	s_xor_b64 s[0:1], exec, s[0:1]
	s_cbranch_execnz .LBB36_36
; %bb.33:                               ;   in Loop: Header=BB36_14 Depth=3
	s_andn2_saveexec_b64 s[0:1], s[0:1]
	s_cbranch_execnz .LBB36_39
.LBB36_34:                              ;   in Loop: Header=BB36_14 Depth=3
	s_or_b64 exec, exec, s[0:1]
	v_cmp_class_f32_e64 s[30:31], v23, s12
	s_and_saveexec_b64 s[60:61], s[30:31]
	s_cbranch_execnz .LBB36_40
.LBB36_35:                              ;   in Loop: Header=BB36_14 Depth=3
	s_or_b64 exec, exec, s[60:61]
	s_and_b64 s[0:1], s[30:31], s[34:35]
	s_and_saveexec_b64 s[30:31], s[0:1]
	s_cbranch_execz .LBB36_13
	s_branch .LBB36_81
.LBB36_36:                              ;   in Loop: Header=BB36_14 Depth=3
	v_cmp_neq_f32_e32 vcc, 0, v25
	v_mov_b32_e32 v23, 0
	s_and_saveexec_b64 s[4:5], vcc
	s_cbranch_execz .LBB36_38
; %bb.37:                               ;   in Loop: Header=BB36_14 Depth=3
	v_div_scale_f32 v23, s[6:7], v21, v21, v11
	v_rcp_f32_e32 v26, v23
	v_div_scale_f32 v27, vcc, v11, v21, v11
	v_fma_f32 v28, -v23, v26, 1.0
	v_fmac_f32_e32 v26, v28, v26
	v_mul_f32_e32 v28, v27, v26
	v_fma_f32 v29, -v23, v28, v27
	v_fmac_f32_e32 v28, v29, v26
	v_fma_f32 v23, -v23, v28, v27
	v_div_fmas_f32 v23, v23, v26, v28
	v_div_fixup_f32 v11, v23, v21, v11
	v_fma_f32 v11, v11, v11, 1.0
	v_mul_f32_e32 v23, 0x4f800000, v11
	v_cmp_gt_f32_e32 vcc, s11, v11
	v_cndmask_b32_e32 v11, v11, v23, vcc
	v_sqrt_f32_e32 v23, v11
	v_add_u32_e32 v26, -1, v23
	v_fma_f32 v28, -v26, v23, v11
	v_add_u32_e32 v27, 1, v23
	v_cmp_ge_f32_e64 s[30:31], 0, v28
	v_cndmask_b32_e64 v26, v23, v26, s[30:31]
	v_fma_f32 v23, -v27, v23, v11
	v_cmp_lt_f32_e64 s[30:31], 0, v23
	v_cndmask_b32_e64 v23, v26, v27, s[30:31]
	v_mul_f32_e32 v26, 0x37800000, v23
	v_cndmask_b32_e32 v23, v23, v26, vcc
	v_cmp_class_f32_e32 vcc, v11, v35
	v_cndmask_b32_e32 v11, v23, v11, vcc
	v_mul_f32_e32 v23, v21, v11
.LBB36_38:                              ;   in Loop: Header=BB36_14 Depth=3
	s_or_b64 exec, exec, s[4:5]
                                        ; implicit-def: $vgpr11
                                        ; implicit-def: $vgpr21
	s_andn2_saveexec_b64 s[0:1], s[0:1]
	s_cbranch_execz .LBB36_34
.LBB36_39:                              ;   in Loop: Header=BB36_14 Depth=3
	v_div_scale_f32 v23, s[4:5], v11, v11, v21
	v_rcp_f32_e32 v26, v23
	v_div_scale_f32 v27, vcc, v21, v11, v21
	v_fma_f32 v28, -v23, v26, 1.0
	v_fmac_f32_e32 v26, v28, v26
	v_mul_f32_e32 v28, v27, v26
	v_fma_f32 v29, -v23, v28, v27
	v_fmac_f32_e32 v28, v29, v26
	v_fma_f32 v23, -v23, v28, v27
	v_div_fmas_f32 v23, v23, v26, v28
	v_div_fixup_f32 v21, v23, v11, v21
	v_fma_f32 v21, v21, v21, 1.0
	v_mul_f32_e32 v23, 0x4f800000, v21
	v_cmp_gt_f32_e32 vcc, s11, v21
	v_cndmask_b32_e32 v21, v21, v23, vcc
	v_sqrt_f32_e32 v23, v21
	v_add_u32_e32 v26, -1, v23
	v_fma_f32 v28, -v26, v23, v21
	v_add_u32_e32 v27, 1, v23
	v_cmp_ge_f32_e64 s[30:31], 0, v28
	v_cndmask_b32_e64 v26, v23, v26, s[30:31]
	v_fma_f32 v23, -v27, v23, v21
	v_cmp_lt_f32_e64 s[30:31], 0, v23
	v_cndmask_b32_e64 v23, v26, v27, s[30:31]
	v_mul_f32_e32 v26, 0x37800000, v23
	v_cndmask_b32_e32 v23, v23, v26, vcc
	v_cmp_class_f32_e32 vcc, v21, v35
	v_cndmask_b32_e32 v21, v23, v21, vcc
	v_mul_f32_e32 v23, v11, v21
	s_or_b64 exec, exec, s[0:1]
	v_cmp_class_f32_e64 s[30:31], v23, s12
	s_and_saveexec_b64 s[60:61], s[30:31]
	s_cbranch_execz .LBB36_35
.LBB36_40:                              ;   in Loop: Header=BB36_14 Depth=3
	s_and_saveexec_b64 s[0:1], s[28:29]
	s_xor_b64 s[62:63], exec, s[0:1]
	s_cbranch_execz .LBB36_65
; %bb.41:                               ;   in Loop: Header=BB36_14 Depth=3
	v_cmp_ge_i32_e32 vcc, v8, v14
	s_and_saveexec_b64 s[0:1], vcc
	s_xor_b64 s[80:81], exec, s[0:1]
	s_cbranch_execz .LBB36_49
; %bb.42:                               ;   in Loop: Header=BB36_14 Depth=3
	v_lshlrev_b64 v[26:27], 3, v[14:15]
	v_mov_b32_e32 v11, s67
	v_add_co_u32_e32 v28, vcc, s66, v26
	v_addc_co_u32_e32 v29, vcc, v11, v27, vcc
	s_andn2_b64 vcc, exec, s[68:69]
	global_store_dwordx2 v[28:29], v[24:25], off
	s_cbranch_vccnz .LBB36_48
; %bb.43:                               ;   in Loop: Header=BB36_14 Depth=3
	v_mov_b32_e32 v11, s65
	v_add_co_u32_e32 v26, vcc, s64, v26
	v_addc_co_u32_e32 v27, vcc, v11, v27, vcc
	global_load_dwordx2 v[26:27], v[26:27], off
                                        ; implicit-def: $vgpr23
	s_waitcnt vmcnt(0)
	v_sub_f32_e32 v11, v26, v24
	v_sub_f32_e32 v24, v27, v25
	v_cmp_gt_f32_e32 vcc, 0, v11
	v_cndmask_b32_e64 v11, v11, -v11, vcc
	v_cmp_gt_f32_e32 vcc, 0, v24
	v_cndmask_b32_e64 v21, v24, -v24, vcc
	v_cmp_ngt_f32_e32 vcc, v11, v21
	s_and_saveexec_b64 s[0:1], vcc
	s_xor_b64 s[0:1], exec, s[0:1]
	s_cbranch_execnz .LBB36_109
; %bb.44:                               ;   in Loop: Header=BB36_14 Depth=3
	s_andn2_saveexec_b64 s[0:1], s[0:1]
	s_cbranch_execnz .LBB36_112
.LBB36_45:                              ;   in Loop: Header=BB36_14 Depth=3
	s_or_b64 exec, exec, s[0:1]
	v_cmp_class_f32_e64 s[4:5], v23, s12
	s_and_saveexec_b64 s[0:1], s[4:5]
.LBB36_46:                              ;   in Loop: Header=BB36_14 Depth=3
	v_cmp_lt_f32_e32 vcc, v4, v23
	v_cndmask_b32_e32 v4, v4, v23, vcc
.LBB36_47:                              ;   in Loop: Header=BB36_14 Depth=3
	s_or_b64 exec, exec, s[0:1]
.LBB36_48:                              ;   in Loop: Header=BB36_14 Depth=3
                                        ; implicit-def: $vgpr24_vgpr25
.LBB36_49:                              ;   in Loop: Header=BB36_14 Depth=3
	s_andn2_saveexec_b64 s[80:81], s[80:81]
	s_cbranch_execz .LBB36_64
; %bb.50:                               ;   in Loop: Header=BB36_14 Depth=3
	v_cmp_lt_i32_e32 vcc, v22, v41
	s_and_saveexec_b64 s[88:89], vcc
	s_cbranch_execz .LBB36_63
; %bb.51:                               ;   in Loop: Header=BB36_14 Depth=3
	s_mov_b64 s[28:29], 0
	v_mov_b32_e32 v11, v22
                                        ; implicit-def: $sgpr72_sgpr73
                                        ; implicit-def: $sgpr4_sgpr5
                                        ; implicit-def: $sgpr0_sgpr1
	s_branch .LBB36_53
.LBB36_52:                              ;   in Loop: Header=BB36_53 Depth=4
	s_or_b64 exec, exec, s[6:7]
	s_and_b64 s[6:7], exec, s[4:5]
	s_or_b64 s[28:29], s[6:7], s[28:29]
	s_andn2_b64 s[6:7], s[72:73], exec
	s_and_b64 s[72:73], s[0:1], exec
	s_or_b64 s[72:73], s[6:7], s[72:73]
	s_andn2_b64 exec, exec, s[28:29]
	s_cbranch_execz .LBB36_55
.LBB36_53:                              ;   Parent Loop BB36_5 Depth=1
                                        ;     Parent Loop BB36_9 Depth=2
                                        ;       Parent Loop BB36_14 Depth=3
                                        ; =>      This Inner Loop Header: Depth=4
	v_add_u32_e32 v26, v20, v11
	v_ashrrev_i32_e32 v27, 31, v26
	v_lshlrev_b64 v[28:29], 2, v[26:27]
	v_mov_b32_e32 v21, s41
	v_add_co_u32_e32 v28, vcc, s40, v28
	v_addc_co_u32_e32 v29, vcc, v21, v29, vcc
	global_load_dword v21, v[28:29], off
	s_or_b64 s[0:1], s[0:1], exec
	s_or_b64 s[4:5], s[4:5], exec
	s_waitcnt vmcnt(0)
	v_subrev_u32_e32 v21, s9, v21
	v_cmp_ne_u32_e32 vcc, v21, v8
	s_and_saveexec_b64 s[6:7], vcc
	s_cbranch_execz .LBB36_52
; %bb.54:                               ;   in Loop: Header=BB36_53 Depth=4
	v_add_u32_e32 v11, 1, v11
	v_cmp_ge_i32_e32 vcc, v11, v41
	s_andn2_b64 s[4:5], s[4:5], exec
	s_and_b64 vcc, vcc, exec
	s_andn2_b64 s[0:1], s[0:1], exec
	s_or_b64 s[4:5], s[4:5], vcc
	s_branch .LBB36_52
.LBB36_55:                              ;   in Loop: Header=BB36_14 Depth=3
	s_or_b64 exec, exec, s[28:29]
	s_and_saveexec_b64 s[0:1], s[72:73]
	s_xor_b64 s[72:73], exec, s[0:1]
	s_cbranch_execz .LBB36_62
; %bb.56:                               ;   in Loop: Header=BB36_14 Depth=3
	v_lshlrev_b64 v[26:27], 3, v[26:27]
	v_mov_b32_e32 v11, s87
	v_add_co_u32_e32 v28, vcc, s86, v26
	v_addc_co_u32_e32 v29, vcc, v11, v27, vcc
	s_andn2_b64 vcc, exec, s[68:69]
	global_store_dwordx2 v[28:29], v[24:25], off
	s_cbranch_vccnz .LBB36_62
; %bb.57:                               ;   in Loop: Header=BB36_14 Depth=3
	v_mov_b32_e32 v11, s43
	v_add_co_u32_e32 v26, vcc, s42, v26
	v_addc_co_u32_e32 v27, vcc, v11, v27, vcc
	global_load_dwordx2 v[26:27], v[26:27], off
                                        ; implicit-def: $vgpr23
	s_waitcnt vmcnt(0)
	v_sub_f32_e32 v11, v26, v24
	v_sub_f32_e32 v24, v27, v25
	v_cmp_gt_f32_e32 vcc, 0, v11
	v_cndmask_b32_e64 v11, v11, -v11, vcc
	v_cmp_gt_f32_e32 vcc, 0, v24
	v_cndmask_b32_e64 v21, v24, -v24, vcc
	v_cmp_ngt_f32_e32 vcc, v11, v21
	s_and_saveexec_b64 s[0:1], vcc
	s_xor_b64 s[0:1], exec, s[0:1]
	s_cbranch_execnz .LBB36_117
; %bb.58:                               ;   in Loop: Header=BB36_14 Depth=3
	s_andn2_saveexec_b64 s[0:1], s[0:1]
	s_cbranch_execnz .LBB36_120
.LBB36_59:                              ;   in Loop: Header=BB36_14 Depth=3
	s_or_b64 exec, exec, s[0:1]
	v_cmp_class_f32_e64 s[4:5], v23, s12
	s_and_saveexec_b64 s[0:1], s[4:5]
.LBB36_60:                              ;   in Loop: Header=BB36_14 Depth=3
	v_cmp_lt_f32_e32 vcc, v4, v23
	v_cndmask_b32_e32 v4, v4, v23, vcc
.LBB36_61:                              ;   in Loop: Header=BB36_14 Depth=3
	s_or_b64 exec, exec, s[0:1]
.LBB36_62:                              ;   in Loop: Header=BB36_14 Depth=3
	s_or_b64 exec, exec, s[72:73]
.LBB36_63:                              ;   in Loop: Header=BB36_14 Depth=3
	s_or_b64 exec, exec, s[88:89]
.LBB36_64:                              ;   in Loop: Header=BB36_14 Depth=3
	s_or_b64 exec, exec, s[80:81]
                                        ; implicit-def: $vgpr24_vgpr25
.LBB36_65:                              ;   in Loop: Header=BB36_14 Depth=3
	s_andn2_saveexec_b64 s[62:63], s[62:63]
	s_cbranch_execz .LBB36_80
; %bb.66:                               ;   in Loop: Header=BB36_14 Depth=3
	v_cmp_lt_i32_e32 vcc, v6, v37
	s_and_saveexec_b64 s[80:81], vcc
	s_cbranch_execz .LBB36_79
; %bb.67:                               ;   in Loop: Header=BB36_14 Depth=3
	s_mov_b64 s[28:29], 0
	v_mov_b32_e32 v11, v6
                                        ; implicit-def: $sgpr72_sgpr73
                                        ; implicit-def: $sgpr4_sgpr5
                                        ; implicit-def: $sgpr0_sgpr1
	s_branch .LBB36_69
.LBB36_68:                              ;   in Loop: Header=BB36_69 Depth=4
	s_or_b64 exec, exec, s[88:89]
	s_and_b64 s[6:7], exec, s[4:5]
	s_or_b64 s[28:29], s[6:7], s[28:29]
	s_andn2_b64 s[6:7], s[72:73], exec
	s_and_b64 s[72:73], s[0:1], exec
	s_or_b64 s[72:73], s[6:7], s[72:73]
	s_andn2_b64 exec, exec, s[28:29]
	s_cbranch_execz .LBB36_71
.LBB36_69:                              ;   Parent Loop BB36_5 Depth=1
                                        ;     Parent Loop BB36_9 Depth=2
                                        ;       Parent Loop BB36_14 Depth=3
                                        ; =>      This Inner Loop Header: Depth=4
	v_add_u32_e32 v26, v12, v11
	v_ashrrev_i32_e32 v27, 31, v26
	v_lshlrev_b64 v[28:29], 2, v[26:27]
	v_mov_b32_e32 v21, s49
	v_add_co_u32_e32 v28, vcc, s48, v28
	v_addc_co_u32_e32 v29, vcc, v21, v29, vcc
	global_load_dword v21, v[28:29], off
	s_or_b64 s[0:1], s[0:1], exec
	s_or_b64 s[4:5], s[4:5], exec
	s_waitcnt vmcnt(0)
	v_subrev_u32_e32 v21, s8, v21
	v_cmp_ne_u32_e32 vcc, v21, v14
	s_and_saveexec_b64 s[88:89], vcc
	s_cbranch_execz .LBB36_68
; %bb.70:                               ;   in Loop: Header=BB36_69 Depth=4
	v_add_u32_e32 v11, 1, v11
	v_cmp_ge_i32_e32 vcc, v11, v37
	s_andn2_b64 s[4:5], s[4:5], exec
	s_and_b64 s[6:7], vcc, exec
	s_andn2_b64 s[0:1], s[0:1], exec
	s_or_b64 s[4:5], s[4:5], s[6:7]
	s_branch .LBB36_68
.LBB36_71:                              ;   in Loop: Header=BB36_14 Depth=3
	s_or_b64 exec, exec, s[28:29]
	s_and_saveexec_b64 s[0:1], s[72:73]
	s_xor_b64 s[72:73], exec, s[0:1]
	s_cbranch_execz .LBB36_78
; %bb.72:                               ;   in Loop: Header=BB36_14 Depth=3
	v_lshlrev_b64 v[26:27], 3, v[26:27]
	v_mov_b32_e32 v11, s85
	v_add_co_u32_e32 v28, vcc, s84, v26
	v_addc_co_u32_e32 v29, vcc, v11, v27, vcc
	s_andn2_b64 vcc, exec, s[68:69]
	global_store_dwordx2 v[28:29], v[24:25], off
	s_cbranch_vccnz .LBB36_78
; %bb.73:                               ;   in Loop: Header=BB36_14 Depth=3
	v_mov_b32_e32 v11, s51
	v_add_co_u32_e32 v26, vcc, s50, v26
	v_addc_co_u32_e32 v27, vcc, v11, v27, vcc
	global_load_dwordx2 v[26:27], v[26:27], off
                                        ; implicit-def: $vgpr23
	s_waitcnt vmcnt(0)
	v_sub_f32_e32 v11, v26, v24
	v_sub_f32_e32 v24, v27, v25
	v_cmp_gt_f32_e32 vcc, 0, v11
	v_cndmask_b32_e64 v11, v11, -v11, vcc
	v_cmp_gt_f32_e32 vcc, 0, v24
	v_cndmask_b32_e64 v21, v24, -v24, vcc
	v_cmp_ngt_f32_e32 vcc, v11, v21
	s_and_saveexec_b64 s[0:1], vcc
	s_xor_b64 s[0:1], exec, s[0:1]
	s_cbranch_execnz .LBB36_113
; %bb.74:                               ;   in Loop: Header=BB36_14 Depth=3
	s_andn2_saveexec_b64 s[0:1], s[0:1]
	s_cbranch_execnz .LBB36_116
.LBB36_75:                              ;   in Loop: Header=BB36_14 Depth=3
	s_or_b64 exec, exec, s[0:1]
	v_cmp_class_f32_e64 s[4:5], v23, s12
	s_and_saveexec_b64 s[0:1], s[4:5]
.LBB36_76:                              ;   in Loop: Header=BB36_14 Depth=3
	v_cmp_lt_f32_e32 vcc, v4, v23
	v_cndmask_b32_e32 v4, v4, v23, vcc
.LBB36_77:                              ;   in Loop: Header=BB36_14 Depth=3
	s_or_b64 exec, exec, s[0:1]
.LBB36_78:                              ;   in Loop: Header=BB36_14 Depth=3
	s_or_b64 exec, exec, s[72:73]
.LBB36_79:                              ;   in Loop: Header=BB36_14 Depth=3
	s_or_b64 exec, exec, s[80:81]
.LBB36_80:                              ;   in Loop: Header=BB36_14 Depth=3
	s_or_b64 exec, exec, s[62:63]
	s_or_b64 exec, exec, s[60:61]
	s_and_b64 s[0:1], s[30:31], s[34:35]
	s_and_saveexec_b64 s[30:31], s[0:1]
	s_cbranch_execz .LBB36_13
.LBB36_81:                              ;   in Loop: Header=BB36_14 Depth=3
	v_cmp_ge_i32_e32 vcc, v22, v41
	s_and_saveexec_b64 s[0:1], vcc
	s_xor_b64 s[28:29], exec, s[0:1]
	s_cbranch_execnz .LBB36_88
; %bb.82:                               ;   in Loop: Header=BB36_14 Depth=3
	s_andn2_saveexec_b64 s[28:29], s[28:29]
	s_cbranch_execnz .LBB36_102
.LBB36_83:                              ;   in Loop: Header=BB36_14 Depth=3
	s_or_b64 exec, exec, s[28:29]
	v_cmp_eq_u32_e32 vcc, v8, v14
	s_and_saveexec_b64 s[0:1], vcc
	s_cbranch_execz .LBB36_85
.LBB36_84:                              ;   in Loop: Header=BB36_14 Depth=3
	v_lshlrev_b64 v[14:15], 3, v[14:15]
	v_mov_b32_e32 v6, s65
	v_add_co_u32_e32 v14, vcc, s64, v14
	v_addc_co_u32_e32 v15, vcc, v6, v15, vcc
	global_load_dwordx2 v[14:15], v[14:15], off
	s_waitcnt vmcnt(0)
	v_pk_add_f32 v[16:17], v[16:17], v[14:15]
.LBB36_85:                              ;   in Loop: Header=BB36_14 Depth=3
	s_or_b64 exec, exec, s[0:1]
	v_pk_add_f32 v[14:15], v[18:19], v[16:17] neg_lo:[0,1] neg_hi:[0,1]
	v_cmp_gt_f32_e32 vcc, 0, v14
	v_cndmask_b32_e64 v6, v14, -v14, vcc
	v_cmp_gt_f32_e32 vcc, 0, v15
	v_cndmask_b32_e64 v11, v15, -v15, vcc
	v_cmp_ngt_f32_e32 vcc, v6, v11
                                        ; implicit-def: $vgpr14
	s_and_saveexec_b64 s[0:1], vcc
	s_xor_b64 s[0:1], exec, s[0:1]
	s_cbranch_execnz .LBB36_93
; %bb.86:                               ;   in Loop: Header=BB36_14 Depth=3
	s_andn2_saveexec_b64 s[0:1], s[0:1]
	s_cbranch_execnz .LBB36_96
.LBB36_87:                              ;   in Loop: Header=BB36_14 Depth=3
	s_or_b64 exec, exec, s[0:1]
	v_cmp_class_f32_e64 s[4:5], v14, s12
	s_and_saveexec_b64 s[0:1], s[4:5]
	s_cbranch_execz .LBB36_12
	s_branch .LBB36_97
.LBB36_88:                              ;   in Loop: Header=BB36_14 Depth=3
	v_cmp_lt_i32_e32 vcc, v6, v37
	s_and_saveexec_b64 s[60:61], vcc
	s_cbranch_execz .LBB36_101
; %bb.89:                               ;   in Loop: Header=BB36_14 Depth=3
	s_mov_b64 s[62:63], 0
                                        ; implicit-def: $sgpr72_sgpr73
                                        ; implicit-def: $sgpr4_sgpr5
                                        ; implicit-def: $sgpr0_sgpr1
	s_branch .LBB36_91
.LBB36_90:                              ;   in Loop: Header=BB36_91 Depth=4
	s_or_b64 exec, exec, s[6:7]
	s_and_b64 s[6:7], exec, s[4:5]
	s_or_b64 s[62:63], s[6:7], s[62:63]
	s_andn2_b64 s[6:7], s[72:73], exec
	s_and_b64 s[72:73], s[0:1], exec
	s_or_b64 s[72:73], s[6:7], s[72:73]
	s_andn2_b64 exec, exec, s[62:63]
	s_cbranch_execz .LBB36_98
.LBB36_91:                              ;   Parent Loop BB36_5 Depth=1
                                        ;     Parent Loop BB36_9 Depth=2
                                        ;       Parent Loop BB36_14 Depth=3
                                        ; =>      This Inner Loop Header: Depth=4
	v_add_u32_e32 v20, v12, v6
	v_ashrrev_i32_e32 v21, 31, v20
	v_lshlrev_b64 v[22:23], 2, v[20:21]
	v_mov_b32_e32 v11, s49
	v_add_co_u32_e32 v22, vcc, s48, v22
	v_addc_co_u32_e32 v23, vcc, v11, v23, vcc
	global_load_dword v11, v[22:23], off
	s_or_b64 s[0:1], s[0:1], exec
	s_or_b64 s[4:5], s[4:5], exec
	s_waitcnt vmcnt(0)
	v_subrev_u32_e32 v11, s8, v11
	v_cmp_ne_u32_e32 vcc, v11, v14
	s_and_saveexec_b64 s[6:7], vcc
	s_cbranch_execz .LBB36_90
; %bb.92:                               ;   in Loop: Header=BB36_91 Depth=4
	v_add_u32_e32 v6, 1, v6
	v_cmp_ge_i32_e32 vcc, v6, v37
	s_andn2_b64 s[4:5], s[4:5], exec
	s_and_b64 s[80:81], vcc, exec
	s_andn2_b64 s[0:1], s[0:1], exec
	s_or_b64 s[4:5], s[4:5], s[80:81]
	s_branch .LBB36_90
.LBB36_93:                              ;   in Loop: Header=BB36_14 Depth=3
	v_cmp_neq_f32_e32 vcc, 0, v15
	v_mov_b32_e32 v14, 0
	s_and_saveexec_b64 s[4:5], vcc
	s_cbranch_execz .LBB36_95
; %bb.94:                               ;   in Loop: Header=BB36_14 Depth=3
	v_div_scale_f32 v14, s[6:7], v11, v11, v6
	v_rcp_f32_e32 v15, v14
	v_div_scale_f32 v16, vcc, v6, v11, v6
	v_fma_f32 v17, -v14, v15, 1.0
	v_fmac_f32_e32 v15, v17, v15
	v_mul_f32_e32 v17, v16, v15
	v_fma_f32 v18, -v14, v17, v16
	v_fmac_f32_e32 v17, v18, v15
	v_fma_f32 v14, -v14, v17, v16
	v_div_fmas_f32 v14, v14, v15, v17
	v_div_fixup_f32 v6, v14, v11, v6
	v_fma_f32 v6, v6, v6, 1.0
	v_mul_f32_e32 v14, 0x4f800000, v6
	v_cmp_gt_f32_e32 vcc, s11, v6
	v_cndmask_b32_e32 v6, v6, v14, vcc
	v_sqrt_f32_e32 v14, v6
	v_add_u32_e32 v15, -1, v14
	v_fma_f32 v17, -v15, v14, v6
	v_add_u32_e32 v16, 1, v14
	v_cmp_ge_f32_e64 s[28:29], 0, v17
	v_cndmask_b32_e64 v15, v14, v15, s[28:29]
	v_fma_f32 v14, -v16, v14, v6
	v_cmp_lt_f32_e64 s[28:29], 0, v14
	v_cndmask_b32_e64 v14, v15, v16, s[28:29]
	v_mul_f32_e32 v15, 0x37800000, v14
	v_cndmask_b32_e32 v14, v14, v15, vcc
	v_cmp_class_f32_e32 vcc, v6, v35
	v_cndmask_b32_e32 v6, v14, v6, vcc
	v_mul_f32_e32 v14, v11, v6
.LBB36_95:                              ;   in Loop: Header=BB36_14 Depth=3
	s_or_b64 exec, exec, s[4:5]
                                        ; implicit-def: $vgpr6
                                        ; implicit-def: $vgpr11
	s_andn2_saveexec_b64 s[0:1], s[0:1]
	s_cbranch_execz .LBB36_87
.LBB36_96:                              ;   in Loop: Header=BB36_14 Depth=3
	v_div_scale_f32 v14, s[4:5], v6, v6, v11
	v_rcp_f32_e32 v15, v14
	v_div_scale_f32 v16, vcc, v11, v6, v11
	v_fma_f32 v17, -v14, v15, 1.0
	v_fmac_f32_e32 v15, v17, v15
	v_mul_f32_e32 v17, v16, v15
	v_fma_f32 v18, -v14, v17, v16
	v_fmac_f32_e32 v17, v18, v15
	v_fma_f32 v14, -v14, v17, v16
	v_div_fmas_f32 v14, v14, v15, v17
	v_div_fixup_f32 v11, v14, v6, v11
	v_fma_f32 v11, v11, v11, 1.0
	v_mul_f32_e32 v14, 0x4f800000, v11
	v_cmp_gt_f32_e32 vcc, s11, v11
	v_cndmask_b32_e32 v11, v11, v14, vcc
	v_sqrt_f32_e32 v14, v11
	v_add_u32_e32 v15, -1, v14
	v_fma_f32 v17, -v15, v14, v11
	v_add_u32_e32 v16, 1, v14
	v_cmp_ge_f32_e64 s[28:29], 0, v17
	v_cndmask_b32_e64 v15, v14, v15, s[28:29]
	v_fma_f32 v14, -v16, v14, v11
	v_cmp_lt_f32_e64 s[28:29], 0, v14
	v_cndmask_b32_e64 v14, v15, v16, s[28:29]
	v_mul_f32_e32 v15, 0x37800000, v14
	v_cndmask_b32_e32 v14, v14, v15, vcc
	v_cmp_class_f32_e32 vcc, v11, v35
	v_cndmask_b32_e32 v11, v14, v11, vcc
	v_mul_f32_e32 v14, v6, v11
	s_or_b64 exec, exec, s[0:1]
	v_cmp_class_f32_e64 s[4:5], v14, s12
	s_and_saveexec_b64 s[0:1], s[4:5]
	s_cbranch_execz .LBB36_12
.LBB36_97:                              ;   in Loop: Header=BB36_14 Depth=3
	v_cmp_lt_f32_e32 vcc, v2, v14
	v_cndmask_b32_e32 v2, v2, v14, vcc
	s_branch .LBB36_12
.LBB36_98:                              ;   in Loop: Header=BB36_14 Depth=3
	s_or_b64 exec, exec, s[62:63]
	s_and_saveexec_b64 s[0:1], s[72:73]
	s_xor_b64 s[0:1], exec, s[0:1]
	s_cbranch_execz .LBB36_100
; %bb.99:                               ;   in Loop: Header=BB36_14 Depth=3
	v_lshlrev_b64 v[20:21], 3, v[20:21]
	v_mov_b32_e32 v6, s51
	v_add_co_u32_e32 v20, vcc, s50, v20
	v_addc_co_u32_e32 v21, vcc, v6, v21, vcc
	v_lshlrev_b64 v[22:23], 3, v[14:15]
	v_mov_b32_e32 v6, s65
	v_add_co_u32_e32 v22, vcc, s64, v22
	v_addc_co_u32_e32 v23, vcc, v6, v23, vcc
	global_load_dwordx2 v[20:21], v[20:21], off
	s_nop 0
	global_load_dwordx2 v[22:23], v[22:23], off
	s_waitcnt vmcnt(0)
	v_pk_mul_f32 v[24:25], v[22:23], v[20:21] op_sel:[1,1] op_sel_hi:[1,0] neg_lo:[0,1]
	v_pk_fma_f32 v[20:21], v[20:21], v[22:23], v[24:25] op_sel_hi:[1,0,1]
	v_pk_add_f32 v[16:17], v[16:17], v[20:21]
.LBB36_100:                             ;   in Loop: Header=BB36_14 Depth=3
	s_or_b64 exec, exec, s[0:1]
.LBB36_101:                             ;   in Loop: Header=BB36_14 Depth=3
	s_or_b64 exec, exec, s[60:61]
                                        ; implicit-def: $vgpr22
                                        ; implicit-def: $vgpr20
                                        ; implicit-def: $vgpr41
	s_andn2_saveexec_b64 s[28:29], s[28:29]
	s_cbranch_execz .LBB36_83
.LBB36_102:                             ;   in Loop: Header=BB36_14 Depth=3
	s_mov_b64 s[60:61], 0
                                        ; implicit-def: $sgpr62_sgpr63
                                        ; implicit-def: $sgpr4_sgpr5
                                        ; implicit-def: $sgpr0_sgpr1
	s_branch .LBB36_104
.LBB36_103:                             ;   in Loop: Header=BB36_104 Depth=4
	s_or_b64 exec, exec, s[6:7]
	s_and_b64 s[6:7], exec, s[4:5]
	s_or_b64 s[60:61], s[6:7], s[60:61]
	s_andn2_b64 s[6:7], s[62:63], exec
	s_and_b64 s[62:63], s[0:1], exec
	s_or_b64 s[62:63], s[6:7], s[62:63]
	s_andn2_b64 exec, exec, s[60:61]
	s_cbranch_execz .LBB36_106
.LBB36_104:                             ;   Parent Loop BB36_5 Depth=1
                                        ;     Parent Loop BB36_9 Depth=2
                                        ;       Parent Loop BB36_14 Depth=3
                                        ; =>      This Inner Loop Header: Depth=4
	v_add_u32_e32 v24, v20, v22
	v_ashrrev_i32_e32 v25, 31, v24
	v_lshlrev_b64 v[26:27], 2, v[24:25]
	v_mov_b32_e32 v6, s41
	v_add_co_u32_e32 v26, vcc, s40, v26
	v_addc_co_u32_e32 v27, vcc, v6, v27, vcc
	global_load_dword v6, v[26:27], off
	s_or_b64 s[0:1], s[0:1], exec
	s_or_b64 s[4:5], s[4:5], exec
	s_waitcnt vmcnt(0)
	v_subrev_u32_e32 v6, s9, v6
	v_cmp_ne_u32_e32 vcc, v6, v8
	s_and_saveexec_b64 s[6:7], vcc
	s_cbranch_execz .LBB36_103
; %bb.105:                              ;   in Loop: Header=BB36_104 Depth=4
	v_add_u32_e32 v22, 1, v22
	v_cmp_ge_i32_e32 vcc, v22, v41
	s_andn2_b64 s[4:5], s[4:5], exec
	s_and_b64 s[72:73], vcc, exec
	s_andn2_b64 s[0:1], s[0:1], exec
	s_or_b64 s[4:5], s[4:5], s[72:73]
	s_branch .LBB36_103
.LBB36_106:                             ;   in Loop: Header=BB36_14 Depth=3
	s_or_b64 exec, exec, s[60:61]
	s_and_saveexec_b64 s[0:1], s[62:63]
	s_xor_b64 s[0:1], exec, s[0:1]
	s_cbranch_execz .LBB36_108
; %bb.107:                              ;   in Loop: Header=BB36_14 Depth=3
	v_lshlrev_b64 v[20:21], 3, v[24:25]
	v_mov_b32_e32 v6, s43
	v_add_co_u32_e32 v20, vcc, s42, v20
	v_addc_co_u32_e32 v21, vcc, v6, v21, vcc
	global_load_dwordx2 v[20:21], v[20:21], off
	s_waitcnt vmcnt(0)
	v_pk_add_f32 v[16:17], v[16:17], v[20:21]
.LBB36_108:                             ;   in Loop: Header=BB36_14 Depth=3
	s_or_b64 exec, exec, s[0:1]
	s_or_b64 exec, exec, s[28:29]
	v_cmp_eq_u32_e32 vcc, v8, v14
	s_and_saveexec_b64 s[0:1], vcc
	s_cbranch_execnz .LBB36_84
	s_branch .LBB36_85
.LBB36_109:                             ;   in Loop: Header=BB36_14 Depth=3
	v_cmp_neq_f32_e32 vcc, 0, v24
	v_mov_b32_e32 v23, 0
	s_and_saveexec_b64 s[4:5], vcc
	s_cbranch_execz .LBB36_111
; %bb.110:                              ;   in Loop: Header=BB36_14 Depth=3
	v_div_scale_f32 v23, s[6:7], v21, v21, v11
	v_rcp_f32_e32 v24, v23
	v_div_scale_f32 v25, vcc, v11, v21, v11
	v_fma_f32 v26, -v23, v24, 1.0
	v_fmac_f32_e32 v24, v26, v24
	v_mul_f32_e32 v26, v25, v24
	v_fma_f32 v27, -v23, v26, v25
	v_fmac_f32_e32 v26, v27, v24
	v_fma_f32 v23, -v23, v26, v25
	v_div_fmas_f32 v23, v23, v24, v26
	v_div_fixup_f32 v11, v23, v21, v11
	v_fma_f32 v11, v11, v11, 1.0
	v_mul_f32_e32 v23, 0x4f800000, v11
	v_cmp_gt_f32_e32 vcc, s11, v11
	v_cndmask_b32_e32 v11, v11, v23, vcc
	v_sqrt_f32_e32 v23, v11
	v_add_u32_e32 v24, -1, v23
	v_fma_f32 v26, -v24, v23, v11
	v_add_u32_e32 v25, 1, v23
	v_cmp_ge_f32_e64 s[28:29], 0, v26
	v_cndmask_b32_e64 v24, v23, v24, s[28:29]
	v_fma_f32 v23, -v25, v23, v11
	v_cmp_lt_f32_e64 s[28:29], 0, v23
	v_cndmask_b32_e64 v23, v24, v25, s[28:29]
	v_mul_f32_e32 v24, 0x37800000, v23
	v_cndmask_b32_e32 v23, v23, v24, vcc
	v_cmp_class_f32_e32 vcc, v11, v35
	v_cndmask_b32_e32 v11, v23, v11, vcc
	v_mul_f32_e32 v23, v21, v11
.LBB36_111:                             ;   in Loop: Header=BB36_14 Depth=3
	s_or_b64 exec, exec, s[4:5]
                                        ; implicit-def: $vgpr11
                                        ; implicit-def: $vgpr21
	s_andn2_saveexec_b64 s[0:1], s[0:1]
	s_cbranch_execz .LBB36_45
.LBB36_112:                             ;   in Loop: Header=BB36_14 Depth=3
	v_div_scale_f32 v23, s[4:5], v11, v11, v21
	v_rcp_f32_e32 v24, v23
	v_div_scale_f32 v25, vcc, v21, v11, v21
	v_fma_f32 v26, -v23, v24, 1.0
	v_fmac_f32_e32 v24, v26, v24
	v_mul_f32_e32 v26, v25, v24
	v_fma_f32 v27, -v23, v26, v25
	v_fmac_f32_e32 v26, v27, v24
	v_fma_f32 v23, -v23, v26, v25
	v_div_fmas_f32 v23, v23, v24, v26
	v_div_fixup_f32 v21, v23, v11, v21
	v_fma_f32 v21, v21, v21, 1.0
	v_mul_f32_e32 v23, 0x4f800000, v21
	v_cmp_gt_f32_e32 vcc, s11, v21
	v_cndmask_b32_e32 v21, v21, v23, vcc
	v_sqrt_f32_e32 v23, v21
	v_add_u32_e32 v24, -1, v23
	v_fma_f32 v26, -v24, v23, v21
	v_add_u32_e32 v25, 1, v23
	v_cmp_ge_f32_e64 s[28:29], 0, v26
	v_cndmask_b32_e64 v24, v23, v24, s[28:29]
	v_fma_f32 v23, -v25, v23, v21
	v_cmp_lt_f32_e64 s[28:29], 0, v23
	v_cndmask_b32_e64 v23, v24, v25, s[28:29]
	v_mul_f32_e32 v24, 0x37800000, v23
	v_cndmask_b32_e32 v23, v23, v24, vcc
	v_cmp_class_f32_e32 vcc, v21, v35
	v_cndmask_b32_e32 v21, v23, v21, vcc
	v_mul_f32_e32 v23, v11, v21
	s_or_b64 exec, exec, s[0:1]
	v_cmp_class_f32_e64 s[4:5], v23, s12
	s_and_saveexec_b64 s[0:1], s[4:5]
	s_cbranch_execnz .LBB36_46
	s_branch .LBB36_47
.LBB36_113:                             ;   in Loop: Header=BB36_14 Depth=3
	v_cmp_neq_f32_e32 vcc, 0, v24
	v_mov_b32_e32 v23, 0
	s_and_saveexec_b64 s[4:5], vcc
	s_cbranch_execz .LBB36_115
; %bb.114:                              ;   in Loop: Header=BB36_14 Depth=3
	v_div_scale_f32 v23, s[6:7], v21, v21, v11
	v_rcp_f32_e32 v24, v23
	v_div_scale_f32 v25, vcc, v11, v21, v11
	v_fma_f32 v26, -v23, v24, 1.0
	v_fmac_f32_e32 v24, v26, v24
	v_mul_f32_e32 v26, v25, v24
	v_fma_f32 v27, -v23, v26, v25
	v_fmac_f32_e32 v26, v27, v24
	v_fma_f32 v23, -v23, v26, v25
	v_div_fmas_f32 v23, v23, v24, v26
	v_div_fixup_f32 v11, v23, v21, v11
	v_fma_f32 v11, v11, v11, 1.0
	v_mul_f32_e32 v23, 0x4f800000, v11
	v_cmp_gt_f32_e32 vcc, s11, v11
	v_cndmask_b32_e32 v11, v11, v23, vcc
	v_sqrt_f32_e32 v23, v11
	v_add_u32_e32 v24, -1, v23
	v_fma_f32 v26, -v24, v23, v11
	v_add_u32_e32 v25, 1, v23
	v_cmp_ge_f32_e64 s[28:29], 0, v26
	v_cndmask_b32_e64 v24, v23, v24, s[28:29]
	v_fma_f32 v23, -v25, v23, v11
	v_cmp_lt_f32_e64 s[28:29], 0, v23
	v_cndmask_b32_e64 v23, v24, v25, s[28:29]
	v_mul_f32_e32 v24, 0x37800000, v23
	v_cndmask_b32_e32 v23, v23, v24, vcc
	v_cmp_class_f32_e32 vcc, v11, v35
	v_cndmask_b32_e32 v11, v23, v11, vcc
	v_mul_f32_e32 v23, v21, v11
.LBB36_115:                             ;   in Loop: Header=BB36_14 Depth=3
	s_or_b64 exec, exec, s[4:5]
                                        ; implicit-def: $vgpr11
                                        ; implicit-def: $vgpr21
	s_andn2_saveexec_b64 s[0:1], s[0:1]
	s_cbranch_execz .LBB36_75
.LBB36_116:                             ;   in Loop: Header=BB36_14 Depth=3
	v_div_scale_f32 v23, s[4:5], v11, v11, v21
	v_rcp_f32_e32 v24, v23
	v_div_scale_f32 v25, vcc, v21, v11, v21
	v_fma_f32 v26, -v23, v24, 1.0
	v_fmac_f32_e32 v24, v26, v24
	v_mul_f32_e32 v26, v25, v24
	v_fma_f32 v27, -v23, v26, v25
	v_fmac_f32_e32 v26, v27, v24
	v_fma_f32 v23, -v23, v26, v25
	v_div_fmas_f32 v23, v23, v24, v26
	v_div_fixup_f32 v21, v23, v11, v21
	v_fma_f32 v21, v21, v21, 1.0
	v_mul_f32_e32 v23, 0x4f800000, v21
	v_cmp_gt_f32_e32 vcc, s11, v21
	v_cndmask_b32_e32 v21, v21, v23, vcc
	v_sqrt_f32_e32 v23, v21
	v_add_u32_e32 v24, -1, v23
	v_fma_f32 v26, -v24, v23, v21
	v_add_u32_e32 v25, 1, v23
	v_cmp_ge_f32_e64 s[28:29], 0, v26
	v_cndmask_b32_e64 v24, v23, v24, s[28:29]
	v_fma_f32 v23, -v25, v23, v21
	v_cmp_lt_f32_e64 s[28:29], 0, v23
	v_cndmask_b32_e64 v23, v24, v25, s[28:29]
	v_mul_f32_e32 v24, 0x37800000, v23
	v_cndmask_b32_e32 v23, v23, v24, vcc
	v_cmp_class_f32_e32 vcc, v21, v35
	v_cndmask_b32_e32 v21, v23, v21, vcc
	v_mul_f32_e32 v23, v11, v21
	s_or_b64 exec, exec, s[0:1]
	v_cmp_class_f32_e64 s[4:5], v23, s12
	s_and_saveexec_b64 s[0:1], s[4:5]
	s_cbranch_execnz .LBB36_76
	s_branch .LBB36_77
.LBB36_117:                             ;   in Loop: Header=BB36_14 Depth=3
	v_cmp_neq_f32_e32 vcc, 0, v24
	v_mov_b32_e32 v23, 0
	s_and_saveexec_b64 s[4:5], vcc
	s_cbranch_execz .LBB36_119
; %bb.118:                              ;   in Loop: Header=BB36_14 Depth=3
	v_div_scale_f32 v23, s[6:7], v21, v21, v11
	v_rcp_f32_e32 v24, v23
	v_div_scale_f32 v25, vcc, v11, v21, v11
	v_fma_f32 v26, -v23, v24, 1.0
	v_fmac_f32_e32 v24, v26, v24
	v_mul_f32_e32 v26, v25, v24
	v_fma_f32 v27, -v23, v26, v25
	v_fmac_f32_e32 v26, v27, v24
	v_fma_f32 v23, -v23, v26, v25
	v_div_fmas_f32 v23, v23, v24, v26
	v_div_fixup_f32 v11, v23, v21, v11
	v_fma_f32 v11, v11, v11, 1.0
	v_mul_f32_e32 v23, 0x4f800000, v11
	v_cmp_gt_f32_e32 vcc, s11, v11
	v_cndmask_b32_e32 v11, v11, v23, vcc
	v_sqrt_f32_e32 v23, v11
	v_add_u32_e32 v24, -1, v23
	v_fma_f32 v26, -v24, v23, v11
	v_add_u32_e32 v25, 1, v23
	v_cmp_ge_f32_e64 s[28:29], 0, v26
	v_cndmask_b32_e64 v24, v23, v24, s[28:29]
	v_fma_f32 v23, -v25, v23, v11
	v_cmp_lt_f32_e64 s[28:29], 0, v23
	v_cndmask_b32_e64 v23, v24, v25, s[28:29]
	v_mul_f32_e32 v24, 0x37800000, v23
	v_cndmask_b32_e32 v23, v23, v24, vcc
	v_cmp_class_f32_e32 vcc, v11, v35
	v_cndmask_b32_e32 v11, v23, v11, vcc
	v_mul_f32_e32 v23, v21, v11
.LBB36_119:                             ;   in Loop: Header=BB36_14 Depth=3
	s_or_b64 exec, exec, s[4:5]
                                        ; implicit-def: $vgpr11
                                        ; implicit-def: $vgpr21
	s_andn2_saveexec_b64 s[0:1], s[0:1]
	s_cbranch_execz .LBB36_59
.LBB36_120:                             ;   in Loop: Header=BB36_14 Depth=3
	v_div_scale_f32 v23, s[4:5], v11, v11, v21
	v_rcp_f32_e32 v24, v23
	v_div_scale_f32 v25, vcc, v21, v11, v21
	v_fma_f32 v26, -v23, v24, 1.0
	v_fmac_f32_e32 v24, v26, v24
	v_mul_f32_e32 v26, v25, v24
	v_fma_f32 v27, -v23, v26, v25
	v_fmac_f32_e32 v26, v27, v24
	v_fma_f32 v23, -v23, v26, v25
	v_div_fmas_f32 v23, v23, v24, v26
	v_div_fixup_f32 v21, v23, v11, v21
	v_fma_f32 v21, v21, v21, 1.0
	v_mul_f32_e32 v23, 0x4f800000, v21
	v_cmp_gt_f32_e32 vcc, s11, v21
	v_cndmask_b32_e32 v21, v21, v23, vcc
	v_sqrt_f32_e32 v23, v21
	v_add_u32_e32 v24, -1, v23
	v_fma_f32 v26, -v24, v23, v21
	v_add_u32_e32 v25, 1, v23
	v_cmp_ge_f32_e64 s[28:29], 0, v26
	v_cndmask_b32_e64 v24, v23, v24, s[28:29]
	v_fma_f32 v23, -v25, v23, v21
	v_cmp_lt_f32_e64 s[28:29], 0, v23
	v_cndmask_b32_e64 v23, v24, v25, s[28:29]
	v_mul_f32_e32 v24, 0x37800000, v23
	v_cndmask_b32_e32 v23, v23, v24, vcc
	v_cmp_class_f32_e32 vcc, v21, v35
	v_cndmask_b32_e32 v21, v23, v21, vcc
	v_mul_f32_e32 v23, v11, v21
	s_or_b64 exec, exec, s[0:1]
	v_cmp_class_f32_e64 s[4:5], v23, s12
	s_and_saveexec_b64 s[0:1], s[4:5]
	s_cbranch_execnz .LBB36_60
	s_branch .LBB36_61
.LBB36_121:                             ;   in Loop: Header=BB36_5 Depth=1
	s_and_b64 vcc, exec, s[68:69]
	s_cbranch_vccz .LBB36_143
; %bb.122:                              ;   in Loop: Header=BB36_5 Depth=1
	v_mov_b32_dpp v6, v4 row_shr:1 row_mask:0xf bank_mask:0xf
	s_mov_b64 s[0:1], exec
	v_readlane_b32 s4, v44, 12
	v_readlane_b32 s5, v44, 13
	s_and_b64 s[4:5], s[0:1], s[4:5]
	s_mov_b64 exec, s[4:5]
	s_cbranch_execz .LBB36_124
; %bb.123:                              ;   in Loop: Header=BB36_5 Depth=1
	v_cmp_lt_f32_e32 vcc, v4, v6
	v_cndmask_b32_e32 v4, v4, v6, vcc
	ds_write_b32 v32, v4
.LBB36_124:                             ;   in Loop: Header=BB36_5 Depth=1
	s_or_b64 exec, exec, s[0:1]
	s_waitcnt lgkmcnt(0)
	s_barrier
	s_mov_b64 s[0:1], exec
	v_readlane_b32 s4, v44, 14
	v_readlane_b32 s5, v44, 15
	s_and_b64 s[4:5], s[0:1], s[4:5]
	s_mov_b64 exec, s[4:5]
	s_cbranch_execz .LBB36_126
; %bb.125:                              ;   in Loop: Header=BB36_5 Depth=1
	ds_read2st64_b32 v[8:9], v1 offset1:4
	s_waitcnt lgkmcnt(0)
	v_cmp_lt_f32_e32 vcc, v8, v9
	v_cndmask_b32_e32 v4, v8, v9, vcc
	ds_write_b32 v1, v4
.LBB36_126:                             ;   in Loop: Header=BB36_5 Depth=1
	s_or_b64 exec, exec, s[0:1]
	s_waitcnt lgkmcnt(0)
	s_barrier
	s_mov_b64 s[0:1], exec
	v_readlane_b32 s4, v44, 16
	v_readlane_b32 s5, v44, 17
	s_and_b64 s[4:5], s[0:1], s[4:5]
	s_mov_b64 exec, s[4:5]
	s_cbranch_execz .LBB36_128
; %bb.127:                              ;   in Loop: Header=BB36_5 Depth=1
	ds_read2st64_b32 v[8:9], v1 offset1:2
	s_waitcnt lgkmcnt(0)
	v_cmp_lt_f32_e32 vcc, v8, v9
	v_cndmask_b32_e32 v4, v8, v9, vcc
	ds_write_b32 v1, v4
.LBB36_128:                             ;   in Loop: Header=BB36_5 Depth=1
	;; [unrolled: 16-line block ×3, first 2 shown]
	s_or_b64 exec, exec, s[0:1]
	s_waitcnt lgkmcnt(0)
	s_barrier
	s_and_saveexec_b64 s[0:1], s[14:15]
	s_cbranch_execz .LBB36_132
; %bb.131:                              ;   in Loop: Header=BB36_5 Depth=1
	ds_read2_b32 v[8:9], v1 offset1:32
	s_waitcnt lgkmcnt(0)
	v_cmp_lt_f32_e32 vcc, v8, v9
	v_cndmask_b32_e32 v4, v8, v9, vcc
	ds_write_b32 v1, v4
.LBB36_132:                             ;   in Loop: Header=BB36_5 Depth=1
	s_or_b64 exec, exec, s[0:1]
	s_waitcnt lgkmcnt(0)
	s_barrier
	s_and_saveexec_b64 s[0:1], s[16:17]
	s_cbranch_execz .LBB36_134
; %bb.133:                              ;   in Loop: Header=BB36_5 Depth=1
	ds_read2_b32 v[8:9], v1 offset1:16
	s_waitcnt lgkmcnt(0)
	v_cmp_lt_f32_e32 vcc, v8, v9
	v_cndmask_b32_e32 v4, v8, v9, vcc
	ds_write_b32 v1, v4
.LBB36_134:                             ;   in Loop: Header=BB36_5 Depth=1
	;; [unrolled: 12-line block ×5, first 2 shown]
	s_or_b64 exec, exec, s[0:1]
	s_waitcnt lgkmcnt(0)
	s_barrier
	s_and_saveexec_b64 s[0:1], s[24:25]
	s_cbranch_execz .LBB36_142
; %bb.141:                              ;   in Loop: Header=BB36_5 Depth=1
	ds_read_b64 v[8:9], v36
	s_waitcnt lgkmcnt(0)
	v_cmp_lt_f32_e32 vcc, v8, v9
	v_cndmask_b32_e32 v4, v8, v9, vcc
	ds_write_b32 v36, v4
.LBB36_142:                             ;   in Loop: Header=BB36_5 Depth=1
	s_or_b64 exec, exec, s[0:1]
	v_readlane_b32 s0, v44, 4
	v_readlane_b32 s1, v44, 5
	s_waitcnt lgkmcnt(0)
	s_barrier
	ds_read_b32 v4, v36
	s_load_dword s4, s[0:1], 0x0
	s_waitcnt lgkmcnt(0)
	v_div_scale_f32 v6, s[0:1], s4, s4, v4
	v_rcp_f32_e32 v8, v6
	v_div_scale_f32 v9, vcc, v4, s4, v4
	v_fma_f32 v10, -v6, v8, 1.0
	v_fmac_f32_e32 v8, v10, v8
	v_mul_f32_e32 v10, v9, v8
	v_fma_f32 v11, -v6, v10, v9
	v_fmac_f32_e32 v10, v11, v8
	v_fma_f32 v6, -v6, v10, v9
	v_div_fmas_f32 v6, v6, v8, v10
	v_div_fixup_f32 v4, v6, s4, v4
.LBB36_143:                             ;   in Loop: Header=BB36_5 Depth=1
	s_andn2_b64 vcc, exec, s[34:35]
	s_cbranch_vccnz .LBB36_165
; %bb.144:                              ;   in Loop: Header=BB36_5 Depth=1
	v_mov_b32_dpp v6, v2 row_shr:1 row_mask:0xf bank_mask:0xf
	s_mov_b64 s[0:1], exec
	v_readlane_b32 s4, v44, 12
	v_readlane_b32 s5, v44, 13
	s_and_b64 s[4:5], s[0:1], s[4:5]
	s_mov_b64 exec, s[4:5]
	s_cbranch_execz .LBB36_146
; %bb.145:                              ;   in Loop: Header=BB36_5 Depth=1
	v_cmp_lt_f32_e32 vcc, v2, v6
	v_cndmask_b32_e32 v2, v2, v6, vcc
	ds_write_b32 v32, v2
.LBB36_146:                             ;   in Loop: Header=BB36_5 Depth=1
	s_or_b64 exec, exec, s[0:1]
	s_waitcnt lgkmcnt(0)
	s_barrier
	s_mov_b64 s[0:1], exec
	v_readlane_b32 s4, v44, 14
	v_readlane_b32 s5, v44, 15
	s_and_b64 s[4:5], s[0:1], s[4:5]
	s_mov_b64 exec, s[4:5]
	s_cbranch_execz .LBB36_148
; %bb.147:                              ;   in Loop: Header=BB36_5 Depth=1
	ds_read2st64_b32 v[8:9], v1 offset1:4
	s_waitcnt lgkmcnt(0)
	v_cmp_lt_f32_e32 vcc, v8, v9
	v_cndmask_b32_e32 v2, v8, v9, vcc
	ds_write_b32 v1, v2
.LBB36_148:                             ;   in Loop: Header=BB36_5 Depth=1
	s_or_b64 exec, exec, s[0:1]
	s_waitcnt lgkmcnt(0)
	s_barrier
	s_mov_b64 s[0:1], exec
	v_readlane_b32 s4, v44, 16
	v_readlane_b32 s5, v44, 17
	s_and_b64 s[4:5], s[0:1], s[4:5]
	s_mov_b64 exec, s[4:5]
	s_cbranch_execz .LBB36_150
; %bb.149:                              ;   in Loop: Header=BB36_5 Depth=1
	ds_read2st64_b32 v[8:9], v1 offset1:2
	s_waitcnt lgkmcnt(0)
	v_cmp_lt_f32_e32 vcc, v8, v9
	v_cndmask_b32_e32 v2, v8, v9, vcc
	ds_write_b32 v1, v2
.LBB36_150:                             ;   in Loop: Header=BB36_5 Depth=1
	;; [unrolled: 16-line block ×3, first 2 shown]
	s_or_b64 exec, exec, s[0:1]
	s_waitcnt lgkmcnt(0)
	s_barrier
	s_and_saveexec_b64 s[0:1], s[14:15]
	s_cbranch_execz .LBB36_154
; %bb.153:                              ;   in Loop: Header=BB36_5 Depth=1
	ds_read2_b32 v[8:9], v1 offset1:32
	s_waitcnt lgkmcnt(0)
	v_cmp_lt_f32_e32 vcc, v8, v9
	v_cndmask_b32_e32 v2, v8, v9, vcc
	ds_write_b32 v1, v2
.LBB36_154:                             ;   in Loop: Header=BB36_5 Depth=1
	s_or_b64 exec, exec, s[0:1]
	s_waitcnt lgkmcnt(0)
	s_barrier
	s_and_saveexec_b64 s[0:1], s[16:17]
	s_cbranch_execz .LBB36_156
; %bb.155:                              ;   in Loop: Header=BB36_5 Depth=1
	ds_read2_b32 v[8:9], v1 offset1:16
	s_waitcnt lgkmcnt(0)
	v_cmp_lt_f32_e32 vcc, v8, v9
	v_cndmask_b32_e32 v2, v8, v9, vcc
	ds_write_b32 v1, v2
.LBB36_156:                             ;   in Loop: Header=BB36_5 Depth=1
	;; [unrolled: 12-line block ×5, first 2 shown]
	s_or_b64 exec, exec, s[0:1]
	s_waitcnt lgkmcnt(0)
	s_barrier
	s_and_saveexec_b64 s[0:1], s[24:25]
	s_cbranch_execz .LBB36_164
; %bb.163:                              ;   in Loop: Header=BB36_5 Depth=1
	ds_read_b64 v[8:9], v36
	s_waitcnt lgkmcnt(0)
	v_cmp_lt_f32_e32 vcc, v8, v9
	v_cndmask_b32_e32 v2, v8, v9, vcc
	ds_write_b32 v36, v2
.LBB36_164:                             ;   in Loop: Header=BB36_5 Depth=1
	s_or_b64 exec, exec, s[0:1]
	v_readlane_b32 s0, v44, 4
	v_readlane_b32 s1, v44, 5
	s_waitcnt lgkmcnt(0)
	s_barrier
	ds_read_b32 v2, v36
	s_load_dword s4, s[0:1], 0x0
	s_waitcnt lgkmcnt(0)
	v_div_scale_f32 v6, s[0:1], s4, s4, v2
	v_rcp_f32_e32 v8, v6
	v_div_scale_f32 v9, vcc, v2, s4, v2
	v_fma_f32 v10, -v6, v8, 1.0
	v_fmac_f32_e32 v8, v10, v8
	v_mul_f32_e32 v10, v9, v8
	v_fma_f32 v11, -v6, v10, v9
	v_fmac_f32_e32 v10, v11, v8
	v_fma_f32 v6, -v6, v10, v9
	v_div_fmas_f32 v6, v6, v8, v10
	v_div_fixup_f32 v2, v6, s4, v2
.LBB36_165:                             ;   in Loop: Header=BB36_5 Depth=1
	s_mov_b64 s[26:27], exec
	v_readlane_b32 s0, v44, 10
	v_readlane_b32 s1, v44, 11
	s_and_b64 s[0:1], s[26:27], s[0:1]
	s_mov_b64 exec, s[0:1]
	s_cbranch_execz .LBB36_177
; %bb.166:                              ;   in Loop: Header=BB36_5 Depth=1
	s_mov_b64 s[28:29], 0
	v_mov_b32_e32 v8, v30
	s_branch .LBB36_168
.LBB36_167:                             ;   in Loop: Header=BB36_168 Depth=2
	s_or_b64 exec, exec, s[30:31]
	v_add_u32_e32 v8, 0x200, v8
	v_cmp_le_u32_e32 vcc, s10, v8
	s_or_b64 s[28:29], vcc, s[28:29]
	s_andn2_b64 exec, exec, s[28:29]
	s_cbranch_execz .LBB36_177
.LBB36_168:                             ;   Parent Loop BB36_5 Depth=1
                                        ; =>  This Loop Header: Depth=2
                                        ;       Child Loop BB36_171 Depth 3
                                        ;       Child Loop BB36_174 Depth 3
	v_cmp_gt_i32_e32 vcc, s75, v8
	s_and_saveexec_b64 s[30:31], vcc
	s_cbranch_execz .LBB36_167
; %bb.169:                              ;   in Loop: Header=BB36_168 Depth=2
	v_ashrrev_i32_e32 v9, 31, v8
	v_lshlrev_b64 v[10:11], 2, v[8:9]
	v_mov_b32_e32 v6, s45
	v_add_co_u32_e32 v12, vcc, s44, v10
	v_addc_co_u32_e32 v13, vcc, v6, v11, vcc
	global_load_dword v6, v[12:13], off
	v_mov_b32_e32 v13, s47
	v_add_co_u32_e32 v12, vcc, s46, v10
	v_addc_co_u32_e32 v13, vcc, v13, v11, vcc
	global_load_dword v13, v[12:13], off
	s_waitcnt vmcnt(1)
	v_add_u32_e32 v12, v33, v6
	s_waitcnt vmcnt(0)
	v_subrev_u32_e32 v6, s8, v13
	v_cmp_lt_i32_e32 vcc, v12, v6
	s_and_saveexec_b64 s[0:1], vcc
	s_cbranch_execz .LBB36_172
; %bb.170:                              ;   in Loop: Header=BB36_168 Depth=2
	v_ashrrev_i32_e32 v13, 31, v12
	v_lshlrev_b64 v[16:17], 3, v[12:13]
	v_mov_b32_e32 v13, s85
	v_add_co_u32_e32 v14, vcc, s84, v16
	v_addc_co_u32_e32 v15, vcc, v13, v17, vcc
	v_mov_b32_e32 v13, s51
	v_add_co_u32_e32 v16, vcc, s50, v16
	v_addc_co_u32_e32 v17, vcc, v13, v17, vcc
	s_mov_b64 s[4:5], 0
.LBB36_171:                             ;   Parent Loop BB36_5 Depth=1
                                        ;     Parent Loop BB36_168 Depth=2
                                        ; =>    This Inner Loop Header: Depth=3
	global_load_dwordx2 v[18:19], v[14:15], off
	v_add_co_u32_e32 v14, vcc, 16, v14
	v_add_u32_e32 v12, 2, v12
	v_addc_co_u32_e32 v15, vcc, 0, v15, vcc
	v_cmp_ge_i32_e32 vcc, v12, v6
	s_or_b64 s[4:5], vcc, s[4:5]
	s_waitcnt vmcnt(0)
	global_store_dwordx2 v[16:17], v[18:19], off
	v_add_co_u32_e32 v16, vcc, 16, v16
	v_addc_co_u32_e32 v17, vcc, 0, v17, vcc
	s_andn2_b64 exec, exec, s[4:5]
	s_cbranch_execnz .LBB36_171
.LBB36_172:                             ;   in Loop: Header=BB36_168 Depth=2
	s_or_b64 exec, exec, s[0:1]
	v_mov_b32_e32 v6, s37
	v_add_co_u32_e32 v12, vcc, s36, v10
	v_addc_co_u32_e32 v13, vcc, v6, v11, vcc
	global_load_dword v6, v[12:13], off
	v_mov_b32_e32 v12, s39
	v_add_co_u32_e32 v10, vcc, s38, v10
	v_addc_co_u32_e32 v11, vcc, v12, v11, vcc
	global_load_dword v11, v[10:11], off
	s_waitcnt vmcnt(1)
	v_add_u32_e32 v10, v34, v6
	s_waitcnt vmcnt(0)
	v_subrev_u32_e32 v6, s9, v11
	v_cmp_lt_i32_e32 vcc, v10, v6
	s_and_saveexec_b64 s[0:1], vcc
	s_cbranch_execz .LBB36_175
; %bb.173:                              ;   in Loop: Header=BB36_168 Depth=2
	v_ashrrev_i32_e32 v11, 31, v10
	v_lshlrev_b64 v[14:15], 3, v[10:11]
	v_mov_b32_e32 v11, s87
	v_add_co_u32_e32 v12, vcc, s86, v14
	v_addc_co_u32_e32 v13, vcc, v11, v15, vcc
	v_mov_b32_e32 v11, s43
	v_add_co_u32_e32 v14, vcc, s42, v14
	v_addc_co_u32_e32 v15, vcc, v11, v15, vcc
	s_mov_b64 s[4:5], 0
.LBB36_174:                             ;   Parent Loop BB36_5 Depth=1
                                        ;     Parent Loop BB36_168 Depth=2
                                        ; =>    This Inner Loop Header: Depth=3
	global_load_dwordx2 v[16:17], v[12:13], off
	v_add_co_u32_e32 v12, vcc, 16, v12
	v_add_u32_e32 v10, 2, v10
	v_addc_co_u32_e32 v13, vcc, 0, v13, vcc
	v_cmp_ge_i32_e32 vcc, v10, v6
	s_or_b64 s[4:5], vcc, s[4:5]
	s_waitcnt vmcnt(0)
	global_store_dwordx2 v[14:15], v[16:17], off
	v_add_co_u32_e32 v14, vcc, 16, v14
	v_addc_co_u32_e32 v15, vcc, 0, v15, vcc
	s_andn2_b64 exec, exec, s[4:5]
	s_cbranch_execnz .LBB36_174
.LBB36_175:                             ;   in Loop: Header=BB36_168 Depth=2
	s_or_b64 exec, exec, s[0:1]
	s_and_b64 exec, exec, s[2:3]
	s_cbranch_execz .LBB36_167
; %bb.176:                              ;   in Loop: Header=BB36_168 Depth=2
	v_lshlrev_b64 v[10:11], 3, v[8:9]
	v_mov_b32_e32 v6, s67
	v_add_co_u32_e32 v12, vcc, s66, v10
	v_addc_co_u32_e32 v13, vcc, v6, v11, vcc
	global_load_dwordx2 v[12:13], v[12:13], off
	v_mov_b32_e32 v6, s65
	v_add_co_u32_e32 v10, vcc, s64, v10
	v_addc_co_u32_e32 v11, vcc, v6, v11, vcc
	s_waitcnt vmcnt(0)
	global_store_dwordx2 v[10:11], v[12:13], off
	s_branch .LBB36_167
.LBB36_177:                             ;   in Loop: Header=BB36_5 Depth=1
	s_or_b64 exec, exec, s[26:27]
	s_mov_b64 s[28:29], -1
	s_and_b64 vcc, exec, s[70:71]
	s_cbranch_vccz .LBB36_187
; %bb.178:                              ;   in Loop: Header=BB36_5 Depth=1
	v_readlane_b32 s0, v44, 20
	v_readlane_b32 s1, v44, 21
	s_mov_b64 s[4:5], -1
	s_and_b64 vcc, exec, s[0:1]
                                        ; implicit-def: $sgpr0_sgpr1
	s_cbranch_vccz .LBB36_184
; %bb.179:                              ;   in Loop: Header=BB36_5 Depth=1
	v_readlane_b32 s0, v44, 6
	v_readlane_b32 s1, v44, 7
	s_and_b64 vcc, exec, s[0:1]
                                        ; implicit-def: $sgpr0_sgpr1
	s_cbranch_vccz .LBB36_181
; %bb.180:                              ;   in Loop: Header=BB36_5 Depth=1
	v_cmp_ge_f32_e32 vcc, s74, v2
	s_mov_b64 s[4:5], 0
	s_and_b64 s[0:1], vcc, exec
.LBB36_181:                             ;   in Loop: Header=BB36_5 Depth=1
	s_andn2_b64 vcc, exec, s[4:5]
	s_cbranch_vccnz .LBB36_183
; %bb.182:                              ;   in Loop: Header=BB36_5 Depth=1
	v_cmp_ge_f32_e32 vcc, s74, v4
	s_andn2_b64 s[0:1], s[0:1], exec
	s_and_b64 s[4:5], vcc, exec
	s_or_b64 s[0:1], s[0:1], s[4:5]
.LBB36_183:                             ;   in Loop: Header=BB36_5 Depth=1
	s_mov_b64 s[4:5], 0
.LBB36_184:                             ;   in Loop: Header=BB36_5 Depth=1
	s_andn2_b64 vcc, exec, s[4:5]
	s_cbranch_vccnz .LBB36_186
; %bb.185:                              ;   in Loop: Header=BB36_5 Depth=1
	v_cmp_ge_f32_e32 vcc, s74, v4
	v_cmp_ge_f32_e64 s[26:27], s74, v2
	s_and_b64 s[4:5], vcc, s[26:27]
	s_andn2_b64 s[0:1], s[0:1], exec
	s_and_b64 s[4:5], s[4:5], exec
	s_or_b64 s[0:1], s[0:1], s[4:5]
.LBB36_186:                             ;   in Loop: Header=BB36_5 Depth=1
	s_xor_b64 s[0:1], s[0:1], -1
	v_mov_b32_e32 v6, s13
	s_and_saveexec_b64 s[4:5], s[0:1]
	s_cbranch_execz .LBB36_4
	s_branch .LBB36_188
.LBB36_187:                             ;   in Loop: Header=BB36_5 Depth=1
	s_mov_b64 s[0:1], -1
	v_mov_b32_e32 v6, s13
	s_and_saveexec_b64 s[4:5], s[0:1]
	s_cbranch_execz .LBB36_4
.LBB36_188:                             ;   in Loop: Header=BB36_5 Depth=1
	v_readlane_b32 s0, v44, 0
	s_add_i32 s13, s13, 1
	v_readlane_b32 s1, v44, 1
	s_cmp_eq_u32 s13, s1
	s_mov_b32 s7, s1
	s_cselect_b64 s[0:1], -1, 0
	v_mov_b32_e32 v6, s7
	s_orn2_b64 s[28:29], s[0:1], exec
	s_branch .LBB36_4
.LBB36_189:
	s_or_b64 exec, exec, s[90:91]
	v_readlane_b32 s4, v44, 8
	v_readlane_b32 s5, v44, 9
	s_load_dwordx4 s[20:23], s[4:5], 0xb8
	v_readlane_b32 s2, v44, 2
	v_readlane_b32 s3, v44, 3
	s_or_b64 exec, exec, s[2:3]
	s_andn2_b64 vcc, exec, s[70:71]
	s_cbranch_vccnz .LBB36_2
.LBB36_190:
	v_mov_b32_dpp v7, v6 row_shr:1 row_mask:0xf bank_mask:0xf
	v_cmp_ne_u32_e32 vcc, 0, v5
	s_and_saveexec_b64 s[0:1], vcc
	s_cbranch_execz .LBB36_192
; %bb.191:
	v_lshlrev_b32_e32 v3, 2, v3
	v_max_i32_e32 v5, v6, v7
	ds_write_b32 v3, v5 offset:2048
.LBB36_192:
	s_or_b64 exec, exec, s[0:1]
	s_movk_i32 s0, 0x100
	v_cmp_gt_u32_e32 vcc, s0, v0
	s_waitcnt lgkmcnt(0)
	s_barrier
	s_and_saveexec_b64 s[0:1], vcc
	s_cbranch_execz .LBB36_194
; %bb.193:
	ds_read2st64_b32 v[6:7], v1 offset0:8 offset1:12
	s_waitcnt lgkmcnt(0)
	v_max_i32_e32 v3, v6, v7
	ds_write_b32 v1, v3 offset:2048
.LBB36_194:
	s_or_b64 exec, exec, s[0:1]
	s_movk_i32 s0, 0x80
	v_cmp_gt_u32_e32 vcc, s0, v0
	s_waitcnt lgkmcnt(0)
	s_barrier
	s_and_saveexec_b64 s[0:1], vcc
	s_cbranch_execz .LBB36_196
; %bb.195:
	ds_read2st64_b32 v[6:7], v1 offset0:8 offset1:10
	s_waitcnt lgkmcnt(0)
	v_max_i32_e32 v3, v6, v7
	ds_write_b32 v1, v3 offset:2048
.LBB36_196:
	s_or_b64 exec, exec, s[0:1]
	v_cmp_gt_u32_e32 vcc, 64, v0
	s_waitcnt lgkmcnt(0)
	s_barrier
	s_and_saveexec_b64 s[0:1], vcc
	s_cbranch_execz .LBB36_198
; %bb.197:
	ds_read2st64_b32 v[6:7], v1 offset0:8 offset1:9
	s_waitcnt lgkmcnt(0)
	v_max_i32_e32 v3, v6, v7
	ds_write_b32 v1, v3 offset:2048
.LBB36_198:
	s_or_b64 exec, exec, s[0:1]
	v_cmp_gt_u32_e32 vcc, 32, v0
	s_waitcnt lgkmcnt(0)
	s_barrier
	s_and_saveexec_b64 s[0:1], vcc
	s_cbranch_execz .LBB36_200
; %bb.199:
	v_add_u32_e32 v3, 0x800, v1
	ds_read2_b32 v[6:7], v3 offset1:32
	s_waitcnt lgkmcnt(0)
	v_max_i32_e32 v3, v6, v7
	ds_write_b32 v1, v3 offset:2048
.LBB36_200:
	s_or_b64 exec, exec, s[0:1]
	v_cmp_gt_u32_e32 vcc, 16, v0
	s_waitcnt lgkmcnt(0)
	s_barrier
	s_and_saveexec_b64 s[0:1], vcc
	s_cbranch_execz .LBB36_202
; %bb.201:
	v_add_u32_e32 v3, 0x800, v1
	ds_read2_b32 v[6:7], v3 offset1:16
	s_waitcnt lgkmcnt(0)
	v_max_i32_e32 v3, v6, v7
	ds_write_b32 v1, v3 offset:2048
.LBB36_202:
	s_or_b64 exec, exec, s[0:1]
	v_cmp_gt_u32_e32 vcc, 8, v0
	s_waitcnt lgkmcnt(0)
	s_barrier
	s_and_saveexec_b64 s[0:1], vcc
	s_cbranch_execz .LBB36_204
; %bb.203:
	v_add_u32_e32 v3, 0x800, v1
	ds_read2_b32 v[6:7], v3 offset1:8
	s_waitcnt lgkmcnt(0)
	v_max_i32_e32 v3, v6, v7
	ds_write_b32 v1, v3 offset:2048
.LBB36_204:
	s_or_b64 exec, exec, s[0:1]
	v_cmp_gt_u32_e32 vcc, 4, v0
	s_waitcnt lgkmcnt(0)
	s_barrier
	s_and_saveexec_b64 s[0:1], vcc
	s_cbranch_execz .LBB36_206
; %bb.205:
	v_add_u32_e32 v3, 0x800, v1
	ds_read2_b32 v[6:7], v3 offset1:4
	s_waitcnt lgkmcnt(0)
	v_max_i32_e32 v3, v6, v7
	ds_write_b32 v1, v3 offset:2048
.LBB36_206:
	s_or_b64 exec, exec, s[0:1]
	v_cmp_gt_u32_e32 vcc, 2, v0
	s_waitcnt lgkmcnt(0)
	s_barrier
	s_and_saveexec_b64 s[0:1], vcc
	s_cbranch_execz .LBB36_208
; %bb.207:
	v_add_u32_e32 v3, 0x800, v1
	ds_read2_b32 v[6:7], v3 offset1:2
	s_waitcnt lgkmcnt(0)
	v_max_i32_e32 v3, v6, v7
	ds_write_b32 v1, v3 offset:2048
.LBB36_208:
	s_or_b64 exec, exec, s[0:1]
	v_cmp_eq_u32_e32 vcc, 0, v0
	s_waitcnt lgkmcnt(0)
	s_barrier
	s_and_saveexec_b64 s[0:1], vcc
	s_cbranch_execz .LBB36_210
; %bb.209:
	v_mov_b32_e32 v1, 0
	ds_read_b64 v[6:7], v1 offset:2048
	s_waitcnt lgkmcnt(0)
	v_max_i32_e32 v3, v6, v7
	ds_write_b32 v1, v3 offset:2048
.LBB36_210:
	s_or_b64 exec, exec, s[0:1]
	s_waitcnt lgkmcnt(0)
	s_barrier
	s_and_saveexec_b64 s[0:1], vcc
	s_cbranch_execz .LBB36_213
; %bb.211:
	v_mbcnt_lo_u32_b32 v1, exec_lo, 0
	v_mbcnt_hi_u32_b32 v1, exec_hi, v1
	v_cmp_eq_u32_e32 vcc, 0, v1
	s_and_b64 exec, exec, vcc
	s_cbranch_execz .LBB36_213
; %bb.212:
	v_mov_b32_e32 v1, 0
	ds_read_b32 v3, v1 offset:2048
	s_load_dwordx2 s[2:3], s[4:5], 0x8
	s_waitcnt lgkmcnt(0)
	v_add_u32_e32 v3, 1, v3
	global_atomic_smax v1, v3, s[2:3]
.LBB36_213:
	s_or_b64 exec, exec, s[0:1]
	v_cmp_eq_u32_e32 vcc, 0, v0
	s_and_b64 s[0:1], vcc, s[68:69]
	s_and_saveexec_b64 s[4:5], s[0:1]
	s_cbranch_execz .LBB36_218
.LBB36_214:
	v_mov_b32_e32 v0, 0
	s_waitcnt lgkmcnt(0)
	global_load_dword v5, v0, s[20:21] glc
	s_brev_b32 s2, 1
	v_cmp_eq_f32_e64 s[0:1], 0, v4
	s_mov_b64 s[6:7], 0
                                        ; implicit-def: $sgpr8_sgpr9
                                        ; implicit-def: $sgpr12_sgpr13
	s_waitcnt vmcnt(0)
	v_cmp_eq_u32_e64 s[10:11], s2, v5
	s_branch .LBB36_216
.LBB36_215:                             ;   in Loop: Header=BB36_216 Depth=1
	s_or_b64 exec, exec, s[14:15]
	s_and_b64 s[2:3], exec, s[8:9]
	s_or_b64 s[6:7], s[2:3], s[6:7]
	s_andn2_b64 s[2:3], s[10:11], exec
	s_and_b64 s[10:11], s[12:13], exec
	s_or_b64 s[10:11], s[2:3], s[10:11]
	s_andn2_b64 exec, exec, s[6:7]
	s_cbranch_execz .LBB36_218
.LBB36_216:                             ; =>This Inner Loop Header: Depth=1
	v_cmp_lt_f32_e64 s[2:3], v5, v4
	s_and_b64 s[14:15], s[0:1], s[10:11]
	s_or_b64 s[2:3], s[2:3], s[14:15]
	s_andn2_b64 s[12:13], s[12:13], exec
	s_or_b64 s[8:9], s[8:9], exec
	s_and_saveexec_b64 s[14:15], s[2:3]
	s_cbranch_execz .LBB36_215
; %bb.217:                              ;   in Loop: Header=BB36_216 Depth=1
	global_atomic_cmpswap v1, v0, v[4:5], s[20:21] glc
	s_andn2_b64 s[12:13], s[12:13], exec
	s_andn2_b64 s[8:9], s[8:9], exec
                                        ; implicit-def: $sgpr10_sgpr11
	s_waitcnt vmcnt(0)
	v_cmp_eq_u32_e64 s[2:3], v1, v5
	v_cndmask_b32_e64 v3, v1, v5, s[2:3]
	v_cmp_class_f32_e64 s[16:17], v3, 32
	s_and_b64 s[2:3], s[2:3], exec
	s_and_b64 s[16:17], s[16:17], exec
	s_or_b64 s[8:9], s[8:9], s[2:3]
	s_or_b64 s[12:13], s[12:13], s[16:17]
	v_mov_b32_e32 v5, v1
	s_branch .LBB36_215
.LBB36_218:
	s_or_b64 exec, exec, s[4:5]
	s_and_b64 s[0:1], vcc, s[34:35]
	s_and_saveexec_b64 s[2:3], s[0:1]
	s_cbranch_execz .LBB36_223
; %bb.219:
	v_mov_b32_e32 v0, 0
	s_waitcnt lgkmcnt(0)
	global_load_dword v3, v0, s[22:23] glc
	s_brev_b32 s0, 1
	v_cmp_eq_f32_e32 vcc, 0, v2
	s_mov_b64 s[2:3], 0
                                        ; implicit-def: $sgpr4_sgpr5
                                        ; implicit-def: $sgpr8_sgpr9
	s_waitcnt vmcnt(0)
	v_cmp_eq_u32_e64 s[6:7], s0, v3
	s_branch .LBB36_221
.LBB36_220:                             ;   in Loop: Header=BB36_221 Depth=1
	s_or_b64 exec, exec, s[10:11]
	s_and_b64 s[0:1], exec, s[4:5]
	s_or_b64 s[2:3], s[0:1], s[2:3]
	s_andn2_b64 s[0:1], s[6:7], exec
	s_and_b64 s[6:7], s[8:9], exec
	s_or_b64 s[6:7], s[0:1], s[6:7]
	s_andn2_b64 exec, exec, s[2:3]
	s_cbranch_execz .LBB36_223
.LBB36_221:                             ; =>This Inner Loop Header: Depth=1
	v_cmp_lt_f32_e64 s[0:1], v3, v2
	s_and_b64 s[10:11], vcc, s[6:7]
	s_or_b64 s[0:1], s[0:1], s[10:11]
	s_andn2_b64 s[8:9], s[8:9], exec
	s_or_b64 s[4:5], s[4:5], exec
	s_and_saveexec_b64 s[10:11], s[0:1]
	s_cbranch_execz .LBB36_220
; %bb.222:                              ;   in Loop: Header=BB36_221 Depth=1
	global_atomic_cmpswap v1, v0, v[2:3], s[22:23] glc
	s_andn2_b64 s[8:9], s[8:9], exec
	s_andn2_b64 s[4:5], s[4:5], exec
                                        ; implicit-def: $sgpr6_sgpr7
	s_waitcnt vmcnt(0)
	v_cmp_eq_u32_e64 s[0:1], v1, v3
	v_cndmask_b32_e64 v3, v1, v3, s[0:1]
	v_cmp_class_f32_e64 s[12:13], v3, 32
	s_and_b64 s[0:1], s[0:1], exec
	s_and_b64 s[12:13], s[12:13], exec
	s_or_b64 s[4:5], s[4:5], s[0:1]
	s_or_b64 s[8:9], s[8:9], s[12:13]
	v_mov_b32_e32 v3, v1
	s_branch .LBB36_220
.LBB36_223:
	s_endpgm
	.section	.rodata,"a",@progbits
	.p2align	6, 0x0
	.amdhsa_kernel _ZN9rocsparseL6kernelILi1024ELi2E21rocsparse_complex_numIfEiiEEvbbbT3_PS3_NS_15floating_traitsIT1_E6data_tES3_T2_PKS9_SB_PKS3_PKS6_21rocsparse_index_base_SB_SB_SD_PS6_SH_SG_SB_SB_SD_SH_SH_SG_SH_SH_PS8_SI_PKS8_
		.amdhsa_group_segment_fixed_size 4096
		.amdhsa_private_segment_fixed_size 0
		.amdhsa_kernarg_size 208
		.amdhsa_user_sgpr_count 6
		.amdhsa_user_sgpr_private_segment_buffer 1
		.amdhsa_user_sgpr_dispatch_ptr 0
		.amdhsa_user_sgpr_queue_ptr 0
		.amdhsa_user_sgpr_kernarg_segment_ptr 1
		.amdhsa_user_sgpr_dispatch_id 0
		.amdhsa_user_sgpr_flat_scratch_init 0
		.amdhsa_user_sgpr_kernarg_preload_length 0
		.amdhsa_user_sgpr_kernarg_preload_offset 0
		.amdhsa_user_sgpr_private_segment_size 0
		.amdhsa_uses_dynamic_stack 0
		.amdhsa_system_sgpr_private_segment_wavefront_offset 0
		.amdhsa_system_sgpr_workgroup_id_x 1
		.amdhsa_system_sgpr_workgroup_id_y 0
		.amdhsa_system_sgpr_workgroup_id_z 0
		.amdhsa_system_sgpr_workgroup_info 0
		.amdhsa_system_vgpr_workitem_id 0
		.amdhsa_next_free_vgpr 45
		.amdhsa_next_free_sgpr 96
		.amdhsa_accum_offset 48
		.amdhsa_reserve_vcc 1
		.amdhsa_reserve_flat_scratch 0
		.amdhsa_float_round_mode_32 0
		.amdhsa_float_round_mode_16_64 0
		.amdhsa_float_denorm_mode_32 3
		.amdhsa_float_denorm_mode_16_64 3
		.amdhsa_dx10_clamp 1
		.amdhsa_ieee_mode 1
		.amdhsa_fp16_overflow 0
		.amdhsa_tg_split 0
		.amdhsa_exception_fp_ieee_invalid_op 0
		.amdhsa_exception_fp_denorm_src 0
		.amdhsa_exception_fp_ieee_div_zero 0
		.amdhsa_exception_fp_ieee_overflow 0
		.amdhsa_exception_fp_ieee_underflow 0
		.amdhsa_exception_fp_ieee_inexact 0
		.amdhsa_exception_int_div_zero 0
	.end_amdhsa_kernel
	.section	.text._ZN9rocsparseL6kernelILi1024ELi2E21rocsparse_complex_numIfEiiEEvbbbT3_PS3_NS_15floating_traitsIT1_E6data_tES3_T2_PKS9_SB_PKS3_PKS6_21rocsparse_index_base_SB_SB_SD_PS6_SH_SG_SB_SB_SD_SH_SH_SG_SH_SH_PS8_SI_PKS8_,"axG",@progbits,_ZN9rocsparseL6kernelILi1024ELi2E21rocsparse_complex_numIfEiiEEvbbbT3_PS3_NS_15floating_traitsIT1_E6data_tES3_T2_PKS9_SB_PKS3_PKS6_21rocsparse_index_base_SB_SB_SD_PS6_SH_SG_SB_SB_SD_SH_SH_SG_SH_SH_PS8_SI_PKS8_,comdat
.Lfunc_end36:
	.size	_ZN9rocsparseL6kernelILi1024ELi2E21rocsparse_complex_numIfEiiEEvbbbT3_PS3_NS_15floating_traitsIT1_E6data_tES3_T2_PKS9_SB_PKS3_PKS6_21rocsparse_index_base_SB_SB_SD_PS6_SH_SG_SB_SB_SD_SH_SH_SG_SH_SH_PS8_SI_PKS8_, .Lfunc_end36-_ZN9rocsparseL6kernelILi1024ELi2E21rocsparse_complex_numIfEiiEEvbbbT3_PS3_NS_15floating_traitsIT1_E6data_tES3_T2_PKS9_SB_PKS3_PKS6_21rocsparse_index_base_SB_SB_SD_PS6_SH_SG_SB_SB_SD_SH_SH_SG_SH_SH_PS8_SI_PKS8_
                                        ; -- End function
	.section	.AMDGPU.csdata,"",@progbits
; Kernel info:
; codeLenInByte = 8848
; NumSgprs: 100
; NumVgprs: 45
; NumAgprs: 0
; TotalNumVgprs: 45
; ScratchSize: 0
; MemoryBound: 0
; FloatMode: 240
; IeeeMode: 1
; LDSByteSize: 4096 bytes/workgroup (compile time only)
; SGPRBlocks: 12
; VGPRBlocks: 5
; NumSGPRsForWavesPerEU: 100
; NumVGPRsForWavesPerEU: 45
; AccumOffset: 48
; Occupancy: 8
; WaveLimiterHint : 1
; COMPUTE_PGM_RSRC2:SCRATCH_EN: 0
; COMPUTE_PGM_RSRC2:USER_SGPR: 6
; COMPUTE_PGM_RSRC2:TRAP_HANDLER: 0
; COMPUTE_PGM_RSRC2:TGID_X_EN: 1
; COMPUTE_PGM_RSRC2:TGID_Y_EN: 0
; COMPUTE_PGM_RSRC2:TGID_Z_EN: 0
; COMPUTE_PGM_RSRC2:TIDIG_COMP_CNT: 0
; COMPUTE_PGM_RSRC3_GFX90A:ACCUM_OFFSET: 11
; COMPUTE_PGM_RSRC3_GFX90A:TG_SPLIT: 0
	.section	.text._ZN9rocsparseL6kernelILi1024ELi4E21rocsparse_complex_numIfEiiEEvbbbT3_PS3_NS_15floating_traitsIT1_E6data_tES3_T2_PKS9_SB_PKS3_PKS6_21rocsparse_index_base_SB_SB_SD_PS6_SH_SG_SB_SB_SD_SH_SH_SG_SH_SH_PS8_SI_PKS8_,"axG",@progbits,_ZN9rocsparseL6kernelILi1024ELi4E21rocsparse_complex_numIfEiiEEvbbbT3_PS3_NS_15floating_traitsIT1_E6data_tES3_T2_PKS9_SB_PKS3_PKS6_21rocsparse_index_base_SB_SB_SD_PS6_SH_SG_SB_SB_SD_SH_SH_SG_SH_SH_PS8_SI_PKS8_,comdat
	.globl	_ZN9rocsparseL6kernelILi1024ELi4E21rocsparse_complex_numIfEiiEEvbbbT3_PS3_NS_15floating_traitsIT1_E6data_tES3_T2_PKS9_SB_PKS3_PKS6_21rocsparse_index_base_SB_SB_SD_PS6_SH_SG_SB_SB_SD_SH_SH_SG_SH_SH_PS8_SI_PKS8_ ; -- Begin function _ZN9rocsparseL6kernelILi1024ELi4E21rocsparse_complex_numIfEiiEEvbbbT3_PS3_NS_15floating_traitsIT1_E6data_tES3_T2_PKS9_SB_PKS3_PKS6_21rocsparse_index_base_SB_SB_SD_PS6_SH_SG_SB_SB_SD_SH_SH_SG_SH_SH_PS8_SI_PKS8_
	.p2align	8
	.type	_ZN9rocsparseL6kernelILi1024ELi4E21rocsparse_complex_numIfEiiEEvbbbT3_PS3_NS_15floating_traitsIT1_E6data_tES3_T2_PKS9_SB_PKS3_PKS6_21rocsparse_index_base_SB_SB_SD_PS6_SH_SG_SB_SB_SD_SH_SH_SG_SH_SH_PS8_SI_PKS8_,@function
_ZN9rocsparseL6kernelILi1024ELi4E21rocsparse_complex_numIfEiiEEvbbbT3_PS3_NS_15floating_traitsIT1_E6data_tES3_T2_PKS9_SB_PKS3_PKS6_21rocsparse_index_base_SB_SB_SD_PS6_SH_SG_SB_SB_SD_SH_SH_SG_SH_SH_PS8_SI_PKS8_: ; @_ZN9rocsparseL6kernelILi1024ELi4E21rocsparse_complex_numIfEiiEEvbbbT3_PS3_NS_15floating_traitsIT1_E6data_tES3_T2_PKS9_SB_PKS3_PKS6_21rocsparse_index_base_SB_SB_SD_PS6_SH_SG_SB_SB_SD_SH_SH_SG_SH_SH_PS8_SI_PKS8_
; %bb.0:
	s_load_dword s0, s[4:5], 0x0
	s_load_dwordx2 s[10:11], s[4:5], 0x0
	s_load_dwordx2 s[72:73], s[4:5], 0x10
	s_load_dwordx4 s[20:23], s[4:5], 0xb8
	v_lshrrev_b32_e32 v3, 2, v0
	s_waitcnt lgkmcnt(0)
	s_bitcmp1_b32 s0, 0
	s_cselect_b64 s[68:69], -1, 0
	s_bitcmp1_b32 s0, 8
	s_cselect_b64 s[34:35], -1, 0
	;; [unrolled: 2-line block ×3, first 2 shown]
	s_lshl_b32 s2, s6, 10
	v_or_b32_e32 v30, s2, v3
	s_cmp_gt_i32 s11, 0
	v_cmp_gt_i32_e32 vcc, s73, v30
	s_cselect_b64 s[0:1], -1, 0
	v_and_b32_e32 v5, 3, v0
	v_lshlrev_b32_e32 v1, 2, v0
	v_mov_b32_e32 v6, 0
	s_and_b64 s[0:1], s[0:1], vcc
	s_mov_b32 s76, 0
	v_mov_b32_e32 v4, 0
	v_mov_b32_e32 v2, 0
	ds_write_b32 v1, v6
	s_waitcnt lgkmcnt(0)
	s_barrier
	s_and_saveexec_b64 s[6:7], s[0:1]
	s_cbranch_execnz .LBB37_3
; %bb.1:
	s_or_b64 exec, exec, s[6:7]
	s_andn2_b64 vcc, exec, s[68:69]
	s_cbranch_vccz .LBB37_186
.LBB37_2:
	v_cmp_eq_u32_e32 vcc, 0, v0
	s_and_b64 s[0:1], vcc, s[34:35]
	s_and_saveexec_b64 s[4:5], s[0:1]
	s_cbranch_execnz .LBB37_208
	s_branch .LBB37_212
.LBB37_3:
	s_load_dwordx2 s[0:1], s[4:5], 0xc8
                                        ; implicit-def: $vgpr44 : SGPR spill to VGPR lane
	s_load_dwordx4 s[64:67], s[4:5], 0xa8
	s_load_dwordx8 s[36:43], s[4:5], 0x78
	s_load_dwordx8 s[44:51], s[4:5], 0x48
	;; [unrolled: 1-line block ×3, first 2 shown]
	v_writelane_b32 v44, s6, 0
	v_writelane_b32 v44, s7, 1
	s_load_dword s33, s[4:5], 0x40
	s_load_dwordx2 s[82:83], s[4:5], 0x68
	s_load_dword s10, s[4:5], 0x70
	s_load_dwordx2 s[84:85], s[4:5], 0x98
	s_waitcnt lgkmcnt(0)
	v_writelane_b32 v44, s0, 2
	v_writelane_b32 v44, s1, 3
	s_xor_b64 s[0:1], s[34:35], -1
	v_writelane_b32 v44, s0, 4
	v_writelane_b32 v44, s1, 5
	;; [unrolled: 1-line block ×3, first 2 shown]
	s_addk_i32 s2, 0x400
	v_writelane_b32 v44, s5, 7
	v_cmp_gt_u32_e64 s[0:1], s2, v30
	v_writelane_b32 v44, s0, 8
	v_writelane_b32 v44, s1, 9
	v_cmp_eq_u32_e64 s[0:1], 3, v5
	v_writelane_b32 v44, s0, 10
	v_writelane_b32 v44, s1, 11
	s_movk_i32 s0, 0x80
	v_cmp_gt_u32_e64 s[0:1], s0, v0
	v_writelane_b32 v44, s0, 12
	v_writelane_b32 v44, s1, 13
	v_cmp_gt_u32_e64 s[0:1], 64, v0
	s_load_dword s5, s[4:5], 0xa0
	v_writelane_b32 v44, s0, 14
	v_writelane_b32 v44, s1, 15
	v_cmp_gt_u32_e64 s[0:1], 32, v0
	v_writelane_b32 v44, s0, 16
	v_writelane_b32 v44, s1, 17
	s_and_b64 s[0:1], s[34:35], s[30:31]
	s_xor_b64 s[0:1], s[0:1], -1
	v_subrev_u32_e32 v31, s33, v5
	v_lshlrev_b32_e32 v32, 2, v3
	v_cmp_gt_u32_e64 s[12:13], 16, v0
	v_cmp_gt_u32_e64 s[14:15], 8, v0
	v_cmp_gt_u32_e64 s[16:17], 4, v0
	v_cmp_gt_u32_e64 s[18:19], 2, v0
	v_cmp_eq_u32_e64 s[20:21], 0, v0
	v_subrev_u32_e32 v33, s10, v5
	s_waitcnt lgkmcnt(0)
	v_subrev_u32_e32 v34, s5, v5
	v_cmp_eq_u32_e64 s[22:23], 0, v5
	v_writelane_b32 v44, s0, 18
	s_mov_b64 s[88:89], 0
	v_mov_b32_e32 v7, 0
	s_mov_b32 s3, 0xf800000
	v_mov_b32_e32 v35, 0x260
	s_movk_i32 s6, 0x1f8
	v_mov_b32_e32 v36, 0
	v_mov_b32_e32 v2, 0
	;; [unrolled: 1-line block ×3, first 2 shown]
	s_mov_b32 s7, 0
	v_writelane_b32 v44, s1, 19
	s_branch .LBB37_5
.LBB37_4:                               ;   in Loop: Header=BB37_5 Depth=1
	s_or_b64 exec, exec, s[0:1]
	s_and_b64 s[0:1], exec, s[26:27]
	s_or_b64 s[88:89], s[0:1], s[88:89]
	s_andn2_b64 exec, exec, s[88:89]
	s_cbranch_execz .LBB37_185
.LBB37_5:                               ; =>This Loop Header: Depth=1
                                        ;     Child Loop BB37_9 Depth 2
                                        ;       Child Loop BB37_14 Depth 3
                                        ;         Child Loop BB37_18 Depth 4
                                        ;         Child Loop BB37_53 Depth 4
	;; [unrolled: 1-line block ×5, first 2 shown]
                                        ;     Child Loop BB37_164 Depth 2
                                        ;       Child Loop BB37_167 Depth 3
                                        ;       Child Loop BB37_170 Depth 3
	v_cndmask_b32_e64 v4, v4, 0, s[34:35]
	v_cndmask_b32_e64 v2, v2, 0, s[30:31]
	s_mov_b32 s8, 0
	s_branch .LBB37_9
.LBB37_6:                               ;   in Loop: Header=BB37_9 Depth=2
	s_or_b64 exec, exec, s[94:95]
.LBB37_7:                               ;   in Loop: Header=BB37_9 Depth=2
	s_or_b64 exec, exec, s[92:93]
.LBB37_8:                               ;   in Loop: Header=BB37_9 Depth=2
	s_or_b64 exec, exec, s[90:91]
	s_add_i32 s8, s8, 1
	s_cmp_eq_u32 s8, 4
	s_cbranch_scc1 .LBB37_121
.LBB37_9:                               ;   Parent Loop BB37_5 Depth=1
                                        ; =>  This Loop Header: Depth=2
                                        ;       Child Loop BB37_14 Depth 3
                                        ;         Child Loop BB37_18 Depth 4
                                        ;         Child Loop BB37_53 Depth 4
	;; [unrolled: 1-line block ×5, first 2 shown]
	v_lshl_add_u32 v8, s8, 8, v30
	v_cmp_gt_i32_e32 vcc, s73, v8
	s_and_saveexec_b64 s[90:91], vcc
	s_cbranch_execz .LBB37_8
; %bb.10:                               ;   in Loop: Header=BB37_9 Depth=2
	v_ashrrev_i32_e32 v9, 31, v8
	v_lshlrev_b64 v[12:13], 2, v[8:9]
	v_mov_b32_e32 v6, s53
	v_add_co_u32_e32 v10, vcc, s52, v12
	v_addc_co_u32_e32 v11, vcc, v6, v13, vcc
	global_load_dword v6, v[10:11], off
	v_mov_b32_e32 v9, s55
	v_add_co_u32_e32 v10, vcc, s54, v12
	v_addc_co_u32_e32 v11, vcc, v9, v13, vcc
	global_load_dword v9, v[10:11], off
	s_waitcnt vmcnt(1)
	v_add_u32_e32 v10, v31, v6
	s_waitcnt vmcnt(0)
	v_subrev_u32_e32 v9, s33, v9
	v_cmp_lt_i32_e32 vcc, v10, v9
	s_and_saveexec_b64 s[92:93], vcc
	s_cbranch_execz .LBB37_7
; %bb.11:                               ;   in Loop: Header=BB37_9 Depth=2
	v_mov_b32_e32 v6, s47
	v_add_co_u32_e32 v14, vcc, s46, v12
	v_addc_co_u32_e32 v15, vcc, v6, v13, vcc
	v_mov_b32_e32 v6, s45
	v_add_co_u32_e32 v12, vcc, s44, v12
	v_addc_co_u32_e32 v13, vcc, v6, v13, vcc
	global_load_dword v6, v[12:13], off
	global_load_dword v11, v[14:15], off
	v_mov_b32_e32 v18, s49
	v_mov_b32_e32 v19, s51
	s_mov_b64 s[94:95], 0
	s_waitcnt vmcnt(1)
	v_subrev_u32_e32 v12, s10, v6
	v_ashrrev_i32_e32 v13, 31, v12
	v_lshlrev_b64 v[14:15], 2, v[12:13]
	v_lshlrev_b64 v[16:17], 3, v[12:13]
	v_add_co_u32_e32 v13, vcc, s48, v14
	v_addc_co_u32_e32 v38, vcc, v18, v15, vcc
	s_waitcnt vmcnt(0)
	v_sub_u32_e32 v37, v11, v6
	v_add_co_u32_e32 v39, vcc, s50, v16
	v_cmp_lt_i32_e64 s[24:25], 0, v37
	v_addc_co_u32_e32 v40, vcc, v19, v17, vcc
	s_branch .LBB37_14
.LBB37_12:                              ;   in Loop: Header=BB37_14 Depth=3
	s_or_b64 exec, exec, s[0:1]
.LBB37_13:                              ;   in Loop: Header=BB37_14 Depth=3
	s_or_b64 exec, exec, s[28:29]
	v_add_u32_e32 v10, 4, v10
	v_cmp_ge_i32_e32 vcc, v10, v9
	s_or_b64 s[94:95], vcc, s[94:95]
	s_andn2_b64 exec, exec, s[94:95]
	s_cbranch_execz .LBB37_6
.LBB37_14:                              ;   Parent Loop BB37_5 Depth=1
                                        ;     Parent Loop BB37_9 Depth=2
                                        ; =>    This Loop Header: Depth=3
                                        ;         Child Loop BB37_18 Depth 4
                                        ;         Child Loop BB37_53 Depth 4
	;; [unrolled: 1-line block ×5, first 2 shown]
	v_ashrrev_i32_e32 v11, 31, v10
	v_lshlrev_b64 v[14:15], 2, v[10:11]
	v_mov_b32_e32 v6, s57
	v_add_co_u32_e32 v14, vcc, s56, v14
	v_addc_co_u32_e32 v15, vcc, v6, v15, vcc
	global_load_dword v6, v[14:15], off
	v_mov_b32_e32 v19, s37
	v_mov_b32_e32 v20, s39
	s_mov_b32 s77, s76
	v_mov_b32_e32 v22, 0
	s_waitcnt vmcnt(0)
	v_subrev_u32_e32 v14, s33, v6
	v_ashrrev_i32_e32 v15, 31, v14
	v_lshlrev_b64 v[16:17], 2, v[14:15]
	v_add_co_u32_e32 v18, vcc, s36, v16
	v_addc_co_u32_e32 v19, vcc, v19, v17, vcc
	v_add_co_u32_e32 v16, vcc, s38, v16
	v_addc_co_u32_e32 v17, vcc, v20, v17, vcc
	global_load_dword v18, v[18:19], off
	s_nop 0
	global_load_dword v19, v[16:17], off
	v_mov_b32_e32 v6, 0
	v_pk_mov_b32 v[16:17], s[76:77], s[76:77] op_sel:[0,1]
	s_waitcnt vmcnt(1)
	v_subrev_u32_e32 v20, s5, v18
	s_waitcnt vmcnt(0)
	v_sub_u32_e32 v41, v19, v18
	s_and_saveexec_b64 s[26:27], s[24:25]
	s_cbranch_execz .LBB37_22
; %bb.15:                               ;   in Loop: Header=BB37_14 Depth=3
	v_ashrrev_i32_e32 v21, 31, v20
	v_lshlrev_b64 v[16:17], 2, v[20:21]
	v_mov_b32_e32 v6, s41
	v_add_co_u32_e32 v18, vcc, s40, v16
	v_addc_co_u32_e32 v19, vcc, v6, v17, vcc
	v_lshlrev_b64 v[16:17], 3, v[20:21]
	v_mov_b32_e32 v6, s43
	v_add_co_u32_e32 v21, vcc, s42, v16
	v_mov_b32_e32 v22, 0
	v_addc_co_u32_e32 v24, vcc, v6, v17, vcc
	s_mov_b64 s[28:29], 0
	v_pk_mov_b32 v[16:17], s[76:77], s[76:77] op_sel:[0,1]
	v_mov_b32_e32 v6, v22
                                        ; implicit-def: $sgpr60_sgpr61
	s_branch .LBB37_18
.LBB37_16:                              ;   in Loop: Header=BB37_18 Depth=4
	s_or_b64 exec, exec, s[70:71]
	v_cmp_le_i32_e32 vcc, v25, v26
	v_addc_co_u32_e32 v6, vcc, 0, v6, vcc
	v_cmp_ge_i32_e32 vcc, v25, v26
	v_addc_co_u32_e32 v22, vcc, 0, v22, vcc
	v_cmp_ge_i32_e32 vcc, v6, v37
	s_andn2_b64 s[0:1], s[60:61], exec
	s_and_b64 s[60:61], vcc, exec
	s_or_b64 s[60:61], s[0:1], s[60:61]
.LBB37_17:                              ;   in Loop: Header=BB37_18 Depth=4
	s_or_b64 exec, exec, s[62:63]
	s_and_b64 s[0:1], exec, s[60:61]
	s_or_b64 s[28:29], s[0:1], s[28:29]
	s_andn2_b64 exec, exec, s[28:29]
	s_cbranch_execz .LBB37_21
.LBB37_18:                              ;   Parent Loop BB37_5 Depth=1
                                        ;     Parent Loop BB37_9 Depth=2
                                        ;       Parent Loop BB37_14 Depth=3
                                        ; =>      This Inner Loop Header: Depth=4
	v_cmp_lt_i32_e32 vcc, v22, v41
	s_or_b64 s[60:61], s[60:61], exec
	s_and_saveexec_b64 s[62:63], vcc
	s_cbranch_execz .LBB37_17
; %bb.19:                               ;   in Loop: Header=BB37_18 Depth=4
	v_lshlrev_b64 v[26:27], 2, v[6:7]
	v_add_co_u32_e32 v26, vcc, v13, v26
	v_addc_co_u32_e32 v27, vcc, v38, v27, vcc
	v_mov_b32_e32 v23, v7
	global_load_dword v25, v[26:27], off
	v_lshlrev_b64 v[26:27], 2, v[22:23]
	v_add_co_u32_e32 v26, vcc, v18, v26
	v_addc_co_u32_e32 v27, vcc, v19, v27, vcc
	global_load_dword v26, v[26:27], off
	s_waitcnt vmcnt(1)
	v_subrev_u32_e32 v25, s10, v25
	s_waitcnt vmcnt(0)
	v_subrev_u32_e32 v26, s5, v26
	v_cmp_eq_u32_e32 vcc, v25, v26
	s_and_saveexec_b64 s[70:71], vcc
	s_cbranch_execz .LBB37_16
; %bb.20:                               ;   in Loop: Header=BB37_18 Depth=4
	v_lshlrev_b64 v[28:29], 3, v[6:7]
	v_add_co_u32_e32 v28, vcc, v39, v28
	v_addc_co_u32_e32 v29, vcc, v40, v29, vcc
	v_lshlrev_b64 v[42:43], 3, v[22:23]
	v_add_co_u32_e32 v42, vcc, v21, v42
	v_addc_co_u32_e32 v43, vcc, v24, v43, vcc
	global_load_dwordx2 v[42:43], v[42:43], off
	s_nop 0
	global_load_dwordx2 v[28:29], v[28:29], off
	s_waitcnt vmcnt(0)
	v_pk_fma_f32 v[16:17], v[28:29], v[42:43], v[16:17] op_sel_hi:[1,0,1]
	v_pk_fma_f32 v[16:17], v[28:29], v[42:43], v[16:17] op_sel:[1,1,0] op_sel_hi:[0,1,1] neg_lo:[1,0,0]
	s_branch .LBB37_16
.LBB37_21:                              ;   in Loop: Header=BB37_14 Depth=3
	s_or_b64 exec, exec, s[28:29]
.LBB37_22:                              ;   in Loop: Header=BB37_14 Depth=3
	s_or_b64 exec, exec, s[26:27]
	v_lshlrev_b64 v[18:19], 3, v[10:11]
	v_mov_b32_e32 v11, s59
	v_add_co_u32_e32 v18, vcc, s58, v18
	v_addc_co_u32_e32 v19, vcc, v11, v19, vcc
	global_load_dwordx2 v[18:19], v[18:19], off
	v_cmp_le_i32_e64 s[26:27], v8, v14
	v_cmp_gt_i32_e32 vcc, v8, v14
	s_waitcnt vmcnt(0)
	v_pk_add_f32 v[24:25], v[18:19], v[16:17] neg_lo:[0,1] neg_hi:[0,1]
	s_and_saveexec_b64 s[60:61], vcc
	s_cbranch_execz .LBB37_32
; %bb.23:                               ;   in Loop: Header=BB37_14 Depth=3
	v_lshlrev_b64 v[26:27], 3, v[14:15]
	v_mov_b32_e32 v11, s65
	v_add_co_u32_e32 v26, vcc, s64, v26
	v_addc_co_u32_e32 v27, vcc, v11, v27, vcc
	global_load_dwordx2 v[26:27], v[26:27], off
                                        ; implicit-def: $vgpr23
	s_waitcnt vmcnt(0)
	v_cmp_gt_f32_e32 vcc, 0, v26
	v_cndmask_b32_e64 v11, v26, -v26, vcc
	v_cmp_gt_f32_e32 vcc, 0, v27
	v_cndmask_b32_e64 v21, v27, -v27, vcc
	v_cmp_ngt_f32_e32 vcc, v11, v21
	s_and_saveexec_b64 s[0:1], vcc
	s_xor_b64 s[62:63], exec, s[0:1]
	s_cbranch_execz .LBB37_27
; %bb.24:                               ;   in Loop: Header=BB37_14 Depth=3
	v_cmp_neq_f32_e32 vcc, 0, v27
	v_mov_b32_e32 v23, 0
	s_and_saveexec_b64 s[70:71], vcc
	s_cbranch_execz .LBB37_26
; %bb.25:                               ;   in Loop: Header=BB37_14 Depth=3
	v_div_scale_f32 v23, s[0:1], v21, v21, v11
	v_rcp_f32_e32 v28, v23
	v_div_scale_f32 v29, vcc, v11, v21, v11
	v_fma_f32 v42, -v23, v28, 1.0
	v_fmac_f32_e32 v28, v42, v28
	v_mul_f32_e32 v42, v29, v28
	v_fma_f32 v43, -v23, v42, v29
	v_fmac_f32_e32 v42, v43, v28
	v_fma_f32 v23, -v23, v42, v29
	v_div_fmas_f32 v23, v23, v28, v42
	v_div_fixup_f32 v11, v23, v21, v11
	v_fma_f32 v11, v11, v11, 1.0
	v_mul_f32_e32 v23, 0x4f800000, v11
	v_cmp_gt_f32_e32 vcc, s3, v11
	v_cndmask_b32_e32 v11, v11, v23, vcc
	v_sqrt_f32_e32 v23, v11
	v_add_u32_e32 v28, -1, v23
	v_fma_f32 v42, -v28, v23, v11
	v_add_u32_e32 v29, 1, v23
	v_cmp_ge_f32_e64 s[28:29], 0, v42
	v_cndmask_b32_e64 v28, v23, v28, s[28:29]
	v_fma_f32 v23, -v29, v23, v11
	v_cmp_lt_f32_e64 s[28:29], 0, v23
	v_cndmask_b32_e64 v23, v28, v29, s[28:29]
	v_mul_f32_e32 v28, 0x37800000, v23
	v_cndmask_b32_e32 v23, v23, v28, vcc
	v_cmp_class_f32_e32 vcc, v11, v35
	v_cndmask_b32_e32 v11, v23, v11, vcc
	v_mul_f32_e32 v23, v21, v11
.LBB37_26:                              ;   in Loop: Header=BB37_14 Depth=3
	s_or_b64 exec, exec, s[70:71]
                                        ; implicit-def: $vgpr11
                                        ; implicit-def: $vgpr21
.LBB37_27:                              ;   in Loop: Header=BB37_14 Depth=3
	s_andn2_saveexec_b64 s[62:63], s[62:63]
	s_cbranch_execz .LBB37_29
; %bb.28:                               ;   in Loop: Header=BB37_14 Depth=3
	v_div_scale_f32 v23, s[0:1], v11, v11, v21
	v_rcp_f32_e32 v28, v23
	v_div_scale_f32 v29, vcc, v21, v11, v21
	v_fma_f32 v42, -v23, v28, 1.0
	v_fmac_f32_e32 v28, v42, v28
	v_mul_f32_e32 v42, v29, v28
	v_fma_f32 v43, -v23, v42, v29
	v_fmac_f32_e32 v42, v43, v28
	v_fma_f32 v23, -v23, v42, v29
	v_div_fmas_f32 v23, v23, v28, v42
	v_div_fixup_f32 v21, v23, v11, v21
	v_fma_f32 v21, v21, v21, 1.0
	v_mul_f32_e32 v23, 0x4f800000, v21
	v_cmp_gt_f32_e32 vcc, s3, v21
	v_cndmask_b32_e32 v21, v21, v23, vcc
	v_sqrt_f32_e32 v23, v21
	v_add_u32_e32 v28, -1, v23
	v_fma_f32 v42, -v28, v23, v21
	v_add_u32_e32 v29, 1, v23
	v_cmp_ge_f32_e64 s[28:29], 0, v42
	v_cndmask_b32_e64 v28, v23, v28, s[28:29]
	v_fma_f32 v23, -v29, v23, v21
	v_cmp_lt_f32_e64 s[28:29], 0, v23
	v_cndmask_b32_e64 v23, v28, v29, s[28:29]
	v_mul_f32_e32 v28, 0x37800000, v23
	v_cndmask_b32_e32 v23, v23, v28, vcc
	v_cmp_class_f32_e32 vcc, v21, v35
	v_cndmask_b32_e32 v21, v23, v21, vcc
	v_mul_f32_e32 v23, v11, v21
.LBB37_29:                              ;   in Loop: Header=BB37_14 Depth=3
	s_or_b64 exec, exec, s[62:63]
	v_cmp_lt_f32_e32 vcc, 0, v23
	v_mov_b32_e32 v29, 0
	v_mov_b32_e32 v28, 0
	s_and_saveexec_b64 s[28:29], vcc
	s_cbranch_execz .LBB37_31
; %bb.30:                               ;   in Loop: Header=BB37_14 Depth=3
	v_mul_f32_e32 v11, v27, v27
	v_fmac_f32_e32 v11, v26, v26
	v_div_scale_f32 v21, s[0:1], v11, v11, 1.0
	v_rcp_f32_e32 v23, v21
	v_div_scale_f32 v28, vcc, 1.0, v11, 1.0
	v_xor_b32_e32 v43, 0x80000000, v24
	v_fma_f32 v29, -v21, v23, 1.0
	v_fmac_f32_e32 v23, v29, v23
	v_mul_f32_e32 v29, v28, v23
	v_fma_f32 v42, -v21, v29, v28
	v_fmac_f32_e32 v29, v42, v23
	v_fma_f32 v21, -v21, v29, v28
	v_mov_b32_e32 v42, v25
	v_div_fmas_f32 v21, v21, v23, v29
	v_pk_mul_f32 v[42:43], v[42:43], v[26:27] op_sel:[0,1]
	v_div_fixup_f32 v28, v21, v11, 1.0
	v_pk_fma_f32 v[24:25], v[24:25], v[26:27], v[42:43] op_sel_hi:[1,0,1]
	v_pk_mul_f32 v[28:29], v[24:25], v[28:29] op_sel_hi:[1,0]
.LBB37_31:                              ;   in Loop: Header=BB37_14 Depth=3
	s_or_b64 exec, exec, s[28:29]
	v_mov_b32_e32 v25, v29
	v_mov_b32_e32 v24, v28
.LBB37_32:                              ;   in Loop: Header=BB37_14 Depth=3
	s_or_b64 exec, exec, s[60:61]
	v_cmp_gt_f32_e32 vcc, 0, v24
	v_cndmask_b32_e64 v11, v24, -v24, vcc
	v_cmp_gt_f32_e32 vcc, 0, v25
	v_cndmask_b32_e64 v21, v25, -v25, vcc
	v_cmp_ngt_f32_e32 vcc, v11, v21
                                        ; implicit-def: $vgpr23
	s_and_saveexec_b64 s[0:1], vcc
	s_xor_b64 s[60:61], exec, s[0:1]
	s_cbranch_execnz .LBB37_36
; %bb.33:                               ;   in Loop: Header=BB37_14 Depth=3
	s_andn2_saveexec_b64 s[60:61], s[60:61]
	s_cbranch_execnz .LBB37_39
.LBB37_34:                              ;   in Loop: Header=BB37_14 Depth=3
	s_or_b64 exec, exec, s[60:61]
	v_cmp_class_f32_e64 s[28:29], v23, s6
	s_and_saveexec_b64 s[74:75], s[28:29]
	s_cbranch_execnz .LBB37_40
.LBB37_35:                              ;   in Loop: Header=BB37_14 Depth=3
	s_or_b64 exec, exec, s[74:75]
	s_and_b64 s[0:1], s[28:29], s[30:31]
	s_and_saveexec_b64 s[28:29], s[0:1]
	s_cbranch_execz .LBB37_13
	s_branch .LBB37_81
.LBB37_36:                              ;   in Loop: Header=BB37_14 Depth=3
	v_cmp_neq_f32_e32 vcc, 0, v25
	v_mov_b32_e32 v23, 0
	s_and_saveexec_b64 s[62:63], vcc
	s_cbranch_execz .LBB37_38
; %bb.37:                               ;   in Loop: Header=BB37_14 Depth=3
	v_div_scale_f32 v23, s[0:1], v21, v21, v11
	v_rcp_f32_e32 v26, v23
	v_div_scale_f32 v27, vcc, v11, v21, v11
	v_fma_f32 v28, -v23, v26, 1.0
	v_fmac_f32_e32 v26, v28, v26
	v_mul_f32_e32 v28, v27, v26
	v_fma_f32 v29, -v23, v28, v27
	v_fmac_f32_e32 v28, v29, v26
	v_fma_f32 v23, -v23, v28, v27
	v_div_fmas_f32 v23, v23, v26, v28
	v_div_fixup_f32 v11, v23, v21, v11
	v_fma_f32 v11, v11, v11, 1.0
	v_mul_f32_e32 v23, 0x4f800000, v11
	v_cmp_gt_f32_e32 vcc, s3, v11
	v_cndmask_b32_e32 v11, v11, v23, vcc
	v_sqrt_f32_e32 v23, v11
	v_add_u32_e32 v26, -1, v23
	v_fma_f32 v28, -v26, v23, v11
	v_add_u32_e32 v27, 1, v23
	v_cmp_ge_f32_e64 s[28:29], 0, v28
	v_cndmask_b32_e64 v26, v23, v26, s[28:29]
	v_fma_f32 v23, -v27, v23, v11
	v_cmp_lt_f32_e64 s[28:29], 0, v23
	v_cndmask_b32_e64 v23, v26, v27, s[28:29]
	v_mul_f32_e32 v26, 0x37800000, v23
	v_cndmask_b32_e32 v23, v23, v26, vcc
	v_cmp_class_f32_e32 vcc, v11, v35
	v_cndmask_b32_e32 v11, v23, v11, vcc
	v_mul_f32_e32 v23, v21, v11
.LBB37_38:                              ;   in Loop: Header=BB37_14 Depth=3
	s_or_b64 exec, exec, s[62:63]
                                        ; implicit-def: $vgpr11
                                        ; implicit-def: $vgpr21
	s_andn2_saveexec_b64 s[60:61], s[60:61]
	s_cbranch_execz .LBB37_34
.LBB37_39:                              ;   in Loop: Header=BB37_14 Depth=3
	v_div_scale_f32 v23, s[0:1], v11, v11, v21
	v_rcp_f32_e32 v26, v23
	v_div_scale_f32 v27, vcc, v21, v11, v21
	v_fma_f32 v28, -v23, v26, 1.0
	v_fmac_f32_e32 v26, v28, v26
	v_mul_f32_e32 v28, v27, v26
	v_fma_f32 v29, -v23, v28, v27
	v_fmac_f32_e32 v28, v29, v26
	v_fma_f32 v23, -v23, v28, v27
	v_div_fmas_f32 v23, v23, v26, v28
	v_div_fixup_f32 v21, v23, v11, v21
	v_fma_f32 v21, v21, v21, 1.0
	v_mul_f32_e32 v23, 0x4f800000, v21
	v_cmp_gt_f32_e32 vcc, s3, v21
	v_cndmask_b32_e32 v21, v21, v23, vcc
	v_sqrt_f32_e32 v23, v21
	v_add_u32_e32 v26, -1, v23
	v_fma_f32 v28, -v26, v23, v21
	v_add_u32_e32 v27, 1, v23
	v_cmp_ge_f32_e64 s[28:29], 0, v28
	v_cndmask_b32_e64 v26, v23, v26, s[28:29]
	v_fma_f32 v23, -v27, v23, v21
	v_cmp_lt_f32_e64 s[28:29], 0, v23
	v_cndmask_b32_e64 v23, v26, v27, s[28:29]
	v_mul_f32_e32 v26, 0x37800000, v23
	v_cndmask_b32_e32 v23, v23, v26, vcc
	v_cmp_class_f32_e32 vcc, v21, v35
	v_cndmask_b32_e32 v21, v23, v21, vcc
	v_mul_f32_e32 v23, v11, v21
	s_or_b64 exec, exec, s[60:61]
	v_cmp_class_f32_e64 s[28:29], v23, s6
	s_and_saveexec_b64 s[74:75], s[28:29]
	s_cbranch_execz .LBB37_35
.LBB37_40:                              ;   in Loop: Header=BB37_14 Depth=3
	s_and_saveexec_b64 s[0:1], s[26:27]
	s_xor_b64 s[80:81], exec, s[0:1]
	s_cbranch_execz .LBB37_65
; %bb.41:                               ;   in Loop: Header=BB37_14 Depth=3
	v_cmp_ge_i32_e32 vcc, v8, v14
	s_and_saveexec_b64 s[0:1], vcc
	s_xor_b64 s[60:61], exec, s[0:1]
	s_cbranch_execz .LBB37_49
; %bb.42:                               ;   in Loop: Header=BB37_14 Depth=3
	v_lshlrev_b64 v[26:27], 3, v[14:15]
	v_mov_b32_e32 v11, s67
	v_add_co_u32_e32 v28, vcc, s66, v26
	v_addc_co_u32_e32 v29, vcc, v11, v27, vcc
	s_andn2_b64 vcc, exec, s[34:35]
	global_store_dwordx2 v[28:29], v[24:25], off
	s_cbranch_vccnz .LBB37_48
; %bb.43:                               ;   in Loop: Header=BB37_14 Depth=3
	v_mov_b32_e32 v11, s65
	v_add_co_u32_e32 v26, vcc, s64, v26
	v_addc_co_u32_e32 v27, vcc, v11, v27, vcc
	global_load_dwordx2 v[26:27], v[26:27], off
                                        ; implicit-def: $vgpr23
	s_waitcnt vmcnt(0)
	v_sub_f32_e32 v11, v26, v24
	v_sub_f32_e32 v24, v27, v25
	v_cmp_gt_f32_e32 vcc, 0, v11
	v_cndmask_b32_e64 v11, v11, -v11, vcc
	v_cmp_gt_f32_e32 vcc, 0, v24
	v_cndmask_b32_e64 v21, v24, -v24, vcc
	v_cmp_ngt_f32_e32 vcc, v11, v21
	s_and_saveexec_b64 s[0:1], vcc
	s_xor_b64 s[62:63], exec, s[0:1]
	s_cbranch_execnz .LBB37_109
; %bb.44:                               ;   in Loop: Header=BB37_14 Depth=3
	s_andn2_saveexec_b64 s[62:63], s[62:63]
	s_cbranch_execnz .LBB37_112
.LBB37_45:                              ;   in Loop: Header=BB37_14 Depth=3
	s_or_b64 exec, exec, s[62:63]
	v_cmp_class_f32_e64 s[26:27], v23, s6
	s_and_saveexec_b64 s[0:1], s[26:27]
.LBB37_46:                              ;   in Loop: Header=BB37_14 Depth=3
	v_cmp_lt_f32_e32 vcc, v4, v23
	v_cndmask_b32_e32 v4, v4, v23, vcc
.LBB37_47:                              ;   in Loop: Header=BB37_14 Depth=3
	s_or_b64 exec, exec, s[0:1]
.LBB37_48:                              ;   in Loop: Header=BB37_14 Depth=3
                                        ; implicit-def: $vgpr24_vgpr25
.LBB37_49:                              ;   in Loop: Header=BB37_14 Depth=3
	s_andn2_saveexec_b64 s[60:61], s[60:61]
	s_cbranch_execz .LBB37_64
; %bb.50:                               ;   in Loop: Header=BB37_14 Depth=3
	v_cmp_lt_i32_e32 vcc, v22, v41
	s_and_saveexec_b64 s[62:63], vcc
	s_cbranch_execz .LBB37_63
; %bb.51:                               ;   in Loop: Header=BB37_14 Depth=3
	s_mov_b64 s[26:27], 0
	v_mov_b32_e32 v11, v22
                                        ; implicit-def: $sgpr78_sgpr79
                                        ; implicit-def: $sgpr70_sgpr71
                                        ; implicit-def: $sgpr86_sgpr87
	s_branch .LBB37_53
.LBB37_52:                              ;   in Loop: Header=BB37_53 Depth=4
	s_or_b64 exec, exec, s[0:1]
	s_and_b64 s[0:1], exec, s[70:71]
	s_or_b64 s[26:27], s[0:1], s[26:27]
	s_andn2_b64 s[0:1], s[78:79], exec
	s_and_b64 s[78:79], s[86:87], exec
	s_or_b64 s[78:79], s[0:1], s[78:79]
	s_andn2_b64 exec, exec, s[26:27]
	s_cbranch_execz .LBB37_55
.LBB37_53:                              ;   Parent Loop BB37_5 Depth=1
                                        ;     Parent Loop BB37_9 Depth=2
                                        ;       Parent Loop BB37_14 Depth=3
                                        ; =>      This Inner Loop Header: Depth=4
	v_add_u32_e32 v26, v20, v11
	v_ashrrev_i32_e32 v27, 31, v26
	v_lshlrev_b64 v[28:29], 2, v[26:27]
	v_mov_b32_e32 v21, s41
	v_add_co_u32_e32 v28, vcc, s40, v28
	v_addc_co_u32_e32 v29, vcc, v21, v29, vcc
	global_load_dword v21, v[28:29], off
	s_or_b64 s[86:87], s[86:87], exec
	s_or_b64 s[70:71], s[70:71], exec
	s_waitcnt vmcnt(0)
	v_subrev_u32_e32 v21, s5, v21
	v_cmp_ne_u32_e32 vcc, v21, v8
	s_and_saveexec_b64 s[0:1], vcc
	s_cbranch_execz .LBB37_52
; %bb.54:                               ;   in Loop: Header=BB37_53 Depth=4
	v_add_u32_e32 v11, 1, v11
	v_cmp_ge_i32_e32 vcc, v11, v41
	s_andn2_b64 s[70:71], s[70:71], exec
	s_and_b64 vcc, vcc, exec
	s_andn2_b64 s[86:87], s[86:87], exec
	s_or_b64 s[70:71], s[70:71], vcc
	s_branch .LBB37_52
.LBB37_55:                              ;   in Loop: Header=BB37_14 Depth=3
	s_or_b64 exec, exec, s[26:27]
	s_and_saveexec_b64 s[0:1], s[78:79]
	s_xor_b64 s[78:79], exec, s[0:1]
	s_cbranch_execz .LBB37_62
; %bb.56:                               ;   in Loop: Header=BB37_14 Depth=3
	v_lshlrev_b64 v[26:27], 3, v[26:27]
	v_mov_b32_e32 v11, s85
	v_add_co_u32_e32 v28, vcc, s84, v26
	v_addc_co_u32_e32 v29, vcc, v11, v27, vcc
	s_andn2_b64 vcc, exec, s[34:35]
	global_store_dwordx2 v[28:29], v[24:25], off
	s_cbranch_vccnz .LBB37_62
; %bb.57:                               ;   in Loop: Header=BB37_14 Depth=3
	v_mov_b32_e32 v11, s43
	v_add_co_u32_e32 v26, vcc, s42, v26
	v_addc_co_u32_e32 v27, vcc, v11, v27, vcc
	global_load_dwordx2 v[26:27], v[26:27], off
                                        ; implicit-def: $vgpr23
	s_waitcnt vmcnt(0)
	v_sub_f32_e32 v11, v26, v24
	v_sub_f32_e32 v24, v27, v25
	v_cmp_gt_f32_e32 vcc, 0, v11
	v_cndmask_b32_e64 v11, v11, -v11, vcc
	v_cmp_gt_f32_e32 vcc, 0, v24
	v_cndmask_b32_e64 v21, v24, -v24, vcc
	v_cmp_ngt_f32_e32 vcc, v11, v21
	s_and_saveexec_b64 s[0:1], vcc
	s_xor_b64 s[70:71], exec, s[0:1]
	s_cbranch_execnz .LBB37_117
; %bb.58:                               ;   in Loop: Header=BB37_14 Depth=3
	s_andn2_saveexec_b64 s[70:71], s[70:71]
	s_cbranch_execnz .LBB37_120
.LBB37_59:                              ;   in Loop: Header=BB37_14 Depth=3
	s_or_b64 exec, exec, s[70:71]
	v_cmp_class_f32_e64 s[26:27], v23, s6
	s_and_saveexec_b64 s[0:1], s[26:27]
.LBB37_60:                              ;   in Loop: Header=BB37_14 Depth=3
	v_cmp_lt_f32_e32 vcc, v4, v23
	v_cndmask_b32_e32 v4, v4, v23, vcc
.LBB37_61:                              ;   in Loop: Header=BB37_14 Depth=3
	s_or_b64 exec, exec, s[0:1]
.LBB37_62:                              ;   in Loop: Header=BB37_14 Depth=3
	s_or_b64 exec, exec, s[78:79]
.LBB37_63:                              ;   in Loop: Header=BB37_14 Depth=3
	s_or_b64 exec, exec, s[62:63]
.LBB37_64:                              ;   in Loop: Header=BB37_14 Depth=3
	s_or_b64 exec, exec, s[60:61]
                                        ; implicit-def: $vgpr24_vgpr25
.LBB37_65:                              ;   in Loop: Header=BB37_14 Depth=3
	s_andn2_saveexec_b64 s[80:81], s[80:81]
	s_cbranch_execz .LBB37_80
; %bb.66:                               ;   in Loop: Header=BB37_14 Depth=3
	v_cmp_lt_i32_e32 vcc, v6, v37
	s_and_saveexec_b64 s[60:61], vcc
	s_cbranch_execz .LBB37_79
; %bb.67:                               ;   in Loop: Header=BB37_14 Depth=3
	s_mov_b64 s[26:27], 0
	v_mov_b32_e32 v11, v6
                                        ; implicit-def: $sgpr62_sgpr63
                                        ; implicit-def: $sgpr70_sgpr71
                                        ; implicit-def: $sgpr78_sgpr79
	s_branch .LBB37_69
.LBB37_68:                              ;   in Loop: Header=BB37_69 Depth=4
	s_or_b64 exec, exec, s[86:87]
	s_and_b64 s[0:1], exec, s[70:71]
	s_or_b64 s[26:27], s[0:1], s[26:27]
	s_andn2_b64 s[0:1], s[62:63], exec
	s_and_b64 s[62:63], s[78:79], exec
	s_or_b64 s[62:63], s[0:1], s[62:63]
	s_andn2_b64 exec, exec, s[26:27]
	s_cbranch_execz .LBB37_71
.LBB37_69:                              ;   Parent Loop BB37_5 Depth=1
                                        ;     Parent Loop BB37_9 Depth=2
                                        ;       Parent Loop BB37_14 Depth=3
                                        ; =>      This Inner Loop Header: Depth=4
	v_add_u32_e32 v26, v12, v11
	v_ashrrev_i32_e32 v27, 31, v26
	v_lshlrev_b64 v[28:29], 2, v[26:27]
	v_mov_b32_e32 v21, s49
	v_add_co_u32_e32 v28, vcc, s48, v28
	v_addc_co_u32_e32 v29, vcc, v21, v29, vcc
	global_load_dword v21, v[28:29], off
	s_or_b64 s[78:79], s[78:79], exec
	s_or_b64 s[70:71], s[70:71], exec
	s_waitcnt vmcnt(0)
	v_subrev_u32_e32 v21, s10, v21
	v_cmp_ne_u32_e32 vcc, v21, v14
	s_and_saveexec_b64 s[86:87], vcc
	s_cbranch_execz .LBB37_68
; %bb.70:                               ;   in Loop: Header=BB37_69 Depth=4
	v_add_u32_e32 v11, 1, v11
	v_cmp_ge_i32_e32 vcc, v11, v37
	s_andn2_b64 s[0:1], s[70:71], exec
	s_and_b64 s[70:71], vcc, exec
	s_andn2_b64 s[78:79], s[78:79], exec
	s_or_b64 s[70:71], s[0:1], s[70:71]
	s_branch .LBB37_68
.LBB37_71:                              ;   in Loop: Header=BB37_14 Depth=3
	s_or_b64 exec, exec, s[26:27]
	s_and_saveexec_b64 s[0:1], s[62:63]
	s_xor_b64 s[62:63], exec, s[0:1]
	s_cbranch_execz .LBB37_78
; %bb.72:                               ;   in Loop: Header=BB37_14 Depth=3
	v_lshlrev_b64 v[26:27], 3, v[26:27]
	v_mov_b32_e32 v11, s83
	v_add_co_u32_e32 v28, vcc, s82, v26
	v_addc_co_u32_e32 v29, vcc, v11, v27, vcc
	s_andn2_b64 vcc, exec, s[34:35]
	global_store_dwordx2 v[28:29], v[24:25], off
	s_cbranch_vccnz .LBB37_78
; %bb.73:                               ;   in Loop: Header=BB37_14 Depth=3
	v_mov_b32_e32 v11, s51
	v_add_co_u32_e32 v26, vcc, s50, v26
	v_addc_co_u32_e32 v27, vcc, v11, v27, vcc
	global_load_dwordx2 v[26:27], v[26:27], off
                                        ; implicit-def: $vgpr23
	s_waitcnt vmcnt(0)
	v_sub_f32_e32 v11, v26, v24
	v_sub_f32_e32 v24, v27, v25
	v_cmp_gt_f32_e32 vcc, 0, v11
	v_cndmask_b32_e64 v11, v11, -v11, vcc
	v_cmp_gt_f32_e32 vcc, 0, v24
	v_cndmask_b32_e64 v21, v24, -v24, vcc
	v_cmp_ngt_f32_e32 vcc, v11, v21
	s_and_saveexec_b64 s[0:1], vcc
	s_xor_b64 s[70:71], exec, s[0:1]
	s_cbranch_execnz .LBB37_113
; %bb.74:                               ;   in Loop: Header=BB37_14 Depth=3
	s_andn2_saveexec_b64 s[70:71], s[70:71]
	s_cbranch_execnz .LBB37_116
.LBB37_75:                              ;   in Loop: Header=BB37_14 Depth=3
	s_or_b64 exec, exec, s[70:71]
	v_cmp_class_f32_e64 s[26:27], v23, s6
	s_and_saveexec_b64 s[0:1], s[26:27]
.LBB37_76:                              ;   in Loop: Header=BB37_14 Depth=3
	v_cmp_lt_f32_e32 vcc, v4, v23
	v_cndmask_b32_e32 v4, v4, v23, vcc
.LBB37_77:                              ;   in Loop: Header=BB37_14 Depth=3
	s_or_b64 exec, exec, s[0:1]
.LBB37_78:                              ;   in Loop: Header=BB37_14 Depth=3
	s_or_b64 exec, exec, s[62:63]
.LBB37_79:                              ;   in Loop: Header=BB37_14 Depth=3
	s_or_b64 exec, exec, s[60:61]
.LBB37_80:                              ;   in Loop: Header=BB37_14 Depth=3
	s_or_b64 exec, exec, s[80:81]
	s_or_b64 exec, exec, s[74:75]
	s_and_b64 s[0:1], s[28:29], s[30:31]
	s_and_saveexec_b64 s[28:29], s[0:1]
	s_cbranch_execz .LBB37_13
.LBB37_81:                              ;   in Loop: Header=BB37_14 Depth=3
	v_cmp_ge_i32_e32 vcc, v22, v41
	s_and_saveexec_b64 s[0:1], vcc
	s_xor_b64 s[26:27], exec, s[0:1]
	s_cbranch_execnz .LBB37_88
; %bb.82:                               ;   in Loop: Header=BB37_14 Depth=3
	s_andn2_saveexec_b64 s[26:27], s[26:27]
	s_cbranch_execnz .LBB37_102
.LBB37_83:                              ;   in Loop: Header=BB37_14 Depth=3
	s_or_b64 exec, exec, s[26:27]
	v_cmp_eq_u32_e32 vcc, v8, v14
	s_and_saveexec_b64 s[0:1], vcc
	s_cbranch_execz .LBB37_85
.LBB37_84:                              ;   in Loop: Header=BB37_14 Depth=3
	v_lshlrev_b64 v[14:15], 3, v[14:15]
	v_mov_b32_e32 v6, s65
	v_add_co_u32_e32 v14, vcc, s64, v14
	v_addc_co_u32_e32 v15, vcc, v6, v15, vcc
	global_load_dwordx2 v[14:15], v[14:15], off
	s_waitcnt vmcnt(0)
	v_pk_add_f32 v[16:17], v[16:17], v[14:15]
.LBB37_85:                              ;   in Loop: Header=BB37_14 Depth=3
	s_or_b64 exec, exec, s[0:1]
	v_pk_add_f32 v[14:15], v[18:19], v[16:17] neg_lo:[0,1] neg_hi:[0,1]
	v_cmp_gt_f32_e32 vcc, 0, v14
	v_cndmask_b32_e64 v6, v14, -v14, vcc
	v_cmp_gt_f32_e32 vcc, 0, v15
	v_cndmask_b32_e64 v11, v15, -v15, vcc
	v_cmp_ngt_f32_e32 vcc, v6, v11
                                        ; implicit-def: $vgpr14
	s_and_saveexec_b64 s[0:1], vcc
	s_xor_b64 s[60:61], exec, s[0:1]
	s_cbranch_execnz .LBB37_93
; %bb.86:                               ;   in Loop: Header=BB37_14 Depth=3
	s_andn2_saveexec_b64 s[60:61], s[60:61]
	s_cbranch_execnz .LBB37_96
.LBB37_87:                              ;   in Loop: Header=BB37_14 Depth=3
	s_or_b64 exec, exec, s[60:61]
	v_cmp_class_f32_e64 s[26:27], v14, s6
	s_and_saveexec_b64 s[0:1], s[26:27]
	s_cbranch_execz .LBB37_12
	s_branch .LBB37_97
.LBB37_88:                              ;   in Loop: Header=BB37_14 Depth=3
	v_cmp_lt_i32_e32 vcc, v6, v37
	s_and_saveexec_b64 s[60:61], vcc
	s_cbranch_execz .LBB37_101
; %bb.89:                               ;   in Loop: Header=BB37_14 Depth=3
	s_mov_b64 s[62:63], 0
                                        ; implicit-def: $sgpr74_sgpr75
                                        ; implicit-def: $sgpr70_sgpr71
                                        ; implicit-def: $sgpr78_sgpr79
	s_branch .LBB37_91
.LBB37_90:                              ;   in Loop: Header=BB37_91 Depth=4
	s_or_b64 exec, exec, s[0:1]
	s_and_b64 s[0:1], exec, s[70:71]
	s_or_b64 s[62:63], s[0:1], s[62:63]
	s_andn2_b64 s[0:1], s[74:75], exec
	s_and_b64 s[74:75], s[78:79], exec
	s_or_b64 s[74:75], s[0:1], s[74:75]
	s_andn2_b64 exec, exec, s[62:63]
	s_cbranch_execz .LBB37_98
.LBB37_91:                              ;   Parent Loop BB37_5 Depth=1
                                        ;     Parent Loop BB37_9 Depth=2
                                        ;       Parent Loop BB37_14 Depth=3
                                        ; =>      This Inner Loop Header: Depth=4
	v_add_u32_e32 v20, v12, v6
	v_ashrrev_i32_e32 v21, 31, v20
	v_lshlrev_b64 v[22:23], 2, v[20:21]
	v_mov_b32_e32 v11, s49
	v_add_co_u32_e32 v22, vcc, s48, v22
	v_addc_co_u32_e32 v23, vcc, v11, v23, vcc
	global_load_dword v11, v[22:23], off
	s_or_b64 s[78:79], s[78:79], exec
	s_or_b64 s[70:71], s[70:71], exec
	s_waitcnt vmcnt(0)
	v_subrev_u32_e32 v11, s10, v11
	v_cmp_ne_u32_e32 vcc, v11, v14
	s_and_saveexec_b64 s[0:1], vcc
	s_cbranch_execz .LBB37_90
; %bb.92:                               ;   in Loop: Header=BB37_91 Depth=4
	v_add_u32_e32 v6, 1, v6
	v_cmp_ge_i32_e32 vcc, v6, v37
	s_andn2_b64 s[70:71], s[70:71], exec
	s_and_b64 s[80:81], vcc, exec
	s_andn2_b64 s[78:79], s[78:79], exec
	s_or_b64 s[70:71], s[70:71], s[80:81]
	s_branch .LBB37_90
.LBB37_93:                              ;   in Loop: Header=BB37_14 Depth=3
	v_cmp_neq_f32_e32 vcc, 0, v15
	v_mov_b32_e32 v14, 0
	s_and_saveexec_b64 s[62:63], vcc
	s_cbranch_execz .LBB37_95
; %bb.94:                               ;   in Loop: Header=BB37_14 Depth=3
	v_div_scale_f32 v14, s[0:1], v11, v11, v6
	v_rcp_f32_e32 v15, v14
	v_div_scale_f32 v16, vcc, v6, v11, v6
	v_fma_f32 v17, -v14, v15, 1.0
	v_fmac_f32_e32 v15, v17, v15
	v_mul_f32_e32 v17, v16, v15
	v_fma_f32 v18, -v14, v17, v16
	v_fmac_f32_e32 v17, v18, v15
	v_fma_f32 v14, -v14, v17, v16
	v_div_fmas_f32 v14, v14, v15, v17
	v_div_fixup_f32 v6, v14, v11, v6
	v_fma_f32 v6, v6, v6, 1.0
	v_mul_f32_e32 v14, 0x4f800000, v6
	v_cmp_gt_f32_e32 vcc, s3, v6
	v_cndmask_b32_e32 v6, v6, v14, vcc
	v_sqrt_f32_e32 v14, v6
	v_add_u32_e32 v15, -1, v14
	v_fma_f32 v17, -v15, v14, v6
	v_add_u32_e32 v16, 1, v14
	v_cmp_ge_f32_e64 s[26:27], 0, v17
	v_cndmask_b32_e64 v15, v14, v15, s[26:27]
	v_fma_f32 v14, -v16, v14, v6
	v_cmp_lt_f32_e64 s[26:27], 0, v14
	v_cndmask_b32_e64 v14, v15, v16, s[26:27]
	v_mul_f32_e32 v15, 0x37800000, v14
	v_cndmask_b32_e32 v14, v14, v15, vcc
	v_cmp_class_f32_e32 vcc, v6, v35
	v_cndmask_b32_e32 v6, v14, v6, vcc
	v_mul_f32_e32 v14, v11, v6
.LBB37_95:                              ;   in Loop: Header=BB37_14 Depth=3
	s_or_b64 exec, exec, s[62:63]
                                        ; implicit-def: $vgpr6
                                        ; implicit-def: $vgpr11
	s_andn2_saveexec_b64 s[60:61], s[60:61]
	s_cbranch_execz .LBB37_87
.LBB37_96:                              ;   in Loop: Header=BB37_14 Depth=3
	v_div_scale_f32 v14, s[0:1], v6, v6, v11
	v_rcp_f32_e32 v15, v14
	v_div_scale_f32 v16, vcc, v11, v6, v11
	v_fma_f32 v17, -v14, v15, 1.0
	v_fmac_f32_e32 v15, v17, v15
	v_mul_f32_e32 v17, v16, v15
	v_fma_f32 v18, -v14, v17, v16
	v_fmac_f32_e32 v17, v18, v15
	v_fma_f32 v14, -v14, v17, v16
	v_div_fmas_f32 v14, v14, v15, v17
	v_div_fixup_f32 v11, v14, v6, v11
	v_fma_f32 v11, v11, v11, 1.0
	v_mul_f32_e32 v14, 0x4f800000, v11
	v_cmp_gt_f32_e32 vcc, s3, v11
	v_cndmask_b32_e32 v11, v11, v14, vcc
	v_sqrt_f32_e32 v14, v11
	v_add_u32_e32 v15, -1, v14
	v_fma_f32 v17, -v15, v14, v11
	v_add_u32_e32 v16, 1, v14
	v_cmp_ge_f32_e64 s[26:27], 0, v17
	v_cndmask_b32_e64 v15, v14, v15, s[26:27]
	v_fma_f32 v14, -v16, v14, v11
	v_cmp_lt_f32_e64 s[26:27], 0, v14
	v_cndmask_b32_e64 v14, v15, v16, s[26:27]
	v_mul_f32_e32 v15, 0x37800000, v14
	v_cndmask_b32_e32 v14, v14, v15, vcc
	v_cmp_class_f32_e32 vcc, v11, v35
	v_cndmask_b32_e32 v11, v14, v11, vcc
	v_mul_f32_e32 v14, v6, v11
	s_or_b64 exec, exec, s[60:61]
	v_cmp_class_f32_e64 s[26:27], v14, s6
	s_and_saveexec_b64 s[0:1], s[26:27]
	s_cbranch_execz .LBB37_12
.LBB37_97:                              ;   in Loop: Header=BB37_14 Depth=3
	v_cmp_lt_f32_e32 vcc, v2, v14
	v_cndmask_b32_e32 v2, v2, v14, vcc
	s_branch .LBB37_12
.LBB37_98:                              ;   in Loop: Header=BB37_14 Depth=3
	s_or_b64 exec, exec, s[62:63]
	s_and_saveexec_b64 s[0:1], s[74:75]
	s_xor_b64 s[62:63], exec, s[0:1]
	s_cbranch_execz .LBB37_100
; %bb.99:                               ;   in Loop: Header=BB37_14 Depth=3
	v_lshlrev_b64 v[20:21], 3, v[20:21]
	v_mov_b32_e32 v6, s51
	v_add_co_u32_e32 v20, vcc, s50, v20
	v_addc_co_u32_e32 v21, vcc, v6, v21, vcc
	v_lshlrev_b64 v[22:23], 3, v[14:15]
	v_mov_b32_e32 v6, s65
	v_add_co_u32_e32 v22, vcc, s64, v22
	v_addc_co_u32_e32 v23, vcc, v6, v23, vcc
	global_load_dwordx2 v[20:21], v[20:21], off
	s_nop 0
	global_load_dwordx2 v[22:23], v[22:23], off
	s_waitcnt vmcnt(0)
	v_pk_mul_f32 v[24:25], v[22:23], v[20:21] op_sel:[1,1] op_sel_hi:[1,0] neg_lo:[0,1]
	v_pk_fma_f32 v[20:21], v[20:21], v[22:23], v[24:25] op_sel_hi:[1,0,1]
	v_pk_add_f32 v[16:17], v[16:17], v[20:21]
.LBB37_100:                             ;   in Loop: Header=BB37_14 Depth=3
	s_or_b64 exec, exec, s[62:63]
.LBB37_101:                             ;   in Loop: Header=BB37_14 Depth=3
	s_or_b64 exec, exec, s[60:61]
                                        ; implicit-def: $vgpr22
                                        ; implicit-def: $vgpr20
                                        ; implicit-def: $vgpr41
	s_andn2_saveexec_b64 s[26:27], s[26:27]
	s_cbranch_execz .LBB37_83
.LBB37_102:                             ;   in Loop: Header=BB37_14 Depth=3
	s_mov_b64 s[60:61], 0
                                        ; implicit-def: $sgpr62_sgpr63
                                        ; implicit-def: $sgpr70_sgpr71
                                        ; implicit-def: $sgpr74_sgpr75
	s_branch .LBB37_104
.LBB37_103:                             ;   in Loop: Header=BB37_104 Depth=4
	s_or_b64 exec, exec, s[0:1]
	s_and_b64 s[0:1], exec, s[70:71]
	s_or_b64 s[60:61], s[0:1], s[60:61]
	s_andn2_b64 s[0:1], s[62:63], exec
	s_and_b64 s[62:63], s[74:75], exec
	s_or_b64 s[62:63], s[0:1], s[62:63]
	s_andn2_b64 exec, exec, s[60:61]
	s_cbranch_execz .LBB37_106
.LBB37_104:                             ;   Parent Loop BB37_5 Depth=1
                                        ;     Parent Loop BB37_9 Depth=2
                                        ;       Parent Loop BB37_14 Depth=3
                                        ; =>      This Inner Loop Header: Depth=4
	v_add_u32_e32 v24, v20, v22
	v_ashrrev_i32_e32 v25, 31, v24
	v_lshlrev_b64 v[26:27], 2, v[24:25]
	v_mov_b32_e32 v6, s41
	v_add_co_u32_e32 v26, vcc, s40, v26
	v_addc_co_u32_e32 v27, vcc, v6, v27, vcc
	global_load_dword v6, v[26:27], off
	s_or_b64 s[74:75], s[74:75], exec
	s_or_b64 s[70:71], s[70:71], exec
	s_waitcnt vmcnt(0)
	v_subrev_u32_e32 v6, s5, v6
	v_cmp_ne_u32_e32 vcc, v6, v8
	s_and_saveexec_b64 s[0:1], vcc
	s_cbranch_execz .LBB37_103
; %bb.105:                              ;   in Loop: Header=BB37_104 Depth=4
	v_add_u32_e32 v22, 1, v22
	v_cmp_ge_i32_e32 vcc, v22, v41
	s_andn2_b64 s[70:71], s[70:71], exec
	s_and_b64 s[78:79], vcc, exec
	s_andn2_b64 s[74:75], s[74:75], exec
	s_or_b64 s[70:71], s[70:71], s[78:79]
	s_branch .LBB37_103
.LBB37_106:                             ;   in Loop: Header=BB37_14 Depth=3
	s_or_b64 exec, exec, s[60:61]
	s_and_saveexec_b64 s[0:1], s[62:63]
	s_xor_b64 s[0:1], exec, s[0:1]
	s_cbranch_execz .LBB37_108
; %bb.107:                              ;   in Loop: Header=BB37_14 Depth=3
	v_lshlrev_b64 v[20:21], 3, v[24:25]
	v_mov_b32_e32 v6, s43
	v_add_co_u32_e32 v20, vcc, s42, v20
	v_addc_co_u32_e32 v21, vcc, v6, v21, vcc
	global_load_dwordx2 v[20:21], v[20:21], off
	s_waitcnt vmcnt(0)
	v_pk_add_f32 v[16:17], v[16:17], v[20:21]
.LBB37_108:                             ;   in Loop: Header=BB37_14 Depth=3
	s_or_b64 exec, exec, s[0:1]
	s_or_b64 exec, exec, s[26:27]
	v_cmp_eq_u32_e32 vcc, v8, v14
	s_and_saveexec_b64 s[0:1], vcc
	s_cbranch_execnz .LBB37_84
	s_branch .LBB37_85
.LBB37_109:                             ;   in Loop: Header=BB37_14 Depth=3
	v_cmp_neq_f32_e32 vcc, 0, v24
	v_mov_b32_e32 v23, 0
	s_and_saveexec_b64 s[70:71], vcc
	s_cbranch_execz .LBB37_111
; %bb.110:                              ;   in Loop: Header=BB37_14 Depth=3
	v_div_scale_f32 v23, s[0:1], v21, v21, v11
	v_rcp_f32_e32 v24, v23
	v_div_scale_f32 v25, vcc, v11, v21, v11
	v_fma_f32 v26, -v23, v24, 1.0
	v_fmac_f32_e32 v24, v26, v24
	v_mul_f32_e32 v26, v25, v24
	v_fma_f32 v27, -v23, v26, v25
	v_fmac_f32_e32 v26, v27, v24
	v_fma_f32 v23, -v23, v26, v25
	v_div_fmas_f32 v23, v23, v24, v26
	v_div_fixup_f32 v11, v23, v21, v11
	v_fma_f32 v11, v11, v11, 1.0
	v_mul_f32_e32 v23, 0x4f800000, v11
	v_cmp_gt_f32_e32 vcc, s3, v11
	v_cndmask_b32_e32 v11, v11, v23, vcc
	v_sqrt_f32_e32 v23, v11
	v_add_u32_e32 v24, -1, v23
	v_fma_f32 v26, -v24, v23, v11
	v_add_u32_e32 v25, 1, v23
	v_cmp_ge_f32_e64 s[26:27], 0, v26
	v_cndmask_b32_e64 v24, v23, v24, s[26:27]
	v_fma_f32 v23, -v25, v23, v11
	v_cmp_lt_f32_e64 s[26:27], 0, v23
	v_cndmask_b32_e64 v23, v24, v25, s[26:27]
	v_mul_f32_e32 v24, 0x37800000, v23
	v_cndmask_b32_e32 v23, v23, v24, vcc
	v_cmp_class_f32_e32 vcc, v11, v35
	v_cndmask_b32_e32 v11, v23, v11, vcc
	v_mul_f32_e32 v23, v21, v11
.LBB37_111:                             ;   in Loop: Header=BB37_14 Depth=3
	s_or_b64 exec, exec, s[70:71]
                                        ; implicit-def: $vgpr11
                                        ; implicit-def: $vgpr21
	s_andn2_saveexec_b64 s[62:63], s[62:63]
	s_cbranch_execz .LBB37_45
.LBB37_112:                             ;   in Loop: Header=BB37_14 Depth=3
	v_div_scale_f32 v23, s[0:1], v11, v11, v21
	v_rcp_f32_e32 v24, v23
	v_div_scale_f32 v25, vcc, v21, v11, v21
	v_fma_f32 v26, -v23, v24, 1.0
	v_fmac_f32_e32 v24, v26, v24
	v_mul_f32_e32 v26, v25, v24
	v_fma_f32 v27, -v23, v26, v25
	v_fmac_f32_e32 v26, v27, v24
	v_fma_f32 v23, -v23, v26, v25
	v_div_fmas_f32 v23, v23, v24, v26
	v_div_fixup_f32 v21, v23, v11, v21
	v_fma_f32 v21, v21, v21, 1.0
	v_mul_f32_e32 v23, 0x4f800000, v21
	v_cmp_gt_f32_e32 vcc, s3, v21
	v_cndmask_b32_e32 v21, v21, v23, vcc
	v_sqrt_f32_e32 v23, v21
	v_add_u32_e32 v24, -1, v23
	v_fma_f32 v26, -v24, v23, v21
	v_add_u32_e32 v25, 1, v23
	v_cmp_ge_f32_e64 s[26:27], 0, v26
	v_cndmask_b32_e64 v24, v23, v24, s[26:27]
	v_fma_f32 v23, -v25, v23, v21
	v_cmp_lt_f32_e64 s[26:27], 0, v23
	v_cndmask_b32_e64 v23, v24, v25, s[26:27]
	v_mul_f32_e32 v24, 0x37800000, v23
	v_cndmask_b32_e32 v23, v23, v24, vcc
	v_cmp_class_f32_e32 vcc, v21, v35
	v_cndmask_b32_e32 v21, v23, v21, vcc
	v_mul_f32_e32 v23, v11, v21
	s_or_b64 exec, exec, s[62:63]
	v_cmp_class_f32_e64 s[26:27], v23, s6
	s_and_saveexec_b64 s[0:1], s[26:27]
	s_cbranch_execnz .LBB37_46
	s_branch .LBB37_47
.LBB37_113:                             ;   in Loop: Header=BB37_14 Depth=3
	v_cmp_neq_f32_e32 vcc, 0, v24
	v_mov_b32_e32 v23, 0
	s_and_saveexec_b64 s[78:79], vcc
	s_cbranch_execz .LBB37_115
; %bb.114:                              ;   in Loop: Header=BB37_14 Depth=3
	v_div_scale_f32 v23, s[0:1], v21, v21, v11
	v_rcp_f32_e32 v24, v23
	v_div_scale_f32 v25, vcc, v11, v21, v11
	v_fma_f32 v26, -v23, v24, 1.0
	v_fmac_f32_e32 v24, v26, v24
	v_mul_f32_e32 v26, v25, v24
	v_fma_f32 v27, -v23, v26, v25
	v_fmac_f32_e32 v26, v27, v24
	v_fma_f32 v23, -v23, v26, v25
	v_div_fmas_f32 v23, v23, v24, v26
	v_div_fixup_f32 v11, v23, v21, v11
	v_fma_f32 v11, v11, v11, 1.0
	v_mul_f32_e32 v23, 0x4f800000, v11
	v_cmp_gt_f32_e32 vcc, s3, v11
	v_cndmask_b32_e32 v11, v11, v23, vcc
	v_sqrt_f32_e32 v23, v11
	v_add_u32_e32 v24, -1, v23
	v_fma_f32 v26, -v24, v23, v11
	v_add_u32_e32 v25, 1, v23
	v_cmp_ge_f32_e64 s[26:27], 0, v26
	v_cndmask_b32_e64 v24, v23, v24, s[26:27]
	v_fma_f32 v23, -v25, v23, v11
	v_cmp_lt_f32_e64 s[26:27], 0, v23
	v_cndmask_b32_e64 v23, v24, v25, s[26:27]
	v_mul_f32_e32 v24, 0x37800000, v23
	v_cndmask_b32_e32 v23, v23, v24, vcc
	v_cmp_class_f32_e32 vcc, v11, v35
	v_cndmask_b32_e32 v11, v23, v11, vcc
	v_mul_f32_e32 v23, v21, v11
.LBB37_115:                             ;   in Loop: Header=BB37_14 Depth=3
	s_or_b64 exec, exec, s[78:79]
                                        ; implicit-def: $vgpr11
                                        ; implicit-def: $vgpr21
	s_andn2_saveexec_b64 s[70:71], s[70:71]
	s_cbranch_execz .LBB37_75
.LBB37_116:                             ;   in Loop: Header=BB37_14 Depth=3
	v_div_scale_f32 v23, s[0:1], v11, v11, v21
	v_rcp_f32_e32 v24, v23
	v_div_scale_f32 v25, vcc, v21, v11, v21
	v_fma_f32 v26, -v23, v24, 1.0
	v_fmac_f32_e32 v24, v26, v24
	v_mul_f32_e32 v26, v25, v24
	v_fma_f32 v27, -v23, v26, v25
	v_fmac_f32_e32 v26, v27, v24
	v_fma_f32 v23, -v23, v26, v25
	v_div_fmas_f32 v23, v23, v24, v26
	v_div_fixup_f32 v21, v23, v11, v21
	v_fma_f32 v21, v21, v21, 1.0
	v_mul_f32_e32 v23, 0x4f800000, v21
	v_cmp_gt_f32_e32 vcc, s3, v21
	v_cndmask_b32_e32 v21, v21, v23, vcc
	v_sqrt_f32_e32 v23, v21
	v_add_u32_e32 v24, -1, v23
	v_fma_f32 v26, -v24, v23, v21
	v_add_u32_e32 v25, 1, v23
	v_cmp_ge_f32_e64 s[26:27], 0, v26
	v_cndmask_b32_e64 v24, v23, v24, s[26:27]
	v_fma_f32 v23, -v25, v23, v21
	v_cmp_lt_f32_e64 s[26:27], 0, v23
	v_cndmask_b32_e64 v23, v24, v25, s[26:27]
	v_mul_f32_e32 v24, 0x37800000, v23
	v_cndmask_b32_e32 v23, v23, v24, vcc
	v_cmp_class_f32_e32 vcc, v21, v35
	v_cndmask_b32_e32 v21, v23, v21, vcc
	v_mul_f32_e32 v23, v11, v21
	s_or_b64 exec, exec, s[70:71]
	v_cmp_class_f32_e64 s[26:27], v23, s6
	s_and_saveexec_b64 s[0:1], s[26:27]
	s_cbranch_execnz .LBB37_76
	s_branch .LBB37_77
.LBB37_117:                             ;   in Loop: Header=BB37_14 Depth=3
	v_cmp_neq_f32_e32 vcc, 0, v24
	v_mov_b32_e32 v23, 0
	s_and_saveexec_b64 s[86:87], vcc
	s_cbranch_execz .LBB37_119
; %bb.118:                              ;   in Loop: Header=BB37_14 Depth=3
	v_div_scale_f32 v23, s[0:1], v21, v21, v11
	v_rcp_f32_e32 v24, v23
	v_div_scale_f32 v25, vcc, v11, v21, v11
	v_fma_f32 v26, -v23, v24, 1.0
	v_fmac_f32_e32 v24, v26, v24
	v_mul_f32_e32 v26, v25, v24
	v_fma_f32 v27, -v23, v26, v25
	v_fmac_f32_e32 v26, v27, v24
	v_fma_f32 v23, -v23, v26, v25
	v_div_fmas_f32 v23, v23, v24, v26
	v_div_fixup_f32 v11, v23, v21, v11
	v_fma_f32 v11, v11, v11, 1.0
	v_mul_f32_e32 v23, 0x4f800000, v11
	v_cmp_gt_f32_e32 vcc, s3, v11
	v_cndmask_b32_e32 v11, v11, v23, vcc
	v_sqrt_f32_e32 v23, v11
	v_add_u32_e32 v24, -1, v23
	v_fma_f32 v26, -v24, v23, v11
	v_add_u32_e32 v25, 1, v23
	v_cmp_ge_f32_e64 s[26:27], 0, v26
	v_cndmask_b32_e64 v24, v23, v24, s[26:27]
	v_fma_f32 v23, -v25, v23, v11
	v_cmp_lt_f32_e64 s[26:27], 0, v23
	v_cndmask_b32_e64 v23, v24, v25, s[26:27]
	v_mul_f32_e32 v24, 0x37800000, v23
	v_cndmask_b32_e32 v23, v23, v24, vcc
	v_cmp_class_f32_e32 vcc, v11, v35
	v_cndmask_b32_e32 v11, v23, v11, vcc
	v_mul_f32_e32 v23, v21, v11
.LBB37_119:                             ;   in Loop: Header=BB37_14 Depth=3
	s_or_b64 exec, exec, s[86:87]
                                        ; implicit-def: $vgpr11
                                        ; implicit-def: $vgpr21
	s_andn2_saveexec_b64 s[70:71], s[70:71]
	s_cbranch_execz .LBB37_59
.LBB37_120:                             ;   in Loop: Header=BB37_14 Depth=3
	v_div_scale_f32 v23, s[0:1], v11, v11, v21
	v_rcp_f32_e32 v24, v23
	v_div_scale_f32 v25, vcc, v21, v11, v21
	v_fma_f32 v26, -v23, v24, 1.0
	v_fmac_f32_e32 v24, v26, v24
	v_mul_f32_e32 v26, v25, v24
	v_fma_f32 v27, -v23, v26, v25
	v_fmac_f32_e32 v26, v27, v24
	v_fma_f32 v23, -v23, v26, v25
	v_div_fmas_f32 v23, v23, v24, v26
	v_div_fixup_f32 v21, v23, v11, v21
	v_fma_f32 v21, v21, v21, 1.0
	v_mul_f32_e32 v23, 0x4f800000, v21
	v_cmp_gt_f32_e32 vcc, s3, v21
	v_cndmask_b32_e32 v21, v21, v23, vcc
	v_sqrt_f32_e32 v23, v21
	v_add_u32_e32 v24, -1, v23
	v_fma_f32 v26, -v24, v23, v21
	v_add_u32_e32 v25, 1, v23
	v_cmp_ge_f32_e64 s[26:27], 0, v26
	v_cndmask_b32_e64 v24, v23, v24, s[26:27]
	v_fma_f32 v23, -v25, v23, v21
	v_cmp_lt_f32_e64 s[26:27], 0, v23
	v_cndmask_b32_e64 v23, v24, v25, s[26:27]
	v_mul_f32_e32 v24, 0x37800000, v23
	v_cndmask_b32_e32 v23, v23, v24, vcc
	v_cmp_class_f32_e32 vcc, v21, v35
	v_cndmask_b32_e32 v21, v23, v21, vcc
	v_mul_f32_e32 v23, v11, v21
	s_or_b64 exec, exec, s[70:71]
	v_cmp_class_f32_e64 s[26:27], v23, s6
	s_and_saveexec_b64 s[0:1], s[26:27]
	s_cbranch_execnz .LBB37_60
	s_branch .LBB37_61
.LBB37_121:                             ;   in Loop: Header=BB37_5 Depth=1
	s_and_b64 vcc, exec, s[34:35]
	s_cbranch_vccz .LBB37_141
; %bb.122:                              ;   in Loop: Header=BB37_5 Depth=1
	v_mov_b32_dpp v6, v4 row_shr:1 row_mask:0xf bank_mask:0xf
	v_cmp_lt_f32_e32 vcc, v4, v6
	v_cndmask_b32_e32 v4, v4, v6, vcc
	s_nop 1
	v_mov_b32_dpp v6, v4 row_shr:2 row_mask:0xf bank_mask:0xf
	s_mov_b64 s[0:1], exec
	v_readlane_b32 s8, v44, 10
	v_readlane_b32 s9, v44, 11
	s_and_b64 s[8:9], s[0:1], s[8:9]
	s_mov_b64 exec, s[8:9]
	s_cbranch_execz .LBB37_124
; %bb.123:                              ;   in Loop: Header=BB37_5 Depth=1
	v_cmp_lt_f32_e32 vcc, v4, v6
	v_cndmask_b32_e32 v4, v4, v6, vcc
	ds_write_b32 v32, v4
.LBB37_124:                             ;   in Loop: Header=BB37_5 Depth=1
	s_or_b64 exec, exec, s[0:1]
	s_waitcnt lgkmcnt(0)
	s_barrier
	s_mov_b64 s[0:1], exec
	v_readlane_b32 s8, v44, 12
	v_readlane_b32 s9, v44, 13
	s_and_b64 s[8:9], s[0:1], s[8:9]
	s_mov_b64 exec, s[8:9]
	s_cbranch_execz .LBB37_126
; %bb.125:                              ;   in Loop: Header=BB37_5 Depth=1
	ds_read2st64_b32 v[8:9], v1 offset1:2
	s_waitcnt lgkmcnt(0)
	v_cmp_lt_f32_e32 vcc, v8, v9
	v_cndmask_b32_e32 v4, v8, v9, vcc
	ds_write_b32 v1, v4
.LBB37_126:                             ;   in Loop: Header=BB37_5 Depth=1
	s_or_b64 exec, exec, s[0:1]
	s_waitcnt lgkmcnt(0)
	s_barrier
	s_mov_b64 s[0:1], exec
	v_readlane_b32 s8, v44, 14
	v_readlane_b32 s9, v44, 15
	s_and_b64 s[8:9], s[0:1], s[8:9]
	s_mov_b64 exec, s[8:9]
	s_cbranch_execz .LBB37_128
; %bb.127:                              ;   in Loop: Header=BB37_5 Depth=1
	ds_read2st64_b32 v[8:9], v1 offset1:1
	s_waitcnt lgkmcnt(0)
	v_cmp_lt_f32_e32 vcc, v8, v9
	v_cndmask_b32_e32 v4, v8, v9, vcc
	ds_write_b32 v1, v4
.LBB37_128:                             ;   in Loop: Header=BB37_5 Depth=1
	s_or_b64 exec, exec, s[0:1]
	s_waitcnt lgkmcnt(0)
	s_barrier
	s_mov_b64 s[0:1], exec
	v_readlane_b32 s8, v44, 16
	v_readlane_b32 s9, v44, 17
	s_and_b64 s[8:9], s[0:1], s[8:9]
	s_mov_b64 exec, s[8:9]
	s_cbranch_execz .LBB37_130
; %bb.129:                              ;   in Loop: Header=BB37_5 Depth=1
	ds_read2_b32 v[8:9], v1 offset1:32
	s_waitcnt lgkmcnt(0)
	v_cmp_lt_f32_e32 vcc, v8, v9
	v_cndmask_b32_e32 v4, v8, v9, vcc
	ds_write_b32 v1, v4
.LBB37_130:                             ;   in Loop: Header=BB37_5 Depth=1
	s_or_b64 exec, exec, s[0:1]
	s_waitcnt lgkmcnt(0)
	s_barrier
	s_and_saveexec_b64 s[0:1], s[12:13]
	s_cbranch_execz .LBB37_132
; %bb.131:                              ;   in Loop: Header=BB37_5 Depth=1
	ds_read2_b32 v[8:9], v1 offset1:16
	s_waitcnt lgkmcnt(0)
	v_cmp_lt_f32_e32 vcc, v8, v9
	v_cndmask_b32_e32 v4, v8, v9, vcc
	ds_write_b32 v1, v4
.LBB37_132:                             ;   in Loop: Header=BB37_5 Depth=1
	s_or_b64 exec, exec, s[0:1]
	s_waitcnt lgkmcnt(0)
	s_barrier
	s_and_saveexec_b64 s[0:1], s[14:15]
	;; [unrolled: 12-line block ×5, first 2 shown]
	s_cbranch_execz .LBB37_140
; %bb.139:                              ;   in Loop: Header=BB37_5 Depth=1
	ds_read_b64 v[8:9], v36
	s_waitcnt lgkmcnt(0)
	v_cmp_lt_f32_e32 vcc, v8, v9
	v_cndmask_b32_e32 v4, v8, v9, vcc
	ds_write_b32 v36, v4
.LBB37_140:                             ;   in Loop: Header=BB37_5 Depth=1
	s_or_b64 exec, exec, s[0:1]
	v_readlane_b32 s0, v44, 2
	v_readlane_b32 s1, v44, 3
	s_waitcnt lgkmcnt(0)
	s_barrier
	ds_read_b32 v4, v36
	s_load_dword s8, s[0:1], 0x0
	s_waitcnt lgkmcnt(0)
	v_div_scale_f32 v6, s[0:1], s8, s8, v4
	v_rcp_f32_e32 v8, v6
	v_div_scale_f32 v9, vcc, v4, s8, v4
	v_fma_f32 v10, -v6, v8, 1.0
	v_fmac_f32_e32 v8, v10, v8
	v_mul_f32_e32 v10, v9, v8
	v_fma_f32 v11, -v6, v10, v9
	v_fmac_f32_e32 v10, v11, v8
	v_fma_f32 v6, -v6, v10, v9
	v_div_fmas_f32 v6, v6, v8, v10
	v_div_fixup_f32 v4, v6, s8, v4
.LBB37_141:                             ;   in Loop: Header=BB37_5 Depth=1
	s_andn2_b64 vcc, exec, s[30:31]
	s_cbranch_vccnz .LBB37_161
; %bb.142:                              ;   in Loop: Header=BB37_5 Depth=1
	v_mov_b32_dpp v6, v2 row_shr:1 row_mask:0xf bank_mask:0xf
	v_cmp_lt_f32_e32 vcc, v2, v6
	v_cndmask_b32_e32 v2, v2, v6, vcc
	s_nop 1
	v_mov_b32_dpp v6, v2 row_shr:2 row_mask:0xf bank_mask:0xf
	s_mov_b64 s[0:1], exec
	v_readlane_b32 s8, v44, 10
	v_readlane_b32 s9, v44, 11
	s_and_b64 s[8:9], s[0:1], s[8:9]
	s_mov_b64 exec, s[8:9]
	s_cbranch_execz .LBB37_144
; %bb.143:                              ;   in Loop: Header=BB37_5 Depth=1
	v_cmp_lt_f32_e32 vcc, v2, v6
	v_cndmask_b32_e32 v2, v2, v6, vcc
	ds_write_b32 v32, v2
.LBB37_144:                             ;   in Loop: Header=BB37_5 Depth=1
	s_or_b64 exec, exec, s[0:1]
	s_waitcnt lgkmcnt(0)
	s_barrier
	s_mov_b64 s[0:1], exec
	v_readlane_b32 s8, v44, 12
	v_readlane_b32 s9, v44, 13
	s_and_b64 s[8:9], s[0:1], s[8:9]
	s_mov_b64 exec, s[8:9]
	s_cbranch_execz .LBB37_146
; %bb.145:                              ;   in Loop: Header=BB37_5 Depth=1
	ds_read2st64_b32 v[8:9], v1 offset1:2
	s_waitcnt lgkmcnt(0)
	v_cmp_lt_f32_e32 vcc, v8, v9
	v_cndmask_b32_e32 v2, v8, v9, vcc
	ds_write_b32 v1, v2
.LBB37_146:                             ;   in Loop: Header=BB37_5 Depth=1
	s_or_b64 exec, exec, s[0:1]
	s_waitcnt lgkmcnt(0)
	s_barrier
	s_mov_b64 s[0:1], exec
	v_readlane_b32 s8, v44, 14
	v_readlane_b32 s9, v44, 15
	s_and_b64 s[8:9], s[0:1], s[8:9]
	s_mov_b64 exec, s[8:9]
	s_cbranch_execz .LBB37_148
; %bb.147:                              ;   in Loop: Header=BB37_5 Depth=1
	ds_read2st64_b32 v[8:9], v1 offset1:1
	s_waitcnt lgkmcnt(0)
	v_cmp_lt_f32_e32 vcc, v8, v9
	v_cndmask_b32_e32 v2, v8, v9, vcc
	ds_write_b32 v1, v2
.LBB37_148:                             ;   in Loop: Header=BB37_5 Depth=1
	s_or_b64 exec, exec, s[0:1]
	s_waitcnt lgkmcnt(0)
	s_barrier
	s_mov_b64 s[0:1], exec
	v_readlane_b32 s8, v44, 16
	v_readlane_b32 s9, v44, 17
	s_and_b64 s[8:9], s[0:1], s[8:9]
	s_mov_b64 exec, s[8:9]
	s_cbranch_execz .LBB37_150
; %bb.149:                              ;   in Loop: Header=BB37_5 Depth=1
	ds_read2_b32 v[8:9], v1 offset1:32
	s_waitcnt lgkmcnt(0)
	v_cmp_lt_f32_e32 vcc, v8, v9
	v_cndmask_b32_e32 v2, v8, v9, vcc
	ds_write_b32 v1, v2
.LBB37_150:                             ;   in Loop: Header=BB37_5 Depth=1
	s_or_b64 exec, exec, s[0:1]
	s_waitcnt lgkmcnt(0)
	s_barrier
	s_and_saveexec_b64 s[0:1], s[12:13]
	s_cbranch_execz .LBB37_152
; %bb.151:                              ;   in Loop: Header=BB37_5 Depth=1
	ds_read2_b32 v[8:9], v1 offset1:16
	s_waitcnt lgkmcnt(0)
	v_cmp_lt_f32_e32 vcc, v8, v9
	v_cndmask_b32_e32 v2, v8, v9, vcc
	ds_write_b32 v1, v2
.LBB37_152:                             ;   in Loop: Header=BB37_5 Depth=1
	s_or_b64 exec, exec, s[0:1]
	s_waitcnt lgkmcnt(0)
	s_barrier
	s_and_saveexec_b64 s[0:1], s[14:15]
	;; [unrolled: 12-line block ×5, first 2 shown]
	s_cbranch_execz .LBB37_160
; %bb.159:                              ;   in Loop: Header=BB37_5 Depth=1
	ds_read_b64 v[8:9], v36
	s_waitcnt lgkmcnt(0)
	v_cmp_lt_f32_e32 vcc, v8, v9
	v_cndmask_b32_e32 v2, v8, v9, vcc
	ds_write_b32 v36, v2
.LBB37_160:                             ;   in Loop: Header=BB37_5 Depth=1
	s_or_b64 exec, exec, s[0:1]
	v_readlane_b32 s0, v44, 2
	v_readlane_b32 s1, v44, 3
	s_waitcnt lgkmcnt(0)
	s_barrier
	ds_read_b32 v2, v36
	s_load_dword s8, s[0:1], 0x0
	s_waitcnt lgkmcnt(0)
	v_div_scale_f32 v6, s[0:1], s8, s8, v2
	v_rcp_f32_e32 v8, v6
	v_div_scale_f32 v9, vcc, v2, s8, v2
	v_fma_f32 v10, -v6, v8, 1.0
	v_fmac_f32_e32 v8, v10, v8
	v_mul_f32_e32 v10, v9, v8
	v_fma_f32 v11, -v6, v10, v9
	v_fmac_f32_e32 v10, v11, v8
	v_fma_f32 v6, -v6, v10, v9
	v_div_fmas_f32 v6, v6, v8, v10
	v_div_fixup_f32 v2, v6, s8, v2
.LBB37_161:                             ;   in Loop: Header=BB37_5 Depth=1
	s_mov_b64 s[24:25], exec
	v_readlane_b32 s0, v44, 8
	v_readlane_b32 s1, v44, 9
	s_and_b64 s[0:1], s[24:25], s[0:1]
	s_mov_b64 exec, s[0:1]
	s_cbranch_execz .LBB37_173
; %bb.162:                              ;   in Loop: Header=BB37_5 Depth=1
	s_mov_b64 s[26:27], 0
	v_mov_b32_e32 v8, v30
	s_branch .LBB37_164
.LBB37_163:                             ;   in Loop: Header=BB37_164 Depth=2
	s_or_b64 exec, exec, s[28:29]
	v_add_u32_e32 v8, 0x100, v8
	v_cmp_le_u32_e32 vcc, s2, v8
	s_or_b64 s[26:27], vcc, s[26:27]
	s_andn2_b64 exec, exec, s[26:27]
	s_cbranch_execz .LBB37_173
.LBB37_164:                             ;   Parent Loop BB37_5 Depth=1
                                        ; =>  This Loop Header: Depth=2
                                        ;       Child Loop BB37_167 Depth 3
                                        ;       Child Loop BB37_170 Depth 3
	v_cmp_gt_i32_e32 vcc, s73, v8
	s_and_saveexec_b64 s[28:29], vcc
	s_cbranch_execz .LBB37_163
; %bb.165:                              ;   in Loop: Header=BB37_164 Depth=2
	v_ashrrev_i32_e32 v9, 31, v8
	v_lshlrev_b64 v[10:11], 2, v[8:9]
	v_mov_b32_e32 v6, s45
	v_add_co_u32_e32 v12, vcc, s44, v10
	v_addc_co_u32_e32 v13, vcc, v6, v11, vcc
	global_load_dword v6, v[12:13], off
	v_mov_b32_e32 v13, s47
	v_add_co_u32_e32 v12, vcc, s46, v10
	v_addc_co_u32_e32 v13, vcc, v13, v11, vcc
	global_load_dword v13, v[12:13], off
	s_waitcnt vmcnt(1)
	v_add_u32_e32 v12, v33, v6
	s_waitcnt vmcnt(0)
	v_subrev_u32_e32 v6, s10, v13
	v_cmp_lt_i32_e32 vcc, v12, v6
	s_and_saveexec_b64 s[60:61], vcc
	s_cbranch_execz .LBB37_168
; %bb.166:                              ;   in Loop: Header=BB37_164 Depth=2
	v_ashrrev_i32_e32 v13, 31, v12
	v_lshlrev_b64 v[16:17], 3, v[12:13]
	v_mov_b32_e32 v13, s83
	v_add_co_u32_e32 v14, vcc, s82, v16
	v_addc_co_u32_e32 v15, vcc, v13, v17, vcc
	v_mov_b32_e32 v13, s51
	v_add_co_u32_e32 v16, vcc, s50, v16
	v_addc_co_u32_e32 v17, vcc, v13, v17, vcc
	s_mov_b64 s[62:63], 0
.LBB37_167:                             ;   Parent Loop BB37_5 Depth=1
                                        ;     Parent Loop BB37_164 Depth=2
                                        ; =>    This Inner Loop Header: Depth=3
	global_load_dwordx2 v[18:19], v[14:15], off
	v_add_co_u32_e32 v14, vcc, 32, v14
	v_add_u32_e32 v12, 4, v12
	v_addc_co_u32_e32 v15, vcc, 0, v15, vcc
	v_cmp_ge_i32_e32 vcc, v12, v6
	s_or_b64 s[62:63], vcc, s[62:63]
	s_waitcnt vmcnt(0)
	global_store_dwordx2 v[16:17], v[18:19], off
	v_add_co_u32_e32 v16, vcc, 32, v16
	v_addc_co_u32_e32 v17, vcc, 0, v17, vcc
	s_andn2_b64 exec, exec, s[62:63]
	s_cbranch_execnz .LBB37_167
.LBB37_168:                             ;   in Loop: Header=BB37_164 Depth=2
	s_or_b64 exec, exec, s[60:61]
	v_mov_b32_e32 v6, s37
	v_add_co_u32_e32 v12, vcc, s36, v10
	v_addc_co_u32_e32 v13, vcc, v6, v11, vcc
	global_load_dword v6, v[12:13], off
	v_mov_b32_e32 v12, s39
	v_add_co_u32_e32 v10, vcc, s38, v10
	v_addc_co_u32_e32 v11, vcc, v12, v11, vcc
	global_load_dword v11, v[10:11], off
	s_waitcnt vmcnt(1)
	v_add_u32_e32 v10, v34, v6
	s_waitcnt vmcnt(0)
	v_subrev_u32_e32 v6, s5, v11
	v_cmp_lt_i32_e32 vcc, v10, v6
	s_and_saveexec_b64 s[60:61], vcc
	s_cbranch_execz .LBB37_171
; %bb.169:                              ;   in Loop: Header=BB37_164 Depth=2
	v_ashrrev_i32_e32 v11, 31, v10
	v_lshlrev_b64 v[14:15], 3, v[10:11]
	v_mov_b32_e32 v11, s85
	v_add_co_u32_e32 v12, vcc, s84, v14
	v_addc_co_u32_e32 v13, vcc, v11, v15, vcc
	v_mov_b32_e32 v11, s43
	v_add_co_u32_e32 v14, vcc, s42, v14
	v_addc_co_u32_e32 v15, vcc, v11, v15, vcc
	s_mov_b64 s[62:63], 0
.LBB37_170:                             ;   Parent Loop BB37_5 Depth=1
                                        ;     Parent Loop BB37_164 Depth=2
                                        ; =>    This Inner Loop Header: Depth=3
	global_load_dwordx2 v[16:17], v[12:13], off
	v_add_co_u32_e32 v12, vcc, 32, v12
	v_add_u32_e32 v10, 4, v10
	v_addc_co_u32_e32 v13, vcc, 0, v13, vcc
	v_cmp_ge_i32_e32 vcc, v10, v6
	s_or_b64 s[62:63], vcc, s[62:63]
	s_waitcnt vmcnt(0)
	global_store_dwordx2 v[14:15], v[16:17], off
	v_add_co_u32_e32 v14, vcc, 32, v14
	v_addc_co_u32_e32 v15, vcc, 0, v15, vcc
	s_andn2_b64 exec, exec, s[62:63]
	s_cbranch_execnz .LBB37_170
.LBB37_171:                             ;   in Loop: Header=BB37_164 Depth=2
	s_or_b64 exec, exec, s[60:61]
	s_and_b64 exec, exec, s[22:23]
	s_cbranch_execz .LBB37_163
; %bb.172:                              ;   in Loop: Header=BB37_164 Depth=2
	v_lshlrev_b64 v[10:11], 3, v[8:9]
	v_mov_b32_e32 v6, s67
	v_add_co_u32_e32 v12, vcc, s66, v10
	v_addc_co_u32_e32 v13, vcc, v6, v11, vcc
	global_load_dwordx2 v[12:13], v[12:13], off
	v_mov_b32_e32 v6, s65
	v_add_co_u32_e32 v10, vcc, s64, v10
	v_addc_co_u32_e32 v11, vcc, v6, v11, vcc
	s_waitcnt vmcnt(0)
	global_store_dwordx2 v[10:11], v[12:13], off
	s_branch .LBB37_163
.LBB37_173:                             ;   in Loop: Header=BB37_5 Depth=1
	s_or_b64 exec, exec, s[24:25]
	s_mov_b64 s[26:27], -1
	s_and_b64 vcc, exec, s[68:69]
	s_cbranch_vccz .LBB37_183
; %bb.174:                              ;   in Loop: Header=BB37_5 Depth=1
	v_readlane_b32 s8, v44, 18
	v_readlane_b32 s9, v44, 19
	s_mov_b64 s[0:1], -1
	s_and_b64 vcc, exec, s[8:9]
                                        ; implicit-def: $sgpr28_sgpr29
	s_cbranch_vccz .LBB37_180
; %bb.175:                              ;   in Loop: Header=BB37_5 Depth=1
	v_readlane_b32 s8, v44, 4
	v_readlane_b32 s9, v44, 5
	s_and_b64 vcc, exec, s[8:9]
                                        ; implicit-def: $sgpr28_sgpr29
	s_cbranch_vccz .LBB37_177
; %bb.176:                              ;   in Loop: Header=BB37_5 Depth=1
	v_cmp_ge_f32_e32 vcc, s72, v2
	s_mov_b64 s[0:1], 0
	s_and_b64 s[28:29], vcc, exec
.LBB37_177:                             ;   in Loop: Header=BB37_5 Depth=1
	s_andn2_b64 vcc, exec, s[0:1]
	s_cbranch_vccnz .LBB37_179
; %bb.178:                              ;   in Loop: Header=BB37_5 Depth=1
	v_cmp_ge_f32_e32 vcc, s72, v4
	s_andn2_b64 s[0:1], s[28:29], exec
	s_and_b64 s[8:9], vcc, exec
	s_or_b64 s[28:29], s[0:1], s[8:9]
.LBB37_179:                             ;   in Loop: Header=BB37_5 Depth=1
	s_mov_b64 s[0:1], 0
.LBB37_180:                             ;   in Loop: Header=BB37_5 Depth=1
	s_andn2_b64 vcc, exec, s[0:1]
	s_cbranch_vccnz .LBB37_182
; %bb.181:                              ;   in Loop: Header=BB37_5 Depth=1
	v_cmp_ge_f32_e32 vcc, s72, v4
	v_cmp_ge_f32_e64 s[24:25], s72, v2
	s_and_b64 s[0:1], vcc, s[24:25]
	s_andn2_b64 s[8:9], s[28:29], exec
	s_and_b64 s[0:1], s[0:1], exec
	s_or_b64 s[28:29], s[8:9], s[0:1]
.LBB37_182:                             ;   in Loop: Header=BB37_5 Depth=1
	s_xor_b64 s[24:25], s[28:29], -1
	v_mov_b32_e32 v6, s7
	s_and_saveexec_b64 s[0:1], s[24:25]
	s_cbranch_execz .LBB37_4
	s_branch .LBB37_184
.LBB37_183:                             ;   in Loop: Header=BB37_5 Depth=1
	s_mov_b64 s[24:25], -1
	v_mov_b32_e32 v6, s7
	s_and_saveexec_b64 s[0:1], s[24:25]
	s_cbranch_execz .LBB37_4
.LBB37_184:                             ;   in Loop: Header=BB37_5 Depth=1
	s_add_i32 s7, s7, 1
	s_cmp_eq_u32 s7, s11
	s_cselect_b64 s[8:9], -1, 0
	v_mov_b32_e32 v6, s11
	s_orn2_b64 s[26:27], s[8:9], exec
	s_branch .LBB37_4
.LBB37_185:
	s_or_b64 exec, exec, s[88:89]
	v_readlane_b32 s4, v44, 6
	v_readlane_b32 s5, v44, 7
	s_load_dwordx4 s[20:23], s[4:5], 0xb8
	v_readlane_b32 s6, v44, 0
	v_readlane_b32 s7, v44, 1
	s_or_b64 exec, exec, s[6:7]
	s_andn2_b64 vcc, exec, s[68:69]
	s_cbranch_vccnz .LBB37_2
.LBB37_186:
	v_mov_b32_dpp v7, v6 row_shr:1 row_mask:0xf bank_mask:0xf
	v_max_i32_e32 v6, v6, v7
	v_cmp_eq_u32_e32 vcc, 3, v5
	s_nop 0
	v_mov_b32_dpp v7, v6 row_shr:2 row_mask:0xf bank_mask:0xf
	s_and_saveexec_b64 s[0:1], vcc
	s_cbranch_execz .LBB37_188
; %bb.187:
	v_lshlrev_b32_e32 v3, 2, v3
	v_max_i32_e32 v5, v6, v7
	ds_write_b32 v3, v5 offset:1024
.LBB37_188:
	s_or_b64 exec, exec, s[0:1]
	s_movk_i32 s0, 0x80
	v_cmp_gt_u32_e32 vcc, s0, v0
	s_waitcnt lgkmcnt(0)
	s_barrier
	s_and_saveexec_b64 s[0:1], vcc
	s_cbranch_execz .LBB37_190
; %bb.189:
	ds_read2st64_b32 v[6:7], v1 offset0:4 offset1:6
	s_waitcnt lgkmcnt(0)
	v_max_i32_e32 v3, v6, v7
	ds_write_b32 v1, v3 offset:1024
.LBB37_190:
	s_or_b64 exec, exec, s[0:1]
	v_cmp_gt_u32_e32 vcc, 64, v0
	s_waitcnt lgkmcnt(0)
	s_barrier
	s_and_saveexec_b64 s[0:1], vcc
	s_cbranch_execz .LBB37_192
; %bb.191:
	ds_read2st64_b32 v[6:7], v1 offset0:4 offset1:5
	s_waitcnt lgkmcnt(0)
	v_max_i32_e32 v3, v6, v7
	ds_write_b32 v1, v3 offset:1024
.LBB37_192:
	s_or_b64 exec, exec, s[0:1]
	v_cmp_gt_u32_e32 vcc, 32, v0
	s_waitcnt lgkmcnt(0)
	s_barrier
	s_and_saveexec_b64 s[0:1], vcc
	s_cbranch_execz .LBB37_194
; %bb.193:
	v_add_u32_e32 v3, 0x400, v1
	ds_read2_b32 v[6:7], v3 offset1:32
	s_waitcnt lgkmcnt(0)
	v_max_i32_e32 v3, v6, v7
	ds_write_b32 v1, v3 offset:1024
.LBB37_194:
	s_or_b64 exec, exec, s[0:1]
	v_cmp_gt_u32_e32 vcc, 16, v0
	s_waitcnt lgkmcnt(0)
	s_barrier
	s_and_saveexec_b64 s[0:1], vcc
	s_cbranch_execz .LBB37_196
; %bb.195:
	v_add_u32_e32 v3, 0x400, v1
	ds_read2_b32 v[6:7], v3 offset1:16
	s_waitcnt lgkmcnt(0)
	v_max_i32_e32 v3, v6, v7
	ds_write_b32 v1, v3 offset:1024
.LBB37_196:
	;; [unrolled: 13-line block ×5, first 2 shown]
	s_or_b64 exec, exec, s[0:1]
	v_cmp_eq_u32_e32 vcc, 0, v0
	s_waitcnt lgkmcnt(0)
	s_barrier
	s_and_saveexec_b64 s[0:1], vcc
	s_cbranch_execz .LBB37_204
; %bb.203:
	v_mov_b32_e32 v1, 0
	ds_read_b64 v[6:7], v1 offset:1024
	s_waitcnt lgkmcnt(0)
	v_max_i32_e32 v3, v6, v7
	ds_write_b32 v1, v3 offset:1024
.LBB37_204:
	s_or_b64 exec, exec, s[0:1]
	s_waitcnt lgkmcnt(0)
	s_barrier
	s_and_saveexec_b64 s[0:1], vcc
	s_cbranch_execz .LBB37_207
; %bb.205:
	v_mbcnt_lo_u32_b32 v1, exec_lo, 0
	v_mbcnt_hi_u32_b32 v1, exec_hi, v1
	v_cmp_eq_u32_e32 vcc, 0, v1
	s_and_b64 exec, exec, vcc
	s_cbranch_execz .LBB37_207
; %bb.206:
	v_mov_b32_e32 v1, 0
	ds_read_b32 v3, v1 offset:1024
	s_load_dwordx2 s[2:3], s[4:5], 0x8
	s_waitcnt lgkmcnt(0)
	v_add_u32_e32 v3, 1, v3
	global_atomic_smax v1, v3, s[2:3]
.LBB37_207:
	s_or_b64 exec, exec, s[0:1]
	v_cmp_eq_u32_e32 vcc, 0, v0
	s_and_b64 s[0:1], vcc, s[34:35]
	s_and_saveexec_b64 s[4:5], s[0:1]
	s_cbranch_execz .LBB37_212
.LBB37_208:
	v_mov_b32_e32 v0, 0
	s_waitcnt lgkmcnt(0)
	global_load_dword v5, v0, s[20:21] glc
	s_brev_b32 s2, 1
	v_cmp_eq_f32_e64 s[0:1], 0, v4
	s_mov_b64 s[6:7], 0
                                        ; implicit-def: $sgpr8_sgpr9
                                        ; implicit-def: $sgpr12_sgpr13
	s_waitcnt vmcnt(0)
	v_cmp_eq_u32_e64 s[10:11], s2, v5
	s_branch .LBB37_210
.LBB37_209:                             ;   in Loop: Header=BB37_210 Depth=1
	s_or_b64 exec, exec, s[14:15]
	s_and_b64 s[2:3], exec, s[8:9]
	s_or_b64 s[6:7], s[2:3], s[6:7]
	s_andn2_b64 s[2:3], s[10:11], exec
	s_and_b64 s[10:11], s[12:13], exec
	s_or_b64 s[10:11], s[2:3], s[10:11]
	s_andn2_b64 exec, exec, s[6:7]
	s_cbranch_execz .LBB37_212
.LBB37_210:                             ; =>This Inner Loop Header: Depth=1
	v_cmp_lt_f32_e64 s[2:3], v5, v4
	s_and_b64 s[14:15], s[0:1], s[10:11]
	s_or_b64 s[2:3], s[2:3], s[14:15]
	s_andn2_b64 s[12:13], s[12:13], exec
	s_or_b64 s[8:9], s[8:9], exec
	s_and_saveexec_b64 s[14:15], s[2:3]
	s_cbranch_execz .LBB37_209
; %bb.211:                              ;   in Loop: Header=BB37_210 Depth=1
	global_atomic_cmpswap v1, v0, v[4:5], s[20:21] glc
	s_andn2_b64 s[12:13], s[12:13], exec
	s_andn2_b64 s[8:9], s[8:9], exec
                                        ; implicit-def: $sgpr10_sgpr11
	s_waitcnt vmcnt(0)
	v_cmp_eq_u32_e64 s[2:3], v1, v5
	v_cndmask_b32_e64 v3, v1, v5, s[2:3]
	v_cmp_class_f32_e64 s[16:17], v3, 32
	s_and_b64 s[2:3], s[2:3], exec
	s_and_b64 s[16:17], s[16:17], exec
	s_or_b64 s[8:9], s[8:9], s[2:3]
	s_or_b64 s[12:13], s[12:13], s[16:17]
	v_mov_b32_e32 v5, v1
	s_branch .LBB37_209
.LBB37_212:
	s_or_b64 exec, exec, s[4:5]
	s_and_b64 s[0:1], vcc, s[30:31]
	s_and_saveexec_b64 s[2:3], s[0:1]
	s_cbranch_execz .LBB37_217
; %bb.213:
	v_mov_b32_e32 v0, 0
	s_waitcnt lgkmcnt(0)
	global_load_dword v3, v0, s[22:23] glc
	s_brev_b32 s0, 1
	v_cmp_eq_f32_e32 vcc, 0, v2
	s_mov_b64 s[2:3], 0
                                        ; implicit-def: $sgpr4_sgpr5
                                        ; implicit-def: $sgpr8_sgpr9
	s_waitcnt vmcnt(0)
	v_cmp_eq_u32_e64 s[6:7], s0, v3
	s_branch .LBB37_215
.LBB37_214:                             ;   in Loop: Header=BB37_215 Depth=1
	s_or_b64 exec, exec, s[10:11]
	s_and_b64 s[0:1], exec, s[4:5]
	s_or_b64 s[2:3], s[0:1], s[2:3]
	s_andn2_b64 s[0:1], s[6:7], exec
	s_and_b64 s[6:7], s[8:9], exec
	s_or_b64 s[6:7], s[0:1], s[6:7]
	s_andn2_b64 exec, exec, s[2:3]
	s_cbranch_execz .LBB37_217
.LBB37_215:                             ; =>This Inner Loop Header: Depth=1
	v_cmp_lt_f32_e64 s[0:1], v3, v2
	s_and_b64 s[10:11], vcc, s[6:7]
	s_or_b64 s[0:1], s[0:1], s[10:11]
	s_andn2_b64 s[8:9], s[8:9], exec
	s_or_b64 s[4:5], s[4:5], exec
	s_and_saveexec_b64 s[10:11], s[0:1]
	s_cbranch_execz .LBB37_214
; %bb.216:                              ;   in Loop: Header=BB37_215 Depth=1
	global_atomic_cmpswap v1, v0, v[2:3], s[22:23] glc
	s_andn2_b64 s[8:9], s[8:9], exec
	s_andn2_b64 s[4:5], s[4:5], exec
                                        ; implicit-def: $sgpr6_sgpr7
	s_waitcnt vmcnt(0)
	v_cmp_eq_u32_e64 s[0:1], v1, v3
	v_cndmask_b32_e64 v3, v1, v3, s[0:1]
	v_cmp_class_f32_e64 s[12:13], v3, 32
	s_and_b64 s[0:1], s[0:1], exec
	s_and_b64 s[12:13], s[12:13], exec
	s_or_b64 s[4:5], s[4:5], s[0:1]
	s_or_b64 s[8:9], s[8:9], s[12:13]
	v_mov_b32_e32 v3, v1
	s_branch .LBB37_214
.LBB37_217:
	s_endpgm
	.section	.rodata,"a",@progbits
	.p2align	6, 0x0
	.amdhsa_kernel _ZN9rocsparseL6kernelILi1024ELi4E21rocsparse_complex_numIfEiiEEvbbbT3_PS3_NS_15floating_traitsIT1_E6data_tES3_T2_PKS9_SB_PKS3_PKS6_21rocsparse_index_base_SB_SB_SD_PS6_SH_SG_SB_SB_SD_SH_SH_SG_SH_SH_PS8_SI_PKS8_
		.amdhsa_group_segment_fixed_size 2048
		.amdhsa_private_segment_fixed_size 0
		.amdhsa_kernarg_size 208
		.amdhsa_user_sgpr_count 6
		.amdhsa_user_sgpr_private_segment_buffer 1
		.amdhsa_user_sgpr_dispatch_ptr 0
		.amdhsa_user_sgpr_queue_ptr 0
		.amdhsa_user_sgpr_kernarg_segment_ptr 1
		.amdhsa_user_sgpr_dispatch_id 0
		.amdhsa_user_sgpr_flat_scratch_init 0
		.amdhsa_user_sgpr_kernarg_preload_length 0
		.amdhsa_user_sgpr_kernarg_preload_offset 0
		.amdhsa_user_sgpr_private_segment_size 0
		.amdhsa_uses_dynamic_stack 0
		.amdhsa_system_sgpr_private_segment_wavefront_offset 0
		.amdhsa_system_sgpr_workgroup_id_x 1
		.amdhsa_system_sgpr_workgroup_id_y 0
		.amdhsa_system_sgpr_workgroup_id_z 0
		.amdhsa_system_sgpr_workgroup_info 0
		.amdhsa_system_vgpr_workitem_id 0
		.amdhsa_next_free_vgpr 45
		.amdhsa_next_free_sgpr 96
		.amdhsa_accum_offset 48
		.amdhsa_reserve_vcc 1
		.amdhsa_reserve_flat_scratch 0
		.amdhsa_float_round_mode_32 0
		.amdhsa_float_round_mode_16_64 0
		.amdhsa_float_denorm_mode_32 3
		.amdhsa_float_denorm_mode_16_64 3
		.amdhsa_dx10_clamp 1
		.amdhsa_ieee_mode 1
		.amdhsa_fp16_overflow 0
		.amdhsa_tg_split 0
		.amdhsa_exception_fp_ieee_invalid_op 0
		.amdhsa_exception_fp_denorm_src 0
		.amdhsa_exception_fp_ieee_div_zero 0
		.amdhsa_exception_fp_ieee_overflow 0
		.amdhsa_exception_fp_ieee_underflow 0
		.amdhsa_exception_fp_ieee_inexact 0
		.amdhsa_exception_int_div_zero 0
	.end_amdhsa_kernel
	.section	.text._ZN9rocsparseL6kernelILi1024ELi4E21rocsparse_complex_numIfEiiEEvbbbT3_PS3_NS_15floating_traitsIT1_E6data_tES3_T2_PKS9_SB_PKS3_PKS6_21rocsparse_index_base_SB_SB_SD_PS6_SH_SG_SB_SB_SD_SH_SH_SG_SH_SH_PS8_SI_PKS8_,"axG",@progbits,_ZN9rocsparseL6kernelILi1024ELi4E21rocsparse_complex_numIfEiiEEvbbbT3_PS3_NS_15floating_traitsIT1_E6data_tES3_T2_PKS9_SB_PKS3_PKS6_21rocsparse_index_base_SB_SB_SD_PS6_SH_SG_SB_SB_SD_SH_SH_SG_SH_SH_PS8_SI_PKS8_,comdat
.Lfunc_end37:
	.size	_ZN9rocsparseL6kernelILi1024ELi4E21rocsparse_complex_numIfEiiEEvbbbT3_PS3_NS_15floating_traitsIT1_E6data_tES3_T2_PKS9_SB_PKS3_PKS6_21rocsparse_index_base_SB_SB_SD_PS6_SH_SG_SB_SB_SD_SH_SH_SG_SH_SH_PS8_SI_PKS8_, .Lfunc_end37-_ZN9rocsparseL6kernelILi1024ELi4E21rocsparse_complex_numIfEiiEEvbbbT3_PS3_NS_15floating_traitsIT1_E6data_tES3_T2_PKS9_SB_PKS3_PKS6_21rocsparse_index_base_SB_SB_SD_PS6_SH_SG_SB_SB_SD_SH_SH_SG_SH_SH_PS8_SI_PKS8_
                                        ; -- End function
	.section	.AMDGPU.csdata,"",@progbits
; Kernel info:
; codeLenInByte = 8696
; NumSgprs: 100
; NumVgprs: 45
; NumAgprs: 0
; TotalNumVgprs: 45
; ScratchSize: 0
; MemoryBound: 0
; FloatMode: 240
; IeeeMode: 1
; LDSByteSize: 2048 bytes/workgroup (compile time only)
; SGPRBlocks: 12
; VGPRBlocks: 5
; NumSGPRsForWavesPerEU: 100
; NumVGPRsForWavesPerEU: 45
; AccumOffset: 48
; Occupancy: 8
; WaveLimiterHint : 1
; COMPUTE_PGM_RSRC2:SCRATCH_EN: 0
; COMPUTE_PGM_RSRC2:USER_SGPR: 6
; COMPUTE_PGM_RSRC2:TRAP_HANDLER: 0
; COMPUTE_PGM_RSRC2:TGID_X_EN: 1
; COMPUTE_PGM_RSRC2:TGID_Y_EN: 0
; COMPUTE_PGM_RSRC2:TGID_Z_EN: 0
; COMPUTE_PGM_RSRC2:TIDIG_COMP_CNT: 0
; COMPUTE_PGM_RSRC3_GFX90A:ACCUM_OFFSET: 11
; COMPUTE_PGM_RSRC3_GFX90A:TG_SPLIT: 0
	.section	.text._ZN9rocsparseL6kernelILi1024ELi8E21rocsparse_complex_numIfEiiEEvbbbT3_PS3_NS_15floating_traitsIT1_E6data_tES3_T2_PKS9_SB_PKS3_PKS6_21rocsparse_index_base_SB_SB_SD_PS6_SH_SG_SB_SB_SD_SH_SH_SG_SH_SH_PS8_SI_PKS8_,"axG",@progbits,_ZN9rocsparseL6kernelILi1024ELi8E21rocsparse_complex_numIfEiiEEvbbbT3_PS3_NS_15floating_traitsIT1_E6data_tES3_T2_PKS9_SB_PKS3_PKS6_21rocsparse_index_base_SB_SB_SD_PS6_SH_SG_SB_SB_SD_SH_SH_SG_SH_SH_PS8_SI_PKS8_,comdat
	.globl	_ZN9rocsparseL6kernelILi1024ELi8E21rocsparse_complex_numIfEiiEEvbbbT3_PS3_NS_15floating_traitsIT1_E6data_tES3_T2_PKS9_SB_PKS3_PKS6_21rocsparse_index_base_SB_SB_SD_PS6_SH_SG_SB_SB_SD_SH_SH_SG_SH_SH_PS8_SI_PKS8_ ; -- Begin function _ZN9rocsparseL6kernelILi1024ELi8E21rocsparse_complex_numIfEiiEEvbbbT3_PS3_NS_15floating_traitsIT1_E6data_tES3_T2_PKS9_SB_PKS3_PKS6_21rocsparse_index_base_SB_SB_SD_PS6_SH_SG_SB_SB_SD_SH_SH_SG_SH_SH_PS8_SI_PKS8_
	.p2align	8
	.type	_ZN9rocsparseL6kernelILi1024ELi8E21rocsparse_complex_numIfEiiEEvbbbT3_PS3_NS_15floating_traitsIT1_E6data_tES3_T2_PKS9_SB_PKS3_PKS6_21rocsparse_index_base_SB_SB_SD_PS6_SH_SG_SB_SB_SD_SH_SH_SG_SH_SH_PS8_SI_PKS8_,@function
_ZN9rocsparseL6kernelILi1024ELi8E21rocsparse_complex_numIfEiiEEvbbbT3_PS3_NS_15floating_traitsIT1_E6data_tES3_T2_PKS9_SB_PKS3_PKS6_21rocsparse_index_base_SB_SB_SD_PS6_SH_SG_SB_SB_SD_SH_SH_SG_SH_SH_PS8_SI_PKS8_: ; @_ZN9rocsparseL6kernelILi1024ELi8E21rocsparse_complex_numIfEiiEEvbbbT3_PS3_NS_15floating_traitsIT1_E6data_tES3_T2_PKS9_SB_PKS3_PKS6_21rocsparse_index_base_SB_SB_SD_PS6_SH_SG_SB_SB_SD_SH_SH_SG_SH_SH_PS8_SI_PKS8_
; %bb.0:
	s_load_dword s0, s[4:5], 0x0
	s_load_dwordx2 s[2:3], s[4:5], 0x0
	s_load_dwordx2 s[70:71], s[4:5], 0x10
	s_load_dwordx4 s[20:23], s[4:5], 0xb8
	s_mov_b64 s[8:9], s[4:5]
	s_waitcnt lgkmcnt(0)
	s_bitcmp1_b32 s0, 0
	s_cselect_b64 s[66:67], -1, 0
	s_bitcmp1_b32 s0, 8
	s_cselect_b64 s[64:65], -1, 0
	;; [unrolled: 2-line block ×3, first 2 shown]
	v_lshrrev_b32_e32 v3, 3, v0
	s_lshl_b32 s4, s6, 10
	s_mov_b32 s1, s3
                                        ; implicit-def: $vgpr44 : SGPR spill to VGPR lane
	v_or_b32_e32 v30, s4, v3
	v_writelane_b32 v44, s0, 0
	s_cmp_gt_i32 s3, 0
	v_cmp_gt_i32_e32 vcc, s71, v30
	v_writelane_b32 v44, s1, 1
	s_cselect_b64 s[0:1], -1, 0
	v_and_b32_e32 v5, 7, v0
	v_lshlrev_b32_e32 v1, 2, v0
	v_mov_b32_e32 v6, 0
	s_and_b64 s[0:1], s[0:1], vcc
	s_mov_b32 s74, 0
	v_mov_b32_e32 v4, 0
	v_mov_b32_e32 v2, 0
	ds_write_b32 v1, v6
	s_waitcnt lgkmcnt(0)
	s_barrier
	s_and_saveexec_b64 s[2:3], s[0:1]
	s_cbranch_execnz .LBB38_3
; %bb.1:
	s_or_b64 exec, exec, s[2:3]
	s_andn2_b64 vcc, exec, s[66:67]
	s_cbranch_vccz .LBB38_182
.LBB38_2:
	v_cmp_eq_u32_e32 vcc, 0, v0
	s_and_b64 s[0:1], vcc, s[64:65]
	s_and_saveexec_b64 s[4:5], s[0:1]
	s_cbranch_execnz .LBB38_202
	s_branch .LBB38_206
.LBB38_3:
	s_load_dwordx2 s[0:1], s[8:9], 0xc8
	v_writelane_b32 v44, s2, 2
	v_writelane_b32 v44, s3, 3
	s_load_dwordx4 s[60:63], s[8:9], 0xa8
	s_load_dwordx8 s[36:43], s[8:9], 0x78
	s_load_dwordx8 s[44:51], s[8:9], 0x48
	;; [unrolled: 1-line block ×3, first 2 shown]
	s_addk_i32 s4, 0x400
	s_waitcnt lgkmcnt(0)
	v_writelane_b32 v44, s0, 4
	v_writelane_b32 v44, s1, 5
	s_xor_b64 s[0:1], s[64:65], -1
	v_writelane_b32 v44, s0, 6
	v_writelane_b32 v44, s1, 7
	s_load_dword s33, s[8:9], 0x40
	s_load_dwordx2 s[80:81], s[8:9], 0x68
	s_load_dword s0, s[8:9], 0x70
	s_load_dwordx2 s[82:83], s[8:9], 0x98
	v_writelane_b32 v44, s8, 8
	v_writelane_b32 v44, s9, 9
	v_cmp_gt_u32_e64 s[2:3], s4, v30
	v_writelane_b32 v44, s2, 10
	v_writelane_b32 v44, s3, 11
	v_cmp_eq_u32_e64 s[2:3], 7, v5
	v_writelane_b32 v44, s2, 12
	s_load_dword s1, s[8:9], 0xa0
	v_writelane_b32 v44, s3, 13
	v_cmp_gt_u32_e64 s[2:3], 64, v0
	v_writelane_b32 v44, s2, 14
	v_writelane_b32 v44, s3, 15
	s_and_b64 s[2:3], s[64:65], s[34:35]
	s_xor_b64 s[2:3], s[2:3], -1
	v_writelane_b32 v44, s2, 16
	s_waitcnt lgkmcnt(0)
	v_subrev_u32_e32 v31, s33, v5
	v_lshlrev_b32_e32 v32, 2, v3
	v_cmp_gt_u32_e64 s[8:9], 32, v0
	v_cmp_gt_u32_e64 s[10:11], 16, v0
	;; [unrolled: 1-line block ×5, first 2 shown]
	v_cmp_eq_u32_e64 s[18:19], 0, v0
	v_subrev_u32_e32 v33, s0, v5
	v_subrev_u32_e32 v34, s1, v5
	v_cmp_eq_u32_e64 s[20:21], 0, v5
	v_writelane_b32 v44, s3, 17
	s_mov_b64 s[86:87], 0
	v_mov_b32_e32 v7, 0
	s_mov_b32 s5, 0xf800000
	v_mov_b32_e32 v35, 0x260
	s_movk_i32 s2, 0x1f8
	v_mov_b32_e32 v36, 0
	v_mov_b32_e32 v2, 0
	;; [unrolled: 1-line block ×3, first 2 shown]
	s_mov_b32 s3, 0
	s_branch .LBB38_5
.LBB38_4:                               ;   in Loop: Header=BB38_5 Depth=1
	s_or_b64 exec, exec, s[26:27]
	s_and_b64 s[6:7], exec, s[24:25]
	s_or_b64 s[86:87], s[6:7], s[86:87]
	s_andn2_b64 exec, exec, s[86:87]
	s_cbranch_execz .LBB38_181
.LBB38_5:                               ; =>This Loop Header: Depth=1
                                        ;     Child Loop BB38_9 Depth 2
                                        ;       Child Loop BB38_14 Depth 3
                                        ;         Child Loop BB38_18 Depth 4
                                        ;         Child Loop BB38_53 Depth 4
	;; [unrolled: 1-line block ×5, first 2 shown]
                                        ;     Child Loop BB38_160 Depth 2
                                        ;       Child Loop BB38_163 Depth 3
                                        ;       Child Loop BB38_166 Depth 3
	v_cndmask_b32_e64 v4, v4, 0, s[64:65]
	v_cndmask_b32_e64 v2, v2, 0, s[34:35]
	s_mov_b32 s6, 0
	s_branch .LBB38_9
.LBB38_6:                               ;   in Loop: Header=BB38_9 Depth=2
	s_or_b64 exec, exec, s[92:93]
.LBB38_7:                               ;   in Loop: Header=BB38_9 Depth=2
	s_or_b64 exec, exec, s[90:91]
.LBB38_8:                               ;   in Loop: Header=BB38_9 Depth=2
	s_or_b64 exec, exec, s[88:89]
	s_add_i32 s6, s6, 1
	s_cmp_eq_u32 s6, 8
	s_cbranch_scc1 .LBB38_121
.LBB38_9:                               ;   Parent Loop BB38_5 Depth=1
                                        ; =>  This Loop Header: Depth=2
                                        ;       Child Loop BB38_14 Depth 3
                                        ;         Child Loop BB38_18 Depth 4
                                        ;         Child Loop BB38_53 Depth 4
	;; [unrolled: 1-line block ×5, first 2 shown]
	v_lshl_add_u32 v8, s6, 7, v30
	v_cmp_gt_i32_e32 vcc, s71, v8
	s_and_saveexec_b64 s[88:89], vcc
	s_cbranch_execz .LBB38_8
; %bb.10:                               ;   in Loop: Header=BB38_9 Depth=2
	v_ashrrev_i32_e32 v9, 31, v8
	v_lshlrev_b64 v[12:13], 2, v[8:9]
	v_mov_b32_e32 v6, s53
	v_add_co_u32_e32 v10, vcc, s52, v12
	v_addc_co_u32_e32 v11, vcc, v6, v13, vcc
	global_load_dword v6, v[10:11], off
	v_mov_b32_e32 v9, s55
	v_add_co_u32_e32 v10, vcc, s54, v12
	v_addc_co_u32_e32 v11, vcc, v9, v13, vcc
	global_load_dword v9, v[10:11], off
	s_waitcnt vmcnt(1)
	v_add_u32_e32 v10, v31, v6
	s_waitcnt vmcnt(0)
	v_subrev_u32_e32 v9, s33, v9
	v_cmp_lt_i32_e32 vcc, v10, v9
	s_and_saveexec_b64 s[90:91], vcc
	s_cbranch_execz .LBB38_7
; %bb.11:                               ;   in Loop: Header=BB38_9 Depth=2
	v_mov_b32_e32 v6, s47
	v_add_co_u32_e32 v14, vcc, s46, v12
	v_addc_co_u32_e32 v15, vcc, v6, v13, vcc
	v_mov_b32_e32 v6, s45
	v_add_co_u32_e32 v12, vcc, s44, v12
	v_addc_co_u32_e32 v13, vcc, v6, v13, vcc
	global_load_dword v6, v[12:13], off
	global_load_dword v11, v[14:15], off
	v_mov_b32_e32 v18, s49
	v_mov_b32_e32 v19, s51
	s_mov_b64 s[92:93], 0
	s_waitcnt vmcnt(1)
	v_subrev_u32_e32 v12, s0, v6
	v_ashrrev_i32_e32 v13, 31, v12
	v_lshlrev_b64 v[14:15], 2, v[12:13]
	v_lshlrev_b64 v[16:17], 3, v[12:13]
	v_add_co_u32_e32 v13, vcc, s48, v14
	v_addc_co_u32_e32 v38, vcc, v18, v15, vcc
	s_waitcnt vmcnt(0)
	v_sub_u32_e32 v37, v11, v6
	v_add_co_u32_e32 v39, vcc, s50, v16
	v_cmp_lt_i32_e64 s[22:23], 0, v37
	v_addc_co_u32_e32 v40, vcc, v19, v17, vcc
	s_branch .LBB38_14
.LBB38_12:                              ;   in Loop: Header=BB38_14 Depth=3
	s_or_b64 exec, exec, s[24:25]
.LBB38_13:                              ;   in Loop: Header=BB38_14 Depth=3
	s_or_b64 exec, exec, s[26:27]
	v_add_u32_e32 v10, 8, v10
	v_cmp_ge_i32_e32 vcc, v10, v9
	s_or_b64 s[92:93], vcc, s[92:93]
	s_andn2_b64 exec, exec, s[92:93]
	s_cbranch_execz .LBB38_6
.LBB38_14:                              ;   Parent Loop BB38_5 Depth=1
                                        ;     Parent Loop BB38_9 Depth=2
                                        ; =>    This Loop Header: Depth=3
                                        ;         Child Loop BB38_18 Depth 4
                                        ;         Child Loop BB38_53 Depth 4
	;; [unrolled: 1-line block ×5, first 2 shown]
	v_ashrrev_i32_e32 v11, 31, v10
	v_lshlrev_b64 v[14:15], 2, v[10:11]
	v_mov_b32_e32 v6, s57
	v_add_co_u32_e32 v14, vcc, s56, v14
	v_addc_co_u32_e32 v15, vcc, v6, v15, vcc
	global_load_dword v6, v[14:15], off
	v_mov_b32_e32 v19, s37
	v_mov_b32_e32 v20, s39
	s_mov_b32 s75, s74
	v_mov_b32_e32 v22, 0
	s_waitcnt vmcnt(0)
	v_subrev_u32_e32 v14, s33, v6
	v_ashrrev_i32_e32 v15, 31, v14
	v_lshlrev_b64 v[16:17], 2, v[14:15]
	v_add_co_u32_e32 v18, vcc, s36, v16
	v_addc_co_u32_e32 v19, vcc, v19, v17, vcc
	v_add_co_u32_e32 v16, vcc, s38, v16
	v_addc_co_u32_e32 v17, vcc, v20, v17, vcc
	global_load_dword v18, v[18:19], off
	s_nop 0
	global_load_dword v19, v[16:17], off
	v_mov_b32_e32 v6, 0
	v_pk_mov_b32 v[16:17], s[74:75], s[74:75] op_sel:[0,1]
	s_waitcnt vmcnt(1)
	v_subrev_u32_e32 v20, s1, v18
	s_waitcnt vmcnt(0)
	v_sub_u32_e32 v41, v19, v18
	s_and_saveexec_b64 s[24:25], s[22:23]
	s_cbranch_execz .LBB38_22
; %bb.15:                               ;   in Loop: Header=BB38_14 Depth=3
	v_ashrrev_i32_e32 v21, 31, v20
	v_lshlrev_b64 v[16:17], 2, v[20:21]
	v_mov_b32_e32 v6, s41
	v_add_co_u32_e32 v18, vcc, s40, v16
	v_addc_co_u32_e32 v19, vcc, v6, v17, vcc
	v_lshlrev_b64 v[16:17], 3, v[20:21]
	v_mov_b32_e32 v6, s43
	v_add_co_u32_e32 v21, vcc, s42, v16
	v_mov_b32_e32 v22, 0
	v_addc_co_u32_e32 v24, vcc, v6, v17, vcc
	s_mov_b64 s[26:27], 0
	v_pk_mov_b32 v[16:17], s[74:75], s[74:75] op_sel:[0,1]
	v_mov_b32_e32 v6, v22
                                        ; implicit-def: $sgpr28_sgpr29
	s_branch .LBB38_18
.LBB38_16:                              ;   in Loop: Header=BB38_18 Depth=4
	s_or_b64 exec, exec, s[72:73]
	v_cmp_le_i32_e32 vcc, v25, v26
	v_addc_co_u32_e32 v6, vcc, 0, v6, vcc
	v_cmp_ge_i32_e32 vcc, v25, v26
	v_addc_co_u32_e32 v22, vcc, 0, v22, vcc
	v_cmp_ge_i32_e32 vcc, v6, v37
	s_andn2_b64 s[28:29], s[28:29], exec
	s_and_b64 s[68:69], vcc, exec
	s_or_b64 s[28:29], s[28:29], s[68:69]
.LBB38_17:                              ;   in Loop: Header=BB38_18 Depth=4
	s_or_b64 exec, exec, s[30:31]
	s_and_b64 s[30:31], exec, s[28:29]
	s_or_b64 s[26:27], s[30:31], s[26:27]
	s_andn2_b64 exec, exec, s[26:27]
	s_cbranch_execz .LBB38_21
.LBB38_18:                              ;   Parent Loop BB38_5 Depth=1
                                        ;     Parent Loop BB38_9 Depth=2
                                        ;       Parent Loop BB38_14 Depth=3
                                        ; =>      This Inner Loop Header: Depth=4
	v_cmp_lt_i32_e32 vcc, v22, v41
	s_or_b64 s[28:29], s[28:29], exec
	s_and_saveexec_b64 s[30:31], vcc
	s_cbranch_execz .LBB38_17
; %bb.19:                               ;   in Loop: Header=BB38_18 Depth=4
	v_lshlrev_b64 v[26:27], 2, v[6:7]
	v_add_co_u32_e32 v26, vcc, v13, v26
	v_addc_co_u32_e32 v27, vcc, v38, v27, vcc
	v_mov_b32_e32 v23, v7
	global_load_dword v25, v[26:27], off
	v_lshlrev_b64 v[26:27], 2, v[22:23]
	v_add_co_u32_e32 v26, vcc, v18, v26
	v_addc_co_u32_e32 v27, vcc, v19, v27, vcc
	global_load_dword v26, v[26:27], off
	s_waitcnt vmcnt(1)
	v_subrev_u32_e32 v25, s0, v25
	s_waitcnt vmcnt(0)
	v_subrev_u32_e32 v26, s1, v26
	v_cmp_eq_u32_e32 vcc, v25, v26
	s_and_saveexec_b64 s[72:73], vcc
	s_cbranch_execz .LBB38_16
; %bb.20:                               ;   in Loop: Header=BB38_18 Depth=4
	v_lshlrev_b64 v[28:29], 3, v[6:7]
	v_add_co_u32_e32 v28, vcc, v39, v28
	v_addc_co_u32_e32 v29, vcc, v40, v29, vcc
	v_lshlrev_b64 v[42:43], 3, v[22:23]
	v_add_co_u32_e32 v42, vcc, v21, v42
	v_addc_co_u32_e32 v43, vcc, v24, v43, vcc
	global_load_dwordx2 v[42:43], v[42:43], off
	s_nop 0
	global_load_dwordx2 v[28:29], v[28:29], off
	s_waitcnt vmcnt(0)
	v_pk_fma_f32 v[16:17], v[28:29], v[42:43], v[16:17] op_sel_hi:[1,0,1]
	v_pk_fma_f32 v[16:17], v[28:29], v[42:43], v[16:17] op_sel:[1,1,0] op_sel_hi:[0,1,1] neg_lo:[1,0,0]
	s_branch .LBB38_16
.LBB38_21:                              ;   in Loop: Header=BB38_14 Depth=3
	s_or_b64 exec, exec, s[26:27]
.LBB38_22:                              ;   in Loop: Header=BB38_14 Depth=3
	s_or_b64 exec, exec, s[24:25]
	v_lshlrev_b64 v[18:19], 3, v[10:11]
	v_mov_b32_e32 v11, s59
	v_add_co_u32_e32 v18, vcc, s58, v18
	v_addc_co_u32_e32 v19, vcc, v11, v19, vcc
	global_load_dwordx2 v[18:19], v[18:19], off
	v_cmp_le_i32_e64 s[24:25], v8, v14
	v_cmp_gt_i32_e32 vcc, v8, v14
	s_waitcnt vmcnt(0)
	v_pk_add_f32 v[24:25], v[18:19], v[16:17] neg_lo:[0,1] neg_hi:[0,1]
	s_and_saveexec_b64 s[28:29], vcc
	s_cbranch_execz .LBB38_32
; %bb.23:                               ;   in Loop: Header=BB38_14 Depth=3
	v_lshlrev_b64 v[26:27], 3, v[14:15]
	v_mov_b32_e32 v11, s61
	v_add_co_u32_e32 v26, vcc, s60, v26
	v_addc_co_u32_e32 v27, vcc, v11, v27, vcc
	global_load_dwordx2 v[26:27], v[26:27], off
                                        ; implicit-def: $vgpr23
	s_waitcnt vmcnt(0)
	v_cmp_gt_f32_e32 vcc, 0, v26
	v_cndmask_b32_e64 v11, v26, -v26, vcc
	v_cmp_gt_f32_e32 vcc, 0, v27
	v_cndmask_b32_e64 v21, v27, -v27, vcc
	v_cmp_ngt_f32_e32 vcc, v11, v21
	s_and_saveexec_b64 s[26:27], vcc
	s_xor_b64 s[30:31], exec, s[26:27]
	s_cbranch_execz .LBB38_27
; %bb.24:                               ;   in Loop: Header=BB38_14 Depth=3
	v_cmp_neq_f32_e32 vcc, 0, v27
	v_mov_b32_e32 v23, 0
	s_and_saveexec_b64 s[72:73], vcc
	s_cbranch_execz .LBB38_26
; %bb.25:                               ;   in Loop: Header=BB38_14 Depth=3
	v_div_scale_f32 v23, s[26:27], v21, v21, v11
	v_rcp_f32_e32 v28, v23
	v_div_scale_f32 v29, vcc, v11, v21, v11
	v_fma_f32 v42, -v23, v28, 1.0
	v_fmac_f32_e32 v28, v42, v28
	v_mul_f32_e32 v42, v29, v28
	v_fma_f32 v43, -v23, v42, v29
	v_fmac_f32_e32 v42, v43, v28
	v_fma_f32 v23, -v23, v42, v29
	v_div_fmas_f32 v23, v23, v28, v42
	v_div_fixup_f32 v11, v23, v21, v11
	v_fma_f32 v11, v11, v11, 1.0
	v_mul_f32_e32 v23, 0x4f800000, v11
	v_cmp_gt_f32_e32 vcc, s5, v11
	v_cndmask_b32_e32 v11, v11, v23, vcc
	v_sqrt_f32_e32 v23, v11
	v_add_u32_e32 v28, -1, v23
	v_fma_f32 v42, -v28, v23, v11
	v_add_u32_e32 v29, 1, v23
	v_cmp_ge_f32_e64 s[26:27], 0, v42
	v_cndmask_b32_e64 v28, v23, v28, s[26:27]
	v_fma_f32 v23, -v29, v23, v11
	v_cmp_lt_f32_e64 s[26:27], 0, v23
	v_cndmask_b32_e64 v23, v28, v29, s[26:27]
	v_mul_f32_e32 v28, 0x37800000, v23
	v_cndmask_b32_e32 v23, v23, v28, vcc
	v_cmp_class_f32_e32 vcc, v11, v35
	v_cndmask_b32_e32 v11, v23, v11, vcc
	v_mul_f32_e32 v23, v21, v11
.LBB38_26:                              ;   in Loop: Header=BB38_14 Depth=3
	s_or_b64 exec, exec, s[72:73]
                                        ; implicit-def: $vgpr11
                                        ; implicit-def: $vgpr21
.LBB38_27:                              ;   in Loop: Header=BB38_14 Depth=3
	s_andn2_saveexec_b64 s[30:31], s[30:31]
	s_cbranch_execz .LBB38_29
; %bb.28:                               ;   in Loop: Header=BB38_14 Depth=3
	v_div_scale_f32 v23, s[26:27], v11, v11, v21
	v_rcp_f32_e32 v28, v23
	v_div_scale_f32 v29, vcc, v21, v11, v21
	v_fma_f32 v42, -v23, v28, 1.0
	v_fmac_f32_e32 v28, v42, v28
	v_mul_f32_e32 v42, v29, v28
	v_fma_f32 v43, -v23, v42, v29
	v_fmac_f32_e32 v42, v43, v28
	v_fma_f32 v23, -v23, v42, v29
	v_div_fmas_f32 v23, v23, v28, v42
	v_div_fixup_f32 v21, v23, v11, v21
	v_fma_f32 v21, v21, v21, 1.0
	v_mul_f32_e32 v23, 0x4f800000, v21
	v_cmp_gt_f32_e32 vcc, s5, v21
	v_cndmask_b32_e32 v21, v21, v23, vcc
	v_sqrt_f32_e32 v23, v21
	v_add_u32_e32 v28, -1, v23
	v_fma_f32 v42, -v28, v23, v21
	v_add_u32_e32 v29, 1, v23
	v_cmp_ge_f32_e64 s[26:27], 0, v42
	v_cndmask_b32_e64 v28, v23, v28, s[26:27]
	v_fma_f32 v23, -v29, v23, v21
	v_cmp_lt_f32_e64 s[26:27], 0, v23
	v_cndmask_b32_e64 v23, v28, v29, s[26:27]
	v_mul_f32_e32 v28, 0x37800000, v23
	v_cndmask_b32_e32 v23, v23, v28, vcc
	v_cmp_class_f32_e32 vcc, v21, v35
	v_cndmask_b32_e32 v21, v23, v21, vcc
	v_mul_f32_e32 v23, v11, v21
.LBB38_29:                              ;   in Loop: Header=BB38_14 Depth=3
	s_or_b64 exec, exec, s[30:31]
	v_cmp_lt_f32_e32 vcc, 0, v23
	v_mov_b32_e32 v29, 0
	v_mov_b32_e32 v28, 0
	s_and_saveexec_b64 s[26:27], vcc
	s_cbranch_execz .LBB38_31
; %bb.30:                               ;   in Loop: Header=BB38_14 Depth=3
	v_mul_f32_e32 v11, v27, v27
	v_fmac_f32_e32 v11, v26, v26
	v_div_scale_f32 v21, s[30:31], v11, v11, 1.0
	v_rcp_f32_e32 v23, v21
	v_div_scale_f32 v28, vcc, 1.0, v11, 1.0
	v_xor_b32_e32 v43, 0x80000000, v24
	v_fma_f32 v29, -v21, v23, 1.0
	v_fmac_f32_e32 v23, v29, v23
	v_mul_f32_e32 v29, v28, v23
	v_fma_f32 v42, -v21, v29, v28
	v_fmac_f32_e32 v29, v42, v23
	v_fma_f32 v21, -v21, v29, v28
	v_mov_b32_e32 v42, v25
	v_div_fmas_f32 v21, v21, v23, v29
	v_pk_mul_f32 v[42:43], v[42:43], v[26:27] op_sel:[0,1]
	v_div_fixup_f32 v28, v21, v11, 1.0
	v_pk_fma_f32 v[24:25], v[24:25], v[26:27], v[42:43] op_sel_hi:[1,0,1]
	v_pk_mul_f32 v[28:29], v[24:25], v[28:29] op_sel_hi:[1,0]
.LBB38_31:                              ;   in Loop: Header=BB38_14 Depth=3
	s_or_b64 exec, exec, s[26:27]
	v_mov_b32_e32 v25, v29
	v_mov_b32_e32 v24, v28
.LBB38_32:                              ;   in Loop: Header=BB38_14 Depth=3
	s_or_b64 exec, exec, s[28:29]
	v_cmp_gt_f32_e32 vcc, 0, v24
	v_cndmask_b32_e64 v11, v24, -v24, vcc
	v_cmp_gt_f32_e32 vcc, 0, v25
	v_cndmask_b32_e64 v21, v25, -v25, vcc
	v_cmp_ngt_f32_e32 vcc, v11, v21
                                        ; implicit-def: $vgpr23
	s_and_saveexec_b64 s[26:27], vcc
	s_xor_b64 s[28:29], exec, s[26:27]
	s_cbranch_execnz .LBB38_36
; %bb.33:                               ;   in Loop: Header=BB38_14 Depth=3
	s_andn2_saveexec_b64 s[28:29], s[28:29]
	s_cbranch_execnz .LBB38_39
.LBB38_34:                              ;   in Loop: Header=BB38_14 Depth=3
	s_or_b64 exec, exec, s[28:29]
	v_cmp_class_f32_e64 s[26:27], v23, s2
	s_and_saveexec_b64 s[94:95], s[26:27]
	s_cbranch_execnz .LBB38_40
.LBB38_35:                              ;   in Loop: Header=BB38_14 Depth=3
	s_or_b64 exec, exec, s[94:95]
	s_and_b64 s[24:25], s[26:27], s[34:35]
	s_and_saveexec_b64 s[26:27], s[24:25]
	s_cbranch_execz .LBB38_13
	s_branch .LBB38_81
.LBB38_36:                              ;   in Loop: Header=BB38_14 Depth=3
	v_cmp_neq_f32_e32 vcc, 0, v25
	v_mov_b32_e32 v23, 0
	s_and_saveexec_b64 s[30:31], vcc
	s_cbranch_execz .LBB38_38
; %bb.37:                               ;   in Loop: Header=BB38_14 Depth=3
	v_div_scale_f32 v23, s[26:27], v21, v21, v11
	v_rcp_f32_e32 v26, v23
	v_div_scale_f32 v27, vcc, v11, v21, v11
	v_fma_f32 v28, -v23, v26, 1.0
	v_fmac_f32_e32 v26, v28, v26
	v_mul_f32_e32 v28, v27, v26
	v_fma_f32 v29, -v23, v28, v27
	v_fmac_f32_e32 v28, v29, v26
	v_fma_f32 v23, -v23, v28, v27
	v_div_fmas_f32 v23, v23, v26, v28
	v_div_fixup_f32 v11, v23, v21, v11
	v_fma_f32 v11, v11, v11, 1.0
	v_mul_f32_e32 v23, 0x4f800000, v11
	v_cmp_gt_f32_e32 vcc, s5, v11
	v_cndmask_b32_e32 v11, v11, v23, vcc
	v_sqrt_f32_e32 v23, v11
	v_add_u32_e32 v26, -1, v23
	v_fma_f32 v28, -v26, v23, v11
	v_add_u32_e32 v27, 1, v23
	v_cmp_ge_f32_e64 s[26:27], 0, v28
	v_cndmask_b32_e64 v26, v23, v26, s[26:27]
	v_fma_f32 v23, -v27, v23, v11
	v_cmp_lt_f32_e64 s[26:27], 0, v23
	v_cndmask_b32_e64 v23, v26, v27, s[26:27]
	v_mul_f32_e32 v26, 0x37800000, v23
	v_cndmask_b32_e32 v23, v23, v26, vcc
	v_cmp_class_f32_e32 vcc, v11, v35
	v_cndmask_b32_e32 v11, v23, v11, vcc
	v_mul_f32_e32 v23, v21, v11
.LBB38_38:                              ;   in Loop: Header=BB38_14 Depth=3
	s_or_b64 exec, exec, s[30:31]
                                        ; implicit-def: $vgpr11
                                        ; implicit-def: $vgpr21
	s_andn2_saveexec_b64 s[28:29], s[28:29]
	s_cbranch_execz .LBB38_34
.LBB38_39:                              ;   in Loop: Header=BB38_14 Depth=3
	v_div_scale_f32 v23, s[26:27], v11, v11, v21
	v_rcp_f32_e32 v26, v23
	v_div_scale_f32 v27, vcc, v21, v11, v21
	v_fma_f32 v28, -v23, v26, 1.0
	v_fmac_f32_e32 v26, v28, v26
	v_mul_f32_e32 v28, v27, v26
	v_fma_f32 v29, -v23, v28, v27
	v_fmac_f32_e32 v28, v29, v26
	v_fma_f32 v23, -v23, v28, v27
	v_div_fmas_f32 v23, v23, v26, v28
	v_div_fixup_f32 v21, v23, v11, v21
	v_fma_f32 v21, v21, v21, 1.0
	v_mul_f32_e32 v23, 0x4f800000, v21
	v_cmp_gt_f32_e32 vcc, s5, v21
	v_cndmask_b32_e32 v21, v21, v23, vcc
	v_sqrt_f32_e32 v23, v21
	v_add_u32_e32 v26, -1, v23
	v_fma_f32 v27, -v26, v23, v21
	v_cmp_ge_f32_e64 s[26:27], 0, v27
	v_add_u32_e32 v27, 1, v23
	v_cndmask_b32_e64 v26, v23, v26, s[26:27]
	v_fma_f32 v23, -v27, v23, v21
	v_cmp_lt_f32_e64 s[26:27], 0, v23
	v_cndmask_b32_e64 v23, v26, v27, s[26:27]
	v_mul_f32_e32 v26, 0x37800000, v23
	v_cndmask_b32_e32 v23, v23, v26, vcc
	v_cmp_class_f32_e32 vcc, v21, v35
	v_cndmask_b32_e32 v21, v23, v21, vcc
	v_mul_f32_e32 v23, v11, v21
	s_or_b64 exec, exec, s[28:29]
	v_cmp_class_f32_e64 s[26:27], v23, s2
	s_and_saveexec_b64 s[94:95], s[26:27]
	s_cbranch_execz .LBB38_35
.LBB38_40:                              ;   in Loop: Header=BB38_14 Depth=3
	s_and_saveexec_b64 s[28:29], s[24:25]
	s_xor_b64 s[72:73], exec, s[28:29]
	s_cbranch_execz .LBB38_65
; %bb.41:                               ;   in Loop: Header=BB38_14 Depth=3
	v_cmp_ge_i32_e32 vcc, v8, v14
	s_and_saveexec_b64 s[24:25], vcc
	s_xor_b64 s[28:29], exec, s[24:25]
	s_cbranch_execz .LBB38_49
; %bb.42:                               ;   in Loop: Header=BB38_14 Depth=3
	v_lshlrev_b64 v[26:27], 3, v[14:15]
	v_mov_b32_e32 v11, s63
	v_add_co_u32_e32 v28, vcc, s62, v26
	v_addc_co_u32_e32 v29, vcc, v11, v27, vcc
	s_andn2_b64 vcc, exec, s[64:65]
	global_store_dwordx2 v[28:29], v[24:25], off
	s_cbranch_vccnz .LBB38_48
; %bb.43:                               ;   in Loop: Header=BB38_14 Depth=3
	v_mov_b32_e32 v11, s61
	v_add_co_u32_e32 v26, vcc, s60, v26
	v_addc_co_u32_e32 v27, vcc, v11, v27, vcc
	global_load_dwordx2 v[26:27], v[26:27], off
                                        ; implicit-def: $vgpr23
	s_waitcnt vmcnt(0)
	v_sub_f32_e32 v11, v26, v24
	v_sub_f32_e32 v24, v27, v25
	v_cmp_gt_f32_e32 vcc, 0, v11
	v_cndmask_b32_e64 v11, v11, -v11, vcc
	v_cmp_gt_f32_e32 vcc, 0, v24
	v_cndmask_b32_e64 v21, v24, -v24, vcc
	v_cmp_ngt_f32_e32 vcc, v11, v21
	s_and_saveexec_b64 s[24:25], vcc
	s_xor_b64 s[30:31], exec, s[24:25]
	s_cbranch_execnz .LBB38_109
; %bb.44:                               ;   in Loop: Header=BB38_14 Depth=3
	s_andn2_saveexec_b64 s[30:31], s[30:31]
	s_cbranch_execnz .LBB38_112
.LBB38_45:                              ;   in Loop: Header=BB38_14 Depth=3
	s_or_b64 exec, exec, s[30:31]
	v_cmp_class_f32_e64 s[30:31], v23, s2
	s_and_saveexec_b64 s[24:25], s[30:31]
.LBB38_46:                              ;   in Loop: Header=BB38_14 Depth=3
	v_cmp_lt_f32_e32 vcc, v4, v23
	v_cndmask_b32_e32 v4, v4, v23, vcc
.LBB38_47:                              ;   in Loop: Header=BB38_14 Depth=3
	s_or_b64 exec, exec, s[24:25]
.LBB38_48:                              ;   in Loop: Header=BB38_14 Depth=3
                                        ; implicit-def: $vgpr24_vgpr25
.LBB38_49:                              ;   in Loop: Header=BB38_14 Depth=3
	s_andn2_saveexec_b64 s[78:79], s[28:29]
	s_cbranch_execz .LBB38_64
; %bb.50:                               ;   in Loop: Header=BB38_14 Depth=3
	v_cmp_lt_i32_e32 vcc, v22, v41
	s_and_saveexec_b64 s[28:29], vcc
	s_cbranch_execz .LBB38_63
; %bb.51:                               ;   in Loop: Header=BB38_14 Depth=3
	s_mov_b64 s[24:25], 0
	v_mov_b32_e32 v11, v22
                                        ; implicit-def: $sgpr30_sgpr31
                                        ; implicit-def: $sgpr84_sgpr85
                                        ; implicit-def: $sgpr76_sgpr77
	s_branch .LBB38_53
.LBB38_52:                              ;   in Loop: Header=BB38_53 Depth=4
	s_or_b64 exec, exec, s[68:69]
	s_and_b64 s[68:69], exec, s[84:85]
	s_or_b64 s[24:25], s[68:69], s[24:25]
	s_andn2_b64 s[30:31], s[30:31], exec
	s_and_b64 s[68:69], s[76:77], exec
	s_or_b64 s[30:31], s[30:31], s[68:69]
	s_andn2_b64 exec, exec, s[24:25]
	s_cbranch_execz .LBB38_55
.LBB38_53:                              ;   Parent Loop BB38_5 Depth=1
                                        ;     Parent Loop BB38_9 Depth=2
                                        ;       Parent Loop BB38_14 Depth=3
                                        ; =>      This Inner Loop Header: Depth=4
	v_add_u32_e32 v26, v20, v11
	v_ashrrev_i32_e32 v27, 31, v26
	v_lshlrev_b64 v[28:29], 2, v[26:27]
	v_mov_b32_e32 v21, s41
	v_add_co_u32_e32 v28, vcc, s40, v28
	v_addc_co_u32_e32 v29, vcc, v21, v29, vcc
	global_load_dword v21, v[28:29], off
	s_or_b64 s[76:77], s[76:77], exec
	s_or_b64 s[84:85], s[84:85], exec
	s_waitcnt vmcnt(0)
	v_subrev_u32_e32 v21, s1, v21
	v_cmp_ne_u32_e32 vcc, v21, v8
	s_and_saveexec_b64 s[68:69], vcc
	s_cbranch_execz .LBB38_52
; %bb.54:                               ;   in Loop: Header=BB38_53 Depth=4
	v_add_u32_e32 v11, 1, v11
	v_cmp_ge_i32_e32 vcc, v11, v41
	s_andn2_b64 s[84:85], s[84:85], exec
	s_and_b64 vcc, vcc, exec
	s_andn2_b64 s[76:77], s[76:77], exec
	s_or_b64 s[84:85], s[84:85], vcc
	s_branch .LBB38_52
.LBB38_55:                              ;   in Loop: Header=BB38_14 Depth=3
	s_or_b64 exec, exec, s[24:25]
	s_and_saveexec_b64 s[24:25], s[30:31]
	s_xor_b64 s[30:31], exec, s[24:25]
	s_cbranch_execz .LBB38_62
; %bb.56:                               ;   in Loop: Header=BB38_14 Depth=3
	v_lshlrev_b64 v[26:27], 3, v[26:27]
	v_mov_b32_e32 v11, s83
	v_add_co_u32_e32 v28, vcc, s82, v26
	v_addc_co_u32_e32 v29, vcc, v11, v27, vcc
	s_andn2_b64 vcc, exec, s[64:65]
	global_store_dwordx2 v[28:29], v[24:25], off
	s_cbranch_vccnz .LBB38_62
; %bb.57:                               ;   in Loop: Header=BB38_14 Depth=3
	v_mov_b32_e32 v11, s43
	v_add_co_u32_e32 v26, vcc, s42, v26
	v_addc_co_u32_e32 v27, vcc, v11, v27, vcc
	global_load_dwordx2 v[26:27], v[26:27], off
                                        ; implicit-def: $vgpr23
	s_waitcnt vmcnt(0)
	v_sub_f32_e32 v11, v26, v24
	v_sub_f32_e32 v24, v27, v25
	v_cmp_gt_f32_e32 vcc, 0, v11
	v_cndmask_b32_e64 v11, v11, -v11, vcc
	v_cmp_gt_f32_e32 vcc, 0, v24
	v_cndmask_b32_e64 v21, v24, -v24, vcc
	v_cmp_ngt_f32_e32 vcc, v11, v21
	s_and_saveexec_b64 s[24:25], vcc
	s_xor_b64 s[76:77], exec, s[24:25]
	s_cbranch_execnz .LBB38_117
; %bb.58:                               ;   in Loop: Header=BB38_14 Depth=3
	s_andn2_saveexec_b64 s[76:77], s[76:77]
	s_cbranch_execnz .LBB38_120
.LBB38_59:                              ;   in Loop: Header=BB38_14 Depth=3
	s_or_b64 exec, exec, s[76:77]
	v_cmp_class_f32_e64 s[68:69], v23, s2
	s_and_saveexec_b64 s[24:25], s[68:69]
.LBB38_60:                              ;   in Loop: Header=BB38_14 Depth=3
	v_cmp_lt_f32_e32 vcc, v4, v23
	v_cndmask_b32_e32 v4, v4, v23, vcc
.LBB38_61:                              ;   in Loop: Header=BB38_14 Depth=3
	s_or_b64 exec, exec, s[24:25]
.LBB38_62:                              ;   in Loop: Header=BB38_14 Depth=3
	s_or_b64 exec, exec, s[30:31]
.LBB38_63:                              ;   in Loop: Header=BB38_14 Depth=3
	s_or_b64 exec, exec, s[28:29]
.LBB38_64:                              ;   in Loop: Header=BB38_14 Depth=3
	s_or_b64 exec, exec, s[78:79]
                                        ; implicit-def: $vgpr24_vgpr25
.LBB38_65:                              ;   in Loop: Header=BB38_14 Depth=3
	s_andn2_saveexec_b64 s[72:73], s[72:73]
	s_cbranch_execz .LBB38_80
; %bb.66:                               ;   in Loop: Header=BB38_14 Depth=3
	v_cmp_lt_i32_e32 vcc, v6, v37
	s_and_saveexec_b64 s[78:79], vcc
	s_cbranch_execz .LBB38_79
; %bb.67:                               ;   in Loop: Header=BB38_14 Depth=3
	s_mov_b64 s[24:25], 0
	v_mov_b32_e32 v11, v6
                                        ; implicit-def: $sgpr28_sgpr29
                                        ; implicit-def: $sgpr76_sgpr77
                                        ; implicit-def: $sgpr30_sgpr31
	s_branch .LBB38_69
.LBB38_68:                              ;   in Loop: Header=BB38_69 Depth=4
	s_or_b64 exec, exec, s[84:85]
	s_and_b64 s[68:69], exec, s[76:77]
	s_or_b64 s[24:25], s[68:69], s[24:25]
	s_andn2_b64 s[28:29], s[28:29], exec
	s_and_b64 s[68:69], s[30:31], exec
	s_or_b64 s[28:29], s[28:29], s[68:69]
	s_andn2_b64 exec, exec, s[24:25]
	s_cbranch_execz .LBB38_71
.LBB38_69:                              ;   Parent Loop BB38_5 Depth=1
                                        ;     Parent Loop BB38_9 Depth=2
                                        ;       Parent Loop BB38_14 Depth=3
                                        ; =>      This Inner Loop Header: Depth=4
	v_add_u32_e32 v26, v12, v11
	v_ashrrev_i32_e32 v27, 31, v26
	v_lshlrev_b64 v[28:29], 2, v[26:27]
	v_mov_b32_e32 v21, s49
	v_add_co_u32_e32 v28, vcc, s48, v28
	v_addc_co_u32_e32 v29, vcc, v21, v29, vcc
	global_load_dword v21, v[28:29], off
	s_or_b64 s[30:31], s[30:31], exec
	s_or_b64 s[76:77], s[76:77], exec
	s_waitcnt vmcnt(0)
	v_subrev_u32_e32 v21, s0, v21
	v_cmp_ne_u32_e32 vcc, v21, v14
	s_and_saveexec_b64 s[84:85], vcc
	s_cbranch_execz .LBB38_68
; %bb.70:                               ;   in Loop: Header=BB38_69 Depth=4
	v_add_u32_e32 v11, 1, v11
	v_cmp_ge_i32_e32 vcc, v11, v37
	s_andn2_b64 s[68:69], s[76:77], exec
	s_and_b64 s[76:77], vcc, exec
	s_andn2_b64 s[30:31], s[30:31], exec
	s_or_b64 s[76:77], s[68:69], s[76:77]
	s_branch .LBB38_68
.LBB38_71:                              ;   in Loop: Header=BB38_14 Depth=3
	s_or_b64 exec, exec, s[24:25]
	s_and_saveexec_b64 s[24:25], s[28:29]
	s_xor_b64 s[28:29], exec, s[24:25]
	s_cbranch_execz .LBB38_78
; %bb.72:                               ;   in Loop: Header=BB38_14 Depth=3
	v_lshlrev_b64 v[26:27], 3, v[26:27]
	v_mov_b32_e32 v11, s81
	v_add_co_u32_e32 v28, vcc, s80, v26
	v_addc_co_u32_e32 v29, vcc, v11, v27, vcc
	s_andn2_b64 vcc, exec, s[64:65]
	global_store_dwordx2 v[28:29], v[24:25], off
	s_cbranch_vccnz .LBB38_78
; %bb.73:                               ;   in Loop: Header=BB38_14 Depth=3
	v_mov_b32_e32 v11, s51
	v_add_co_u32_e32 v26, vcc, s50, v26
	v_addc_co_u32_e32 v27, vcc, v11, v27, vcc
	global_load_dwordx2 v[26:27], v[26:27], off
                                        ; implicit-def: $vgpr23
	s_waitcnt vmcnt(0)
	v_sub_f32_e32 v11, v26, v24
	v_sub_f32_e32 v24, v27, v25
	v_cmp_gt_f32_e32 vcc, 0, v11
	v_cndmask_b32_e64 v11, v11, -v11, vcc
	v_cmp_gt_f32_e32 vcc, 0, v24
	v_cndmask_b32_e64 v21, v24, -v24, vcc
	v_cmp_ngt_f32_e32 vcc, v11, v21
	s_and_saveexec_b64 s[24:25], vcc
	s_xor_b64 s[30:31], exec, s[24:25]
	s_cbranch_execnz .LBB38_113
; %bb.74:                               ;   in Loop: Header=BB38_14 Depth=3
	s_andn2_saveexec_b64 s[30:31], s[30:31]
	s_cbranch_execnz .LBB38_116
.LBB38_75:                              ;   in Loop: Header=BB38_14 Depth=3
	s_or_b64 exec, exec, s[30:31]
	v_cmp_class_f32_e64 s[30:31], v23, s2
	s_and_saveexec_b64 s[24:25], s[30:31]
.LBB38_76:                              ;   in Loop: Header=BB38_14 Depth=3
	v_cmp_lt_f32_e32 vcc, v4, v23
	v_cndmask_b32_e32 v4, v4, v23, vcc
.LBB38_77:                              ;   in Loop: Header=BB38_14 Depth=3
	s_or_b64 exec, exec, s[24:25]
.LBB38_78:                              ;   in Loop: Header=BB38_14 Depth=3
	s_or_b64 exec, exec, s[28:29]
.LBB38_79:                              ;   in Loop: Header=BB38_14 Depth=3
	s_or_b64 exec, exec, s[78:79]
.LBB38_80:                              ;   in Loop: Header=BB38_14 Depth=3
	s_or_b64 exec, exec, s[72:73]
	s_or_b64 exec, exec, s[94:95]
	s_and_b64 s[24:25], s[26:27], s[34:35]
	s_and_saveexec_b64 s[26:27], s[24:25]
	s_cbranch_execz .LBB38_13
.LBB38_81:                              ;   in Loop: Header=BB38_14 Depth=3
	v_cmp_ge_i32_e32 vcc, v22, v41
	s_and_saveexec_b64 s[24:25], vcc
	s_xor_b64 s[24:25], exec, s[24:25]
	s_cbranch_execnz .LBB38_88
; %bb.82:                               ;   in Loop: Header=BB38_14 Depth=3
	s_andn2_saveexec_b64 s[24:25], s[24:25]
	s_cbranch_execnz .LBB38_102
.LBB38_83:                              ;   in Loop: Header=BB38_14 Depth=3
	s_or_b64 exec, exec, s[24:25]
	v_cmp_eq_u32_e32 vcc, v8, v14
	s_and_saveexec_b64 s[24:25], vcc
	s_cbranch_execz .LBB38_85
.LBB38_84:                              ;   in Loop: Header=BB38_14 Depth=3
	v_lshlrev_b64 v[14:15], 3, v[14:15]
	v_mov_b32_e32 v6, s61
	v_add_co_u32_e32 v14, vcc, s60, v14
	v_addc_co_u32_e32 v15, vcc, v6, v15, vcc
	global_load_dwordx2 v[14:15], v[14:15], off
	s_waitcnt vmcnt(0)
	v_pk_add_f32 v[16:17], v[16:17], v[14:15]
.LBB38_85:                              ;   in Loop: Header=BB38_14 Depth=3
	s_or_b64 exec, exec, s[24:25]
	v_pk_add_f32 v[14:15], v[18:19], v[16:17] neg_lo:[0,1] neg_hi:[0,1]
	v_cmp_gt_f32_e32 vcc, 0, v14
	v_cndmask_b32_e64 v6, v14, -v14, vcc
	v_cmp_gt_f32_e32 vcc, 0, v15
	v_cndmask_b32_e64 v11, v15, -v15, vcc
	v_cmp_ngt_f32_e32 vcc, v6, v11
                                        ; implicit-def: $vgpr14
	s_and_saveexec_b64 s[24:25], vcc
	s_xor_b64 s[28:29], exec, s[24:25]
	s_cbranch_execnz .LBB38_93
; %bb.86:                               ;   in Loop: Header=BB38_14 Depth=3
	s_andn2_saveexec_b64 s[28:29], s[28:29]
	s_cbranch_execnz .LBB38_96
.LBB38_87:                              ;   in Loop: Header=BB38_14 Depth=3
	s_or_b64 exec, exec, s[28:29]
	v_cmp_class_f32_e64 s[28:29], v14, s2
	s_and_saveexec_b64 s[24:25], s[28:29]
	s_cbranch_execz .LBB38_12
	s_branch .LBB38_97
.LBB38_88:                              ;   in Loop: Header=BB38_14 Depth=3
	v_cmp_lt_i32_e32 vcc, v6, v37
	s_and_saveexec_b64 s[28:29], vcc
	s_cbranch_execz .LBB38_101
; %bb.89:                               ;   in Loop: Header=BB38_14 Depth=3
	s_mov_b64 s[30:31], 0
                                        ; implicit-def: $sgpr72_sgpr73
                                        ; implicit-def: $sgpr78_sgpr79
                                        ; implicit-def: $sgpr76_sgpr77
	s_branch .LBB38_91
.LBB38_90:                              ;   in Loop: Header=BB38_91 Depth=4
	s_or_b64 exec, exec, s[68:69]
	s_and_b64 s[68:69], exec, s[78:79]
	s_or_b64 s[30:31], s[68:69], s[30:31]
	s_andn2_b64 s[68:69], s[72:73], exec
	s_and_b64 s[72:73], s[76:77], exec
	s_or_b64 s[72:73], s[68:69], s[72:73]
	s_andn2_b64 exec, exec, s[30:31]
	s_cbranch_execz .LBB38_98
.LBB38_91:                              ;   Parent Loop BB38_5 Depth=1
                                        ;     Parent Loop BB38_9 Depth=2
                                        ;       Parent Loop BB38_14 Depth=3
                                        ; =>      This Inner Loop Header: Depth=4
	v_add_u32_e32 v20, v12, v6
	v_ashrrev_i32_e32 v21, 31, v20
	v_lshlrev_b64 v[22:23], 2, v[20:21]
	v_mov_b32_e32 v11, s49
	v_add_co_u32_e32 v22, vcc, s48, v22
	v_addc_co_u32_e32 v23, vcc, v11, v23, vcc
	global_load_dword v11, v[22:23], off
	s_or_b64 s[76:77], s[76:77], exec
	s_or_b64 s[78:79], s[78:79], exec
	s_waitcnt vmcnt(0)
	v_subrev_u32_e32 v11, s0, v11
	v_cmp_ne_u32_e32 vcc, v11, v14
	s_and_saveexec_b64 s[68:69], vcc
	s_cbranch_execz .LBB38_90
; %bb.92:                               ;   in Loop: Header=BB38_91 Depth=4
	v_add_u32_e32 v6, 1, v6
	v_cmp_ge_i32_e32 vcc, v6, v37
	s_andn2_b64 s[78:79], s[78:79], exec
	s_and_b64 s[84:85], vcc, exec
	s_andn2_b64 s[76:77], s[76:77], exec
	s_or_b64 s[78:79], s[78:79], s[84:85]
	s_branch .LBB38_90
.LBB38_93:                              ;   in Loop: Header=BB38_14 Depth=3
	v_cmp_neq_f32_e32 vcc, 0, v15
	v_mov_b32_e32 v14, 0
	s_and_saveexec_b64 s[30:31], vcc
	s_cbranch_execz .LBB38_95
; %bb.94:                               ;   in Loop: Header=BB38_14 Depth=3
	v_div_scale_f32 v14, s[24:25], v11, v11, v6
	v_rcp_f32_e32 v15, v14
	v_div_scale_f32 v16, vcc, v6, v11, v6
	v_fma_f32 v17, -v14, v15, 1.0
	v_fmac_f32_e32 v15, v17, v15
	v_mul_f32_e32 v17, v16, v15
	v_fma_f32 v18, -v14, v17, v16
	v_fmac_f32_e32 v17, v18, v15
	v_fma_f32 v14, -v14, v17, v16
	v_div_fmas_f32 v14, v14, v15, v17
	v_div_fixup_f32 v6, v14, v11, v6
	v_fma_f32 v6, v6, v6, 1.0
	v_mul_f32_e32 v14, 0x4f800000, v6
	v_cmp_gt_f32_e32 vcc, s5, v6
	v_cndmask_b32_e32 v6, v6, v14, vcc
	v_sqrt_f32_e32 v14, v6
	v_add_u32_e32 v15, -1, v14
	v_fma_f32 v17, -v15, v14, v6
	v_add_u32_e32 v16, 1, v14
	v_cmp_ge_f32_e64 s[24:25], 0, v17
	v_cndmask_b32_e64 v15, v14, v15, s[24:25]
	v_fma_f32 v14, -v16, v14, v6
	v_cmp_lt_f32_e64 s[24:25], 0, v14
	v_cndmask_b32_e64 v14, v15, v16, s[24:25]
	v_mul_f32_e32 v15, 0x37800000, v14
	v_cndmask_b32_e32 v14, v14, v15, vcc
	v_cmp_class_f32_e32 vcc, v6, v35
	v_cndmask_b32_e32 v6, v14, v6, vcc
	v_mul_f32_e32 v14, v11, v6
.LBB38_95:                              ;   in Loop: Header=BB38_14 Depth=3
	s_or_b64 exec, exec, s[30:31]
                                        ; implicit-def: $vgpr6
                                        ; implicit-def: $vgpr11
	s_andn2_saveexec_b64 s[28:29], s[28:29]
	s_cbranch_execz .LBB38_87
.LBB38_96:                              ;   in Loop: Header=BB38_14 Depth=3
	v_div_scale_f32 v14, s[24:25], v6, v6, v11
	v_rcp_f32_e32 v15, v14
	v_div_scale_f32 v16, vcc, v11, v6, v11
	v_fma_f32 v17, -v14, v15, 1.0
	v_fmac_f32_e32 v15, v17, v15
	v_mul_f32_e32 v17, v16, v15
	v_fma_f32 v18, -v14, v17, v16
	v_fmac_f32_e32 v17, v18, v15
	v_fma_f32 v14, -v14, v17, v16
	v_div_fmas_f32 v14, v14, v15, v17
	v_div_fixup_f32 v11, v14, v6, v11
	v_fma_f32 v11, v11, v11, 1.0
	v_mul_f32_e32 v14, 0x4f800000, v11
	v_cmp_gt_f32_e32 vcc, s5, v11
	v_cndmask_b32_e32 v11, v11, v14, vcc
	v_sqrt_f32_e32 v14, v11
	v_add_u32_e32 v15, -1, v14
	v_fma_f32 v16, -v15, v14, v11
	v_cmp_ge_f32_e64 s[24:25], 0, v16
	v_add_u32_e32 v16, 1, v14
	v_cndmask_b32_e64 v15, v14, v15, s[24:25]
	v_fma_f32 v14, -v16, v14, v11
	v_cmp_lt_f32_e64 s[24:25], 0, v14
	v_cndmask_b32_e64 v14, v15, v16, s[24:25]
	v_mul_f32_e32 v15, 0x37800000, v14
	v_cndmask_b32_e32 v14, v14, v15, vcc
	v_cmp_class_f32_e32 vcc, v11, v35
	v_cndmask_b32_e32 v11, v14, v11, vcc
	v_mul_f32_e32 v14, v6, v11
	s_or_b64 exec, exec, s[28:29]
	v_cmp_class_f32_e64 s[28:29], v14, s2
	s_and_saveexec_b64 s[24:25], s[28:29]
	s_cbranch_execz .LBB38_12
.LBB38_97:                              ;   in Loop: Header=BB38_14 Depth=3
	v_cmp_lt_f32_e32 vcc, v2, v14
	v_cndmask_b32_e32 v2, v2, v14, vcc
	s_branch .LBB38_12
.LBB38_98:                              ;   in Loop: Header=BB38_14 Depth=3
	s_or_b64 exec, exec, s[30:31]
	s_and_saveexec_b64 s[30:31], s[72:73]
	s_xor_b64 s[30:31], exec, s[30:31]
	s_cbranch_execz .LBB38_100
; %bb.99:                               ;   in Loop: Header=BB38_14 Depth=3
	v_lshlrev_b64 v[20:21], 3, v[20:21]
	v_mov_b32_e32 v6, s51
	v_add_co_u32_e32 v20, vcc, s50, v20
	v_addc_co_u32_e32 v21, vcc, v6, v21, vcc
	v_lshlrev_b64 v[22:23], 3, v[14:15]
	v_mov_b32_e32 v6, s61
	v_add_co_u32_e32 v22, vcc, s60, v22
	v_addc_co_u32_e32 v23, vcc, v6, v23, vcc
	global_load_dwordx2 v[20:21], v[20:21], off
	s_nop 0
	global_load_dwordx2 v[22:23], v[22:23], off
	s_waitcnt vmcnt(0)
	v_pk_mul_f32 v[24:25], v[22:23], v[20:21] op_sel:[1,1] op_sel_hi:[1,0] neg_lo:[0,1]
	v_pk_fma_f32 v[20:21], v[20:21], v[22:23], v[24:25] op_sel_hi:[1,0,1]
	v_pk_add_f32 v[16:17], v[16:17], v[20:21]
.LBB38_100:                             ;   in Loop: Header=BB38_14 Depth=3
	s_or_b64 exec, exec, s[30:31]
.LBB38_101:                             ;   in Loop: Header=BB38_14 Depth=3
	s_or_b64 exec, exec, s[28:29]
                                        ; implicit-def: $vgpr22
                                        ; implicit-def: $vgpr20
                                        ; implicit-def: $vgpr41
	s_andn2_saveexec_b64 s[24:25], s[24:25]
	s_cbranch_execz .LBB38_83
.LBB38_102:                             ;   in Loop: Header=BB38_14 Depth=3
	s_mov_b64 s[28:29], 0
                                        ; implicit-def: $sgpr30_sgpr31
                                        ; implicit-def: $sgpr76_sgpr77
                                        ; implicit-def: $sgpr72_sgpr73
	s_branch .LBB38_104
.LBB38_103:                             ;   in Loop: Header=BB38_104 Depth=4
	s_or_b64 exec, exec, s[68:69]
	s_and_b64 s[68:69], exec, s[76:77]
	s_or_b64 s[28:29], s[68:69], s[28:29]
	s_andn2_b64 s[30:31], s[30:31], exec
	s_and_b64 s[68:69], s[72:73], exec
	s_or_b64 s[30:31], s[30:31], s[68:69]
	s_andn2_b64 exec, exec, s[28:29]
	s_cbranch_execz .LBB38_106
.LBB38_104:                             ;   Parent Loop BB38_5 Depth=1
                                        ;     Parent Loop BB38_9 Depth=2
                                        ;       Parent Loop BB38_14 Depth=3
                                        ; =>      This Inner Loop Header: Depth=4
	v_add_u32_e32 v24, v20, v22
	v_ashrrev_i32_e32 v25, 31, v24
	v_lshlrev_b64 v[26:27], 2, v[24:25]
	v_mov_b32_e32 v6, s41
	v_add_co_u32_e32 v26, vcc, s40, v26
	v_addc_co_u32_e32 v27, vcc, v6, v27, vcc
	global_load_dword v6, v[26:27], off
	s_or_b64 s[72:73], s[72:73], exec
	s_or_b64 s[76:77], s[76:77], exec
	s_waitcnt vmcnt(0)
	v_subrev_u32_e32 v6, s1, v6
	v_cmp_ne_u32_e32 vcc, v6, v8
	s_and_saveexec_b64 s[68:69], vcc
	s_cbranch_execz .LBB38_103
; %bb.105:                              ;   in Loop: Header=BB38_104 Depth=4
	v_add_u32_e32 v22, 1, v22
	v_cmp_ge_i32_e32 vcc, v22, v41
	s_andn2_b64 s[76:77], s[76:77], exec
	s_and_b64 s[78:79], vcc, exec
	s_andn2_b64 s[72:73], s[72:73], exec
	s_or_b64 s[76:77], s[76:77], s[78:79]
	s_branch .LBB38_103
.LBB38_106:                             ;   in Loop: Header=BB38_14 Depth=3
	s_or_b64 exec, exec, s[28:29]
	s_and_saveexec_b64 s[28:29], s[30:31]
	s_xor_b64 s[28:29], exec, s[28:29]
	s_cbranch_execz .LBB38_108
; %bb.107:                              ;   in Loop: Header=BB38_14 Depth=3
	v_lshlrev_b64 v[20:21], 3, v[24:25]
	v_mov_b32_e32 v6, s43
	v_add_co_u32_e32 v20, vcc, s42, v20
	v_addc_co_u32_e32 v21, vcc, v6, v21, vcc
	global_load_dwordx2 v[20:21], v[20:21], off
	s_waitcnt vmcnt(0)
	v_pk_add_f32 v[16:17], v[16:17], v[20:21]
.LBB38_108:                             ;   in Loop: Header=BB38_14 Depth=3
	s_or_b64 exec, exec, s[28:29]
	s_or_b64 exec, exec, s[24:25]
	v_cmp_eq_u32_e32 vcc, v8, v14
	s_and_saveexec_b64 s[24:25], vcc
	s_cbranch_execnz .LBB38_84
	s_branch .LBB38_85
.LBB38_109:                             ;   in Loop: Header=BB38_14 Depth=3
	v_cmp_neq_f32_e32 vcc, 0, v24
	v_mov_b32_e32 v23, 0
	s_and_saveexec_b64 s[76:77], vcc
	s_cbranch_execz .LBB38_111
; %bb.110:                              ;   in Loop: Header=BB38_14 Depth=3
	v_div_scale_f32 v23, s[24:25], v21, v21, v11
	v_rcp_f32_e32 v24, v23
	v_div_scale_f32 v25, vcc, v11, v21, v11
	v_fma_f32 v26, -v23, v24, 1.0
	v_fmac_f32_e32 v24, v26, v24
	v_mul_f32_e32 v26, v25, v24
	v_fma_f32 v27, -v23, v26, v25
	v_fmac_f32_e32 v26, v27, v24
	v_fma_f32 v23, -v23, v26, v25
	v_div_fmas_f32 v23, v23, v24, v26
	v_div_fixup_f32 v11, v23, v21, v11
	v_fma_f32 v11, v11, v11, 1.0
	v_mul_f32_e32 v23, 0x4f800000, v11
	v_cmp_gt_f32_e32 vcc, s5, v11
	v_cndmask_b32_e32 v11, v11, v23, vcc
	v_sqrt_f32_e32 v23, v11
	v_add_u32_e32 v24, -1, v23
	v_fma_f32 v26, -v24, v23, v11
	v_add_u32_e32 v25, 1, v23
	v_cmp_ge_f32_e64 s[24:25], 0, v26
	v_cndmask_b32_e64 v24, v23, v24, s[24:25]
	v_fma_f32 v23, -v25, v23, v11
	v_cmp_lt_f32_e64 s[24:25], 0, v23
	v_cndmask_b32_e64 v23, v24, v25, s[24:25]
	v_mul_f32_e32 v24, 0x37800000, v23
	v_cndmask_b32_e32 v23, v23, v24, vcc
	v_cmp_class_f32_e32 vcc, v11, v35
	v_cndmask_b32_e32 v11, v23, v11, vcc
	v_mul_f32_e32 v23, v21, v11
.LBB38_111:                             ;   in Loop: Header=BB38_14 Depth=3
	s_or_b64 exec, exec, s[76:77]
                                        ; implicit-def: $vgpr11
                                        ; implicit-def: $vgpr21
	s_andn2_saveexec_b64 s[30:31], s[30:31]
	s_cbranch_execz .LBB38_45
.LBB38_112:                             ;   in Loop: Header=BB38_14 Depth=3
	v_div_scale_f32 v23, s[24:25], v11, v11, v21
	v_rcp_f32_e32 v24, v23
	v_div_scale_f32 v25, vcc, v21, v11, v21
	v_fma_f32 v26, -v23, v24, 1.0
	v_fmac_f32_e32 v24, v26, v24
	v_mul_f32_e32 v26, v25, v24
	v_fma_f32 v27, -v23, v26, v25
	v_fmac_f32_e32 v26, v27, v24
	v_fma_f32 v23, -v23, v26, v25
	v_div_fmas_f32 v23, v23, v24, v26
	v_div_fixup_f32 v21, v23, v11, v21
	v_fma_f32 v21, v21, v21, 1.0
	v_mul_f32_e32 v23, 0x4f800000, v21
	v_cmp_gt_f32_e32 vcc, s5, v21
	v_cndmask_b32_e32 v21, v21, v23, vcc
	v_sqrt_f32_e32 v23, v21
	v_add_u32_e32 v24, -1, v23
	v_fma_f32 v26, -v24, v23, v21
	v_add_u32_e32 v25, 1, v23
	v_cmp_ge_f32_e64 s[24:25], 0, v26
	v_cndmask_b32_e64 v24, v23, v24, s[24:25]
	v_fma_f32 v23, -v25, v23, v21
	v_cmp_lt_f32_e64 s[24:25], 0, v23
	v_cndmask_b32_e64 v23, v24, v25, s[24:25]
	v_mul_f32_e32 v24, 0x37800000, v23
	v_cndmask_b32_e32 v23, v23, v24, vcc
	v_cmp_class_f32_e32 vcc, v21, v35
	v_cndmask_b32_e32 v21, v23, v21, vcc
	v_mul_f32_e32 v23, v11, v21
	s_or_b64 exec, exec, s[30:31]
	v_cmp_class_f32_e64 s[30:31], v23, s2
	s_and_saveexec_b64 s[24:25], s[30:31]
	s_cbranch_execnz .LBB38_46
	s_branch .LBB38_47
.LBB38_113:                             ;   in Loop: Header=BB38_14 Depth=3
	v_cmp_neq_f32_e32 vcc, 0, v24
	v_mov_b32_e32 v23, 0
	s_and_saveexec_b64 s[76:77], vcc
	s_cbranch_execz .LBB38_115
; %bb.114:                              ;   in Loop: Header=BB38_14 Depth=3
	v_div_scale_f32 v23, s[24:25], v21, v21, v11
	v_rcp_f32_e32 v24, v23
	v_div_scale_f32 v25, vcc, v11, v21, v11
	v_fma_f32 v26, -v23, v24, 1.0
	v_fmac_f32_e32 v24, v26, v24
	v_mul_f32_e32 v26, v25, v24
	v_fma_f32 v27, -v23, v26, v25
	v_fmac_f32_e32 v26, v27, v24
	v_fma_f32 v23, -v23, v26, v25
	v_div_fmas_f32 v23, v23, v24, v26
	v_div_fixup_f32 v11, v23, v21, v11
	v_fma_f32 v11, v11, v11, 1.0
	v_mul_f32_e32 v23, 0x4f800000, v11
	v_cmp_gt_f32_e32 vcc, s5, v11
	v_cndmask_b32_e32 v11, v11, v23, vcc
	v_sqrt_f32_e32 v23, v11
	v_add_u32_e32 v24, -1, v23
	v_fma_f32 v26, -v24, v23, v11
	v_add_u32_e32 v25, 1, v23
	v_cmp_ge_f32_e64 s[24:25], 0, v26
	v_cndmask_b32_e64 v24, v23, v24, s[24:25]
	v_fma_f32 v23, -v25, v23, v11
	v_cmp_lt_f32_e64 s[24:25], 0, v23
	v_cndmask_b32_e64 v23, v24, v25, s[24:25]
	v_mul_f32_e32 v24, 0x37800000, v23
	v_cndmask_b32_e32 v23, v23, v24, vcc
	v_cmp_class_f32_e32 vcc, v11, v35
	v_cndmask_b32_e32 v11, v23, v11, vcc
	v_mul_f32_e32 v23, v21, v11
.LBB38_115:                             ;   in Loop: Header=BB38_14 Depth=3
	s_or_b64 exec, exec, s[76:77]
                                        ; implicit-def: $vgpr11
                                        ; implicit-def: $vgpr21
	s_andn2_saveexec_b64 s[30:31], s[30:31]
	s_cbranch_execz .LBB38_75
.LBB38_116:                             ;   in Loop: Header=BB38_14 Depth=3
	v_div_scale_f32 v23, s[24:25], v11, v11, v21
	v_rcp_f32_e32 v24, v23
	v_div_scale_f32 v25, vcc, v21, v11, v21
	v_fma_f32 v26, -v23, v24, 1.0
	v_fmac_f32_e32 v24, v26, v24
	v_mul_f32_e32 v26, v25, v24
	v_fma_f32 v27, -v23, v26, v25
	v_fmac_f32_e32 v26, v27, v24
	v_fma_f32 v23, -v23, v26, v25
	v_div_fmas_f32 v23, v23, v24, v26
	v_div_fixup_f32 v21, v23, v11, v21
	v_fma_f32 v21, v21, v21, 1.0
	v_mul_f32_e32 v23, 0x4f800000, v21
	v_cmp_gt_f32_e32 vcc, s5, v21
	v_cndmask_b32_e32 v21, v21, v23, vcc
	v_sqrt_f32_e32 v23, v21
	v_add_u32_e32 v24, -1, v23
	v_fma_f32 v26, -v24, v23, v21
	v_add_u32_e32 v25, 1, v23
	v_cmp_ge_f32_e64 s[24:25], 0, v26
	v_cndmask_b32_e64 v24, v23, v24, s[24:25]
	v_fma_f32 v23, -v25, v23, v21
	v_cmp_lt_f32_e64 s[24:25], 0, v23
	v_cndmask_b32_e64 v23, v24, v25, s[24:25]
	v_mul_f32_e32 v24, 0x37800000, v23
	v_cndmask_b32_e32 v23, v23, v24, vcc
	v_cmp_class_f32_e32 vcc, v21, v35
	v_cndmask_b32_e32 v21, v23, v21, vcc
	v_mul_f32_e32 v23, v11, v21
	s_or_b64 exec, exec, s[30:31]
	v_cmp_class_f32_e64 s[30:31], v23, s2
	s_and_saveexec_b64 s[24:25], s[30:31]
	s_cbranch_execnz .LBB38_76
	s_branch .LBB38_77
.LBB38_117:                             ;   in Loop: Header=BB38_14 Depth=3
	v_cmp_neq_f32_e32 vcc, 0, v24
	v_mov_b32_e32 v23, 0
	s_and_saveexec_b64 s[84:85], vcc
	s_cbranch_execz .LBB38_119
; %bb.118:                              ;   in Loop: Header=BB38_14 Depth=3
	v_div_scale_f32 v23, s[24:25], v21, v21, v11
	v_rcp_f32_e32 v24, v23
	v_div_scale_f32 v25, vcc, v11, v21, v11
	v_fma_f32 v26, -v23, v24, 1.0
	v_fmac_f32_e32 v24, v26, v24
	v_mul_f32_e32 v26, v25, v24
	v_fma_f32 v27, -v23, v26, v25
	v_fmac_f32_e32 v26, v27, v24
	v_fma_f32 v23, -v23, v26, v25
	v_div_fmas_f32 v23, v23, v24, v26
	v_div_fixup_f32 v11, v23, v21, v11
	v_fma_f32 v11, v11, v11, 1.0
	v_mul_f32_e32 v23, 0x4f800000, v11
	v_cmp_gt_f32_e32 vcc, s5, v11
	v_cndmask_b32_e32 v11, v11, v23, vcc
	v_sqrt_f32_e32 v23, v11
	v_add_u32_e32 v24, -1, v23
	v_fma_f32 v26, -v24, v23, v11
	v_add_u32_e32 v25, 1, v23
	v_cmp_ge_f32_e64 s[24:25], 0, v26
	v_cndmask_b32_e64 v24, v23, v24, s[24:25]
	v_fma_f32 v23, -v25, v23, v11
	v_cmp_lt_f32_e64 s[24:25], 0, v23
	v_cndmask_b32_e64 v23, v24, v25, s[24:25]
	v_mul_f32_e32 v24, 0x37800000, v23
	v_cndmask_b32_e32 v23, v23, v24, vcc
	v_cmp_class_f32_e32 vcc, v11, v35
	v_cndmask_b32_e32 v11, v23, v11, vcc
	v_mul_f32_e32 v23, v21, v11
.LBB38_119:                             ;   in Loop: Header=BB38_14 Depth=3
	s_or_b64 exec, exec, s[84:85]
                                        ; implicit-def: $vgpr11
                                        ; implicit-def: $vgpr21
	s_andn2_saveexec_b64 s[76:77], s[76:77]
	s_cbranch_execz .LBB38_59
.LBB38_120:                             ;   in Loop: Header=BB38_14 Depth=3
	v_div_scale_f32 v23, s[24:25], v11, v11, v21
	v_rcp_f32_e32 v24, v23
	v_div_scale_f32 v25, vcc, v21, v11, v21
	v_fma_f32 v26, -v23, v24, 1.0
	v_fmac_f32_e32 v24, v26, v24
	v_mul_f32_e32 v26, v25, v24
	v_fma_f32 v27, -v23, v26, v25
	v_fmac_f32_e32 v26, v27, v24
	v_fma_f32 v23, -v23, v26, v25
	v_div_fmas_f32 v23, v23, v24, v26
	v_div_fixup_f32 v21, v23, v11, v21
	v_fma_f32 v21, v21, v21, 1.0
	v_mul_f32_e32 v23, 0x4f800000, v21
	v_cmp_gt_f32_e32 vcc, s5, v21
	v_cndmask_b32_e32 v21, v21, v23, vcc
	v_sqrt_f32_e32 v23, v21
	v_add_u32_e32 v24, -1, v23
	v_fma_f32 v26, -v24, v23, v21
	v_add_u32_e32 v25, 1, v23
	v_cmp_ge_f32_e64 s[24:25], 0, v26
	v_cndmask_b32_e64 v24, v23, v24, s[24:25]
	v_fma_f32 v23, -v25, v23, v21
	v_cmp_lt_f32_e64 s[24:25], 0, v23
	v_cndmask_b32_e64 v23, v24, v25, s[24:25]
	v_mul_f32_e32 v24, 0x37800000, v23
	v_cndmask_b32_e32 v23, v23, v24, vcc
	v_cmp_class_f32_e32 vcc, v21, v35
	v_cndmask_b32_e32 v21, v23, v21, vcc
	v_mul_f32_e32 v23, v11, v21
	s_or_b64 exec, exec, s[76:77]
	v_cmp_class_f32_e64 s[68:69], v23, s2
	s_and_saveexec_b64 s[24:25], s[68:69]
	s_cbranch_execnz .LBB38_60
	s_branch .LBB38_61
.LBB38_121:                             ;   in Loop: Header=BB38_5 Depth=1
	s_and_b64 vcc, exec, s[64:65]
	s_cbranch_vccz .LBB38_139
; %bb.122:                              ;   in Loop: Header=BB38_5 Depth=1
	v_mov_b32_dpp v6, v4 row_shr:1 row_mask:0xf bank_mask:0xf
	v_cmp_lt_f32_e32 vcc, v4, v6
	v_cndmask_b32_e32 v4, v4, v6, vcc
	s_nop 1
	v_mov_b32_dpp v6, v4 row_shr:2 row_mask:0xf bank_mask:0xf
	v_cmp_lt_f32_e32 vcc, v4, v6
	v_cndmask_b32_e32 v4, v4, v6, vcc
	s_nop 1
	v_mov_b32_dpp v6, v4 row_shr:4 row_mask:0xf bank_mask:0xe
	s_mov_b64 s[22:23], exec
	v_readlane_b32 s6, v44, 12
	v_readlane_b32 s7, v44, 13
	s_and_b64 s[6:7], s[22:23], s[6:7]
	s_mov_b64 exec, s[6:7]
	s_cbranch_execz .LBB38_124
; %bb.123:                              ;   in Loop: Header=BB38_5 Depth=1
	v_cmp_lt_f32_e32 vcc, v4, v6
	v_cndmask_b32_e32 v4, v4, v6, vcc
	ds_write_b32 v32, v4
.LBB38_124:                             ;   in Loop: Header=BB38_5 Depth=1
	s_or_b64 exec, exec, s[22:23]
	s_waitcnt lgkmcnt(0)
	s_barrier
	s_mov_b64 s[22:23], exec
	v_readlane_b32 s6, v44, 14
	v_readlane_b32 s7, v44, 15
	s_and_b64 s[6:7], s[22:23], s[6:7]
	s_mov_b64 exec, s[6:7]
	s_cbranch_execz .LBB38_126
; %bb.125:                              ;   in Loop: Header=BB38_5 Depth=1
	ds_read2st64_b32 v[8:9], v1 offset1:1
	s_waitcnt lgkmcnt(0)
	v_cmp_lt_f32_e32 vcc, v8, v9
	v_cndmask_b32_e32 v4, v8, v9, vcc
	ds_write_b32 v1, v4
.LBB38_126:                             ;   in Loop: Header=BB38_5 Depth=1
	s_or_b64 exec, exec, s[22:23]
	s_waitcnt lgkmcnt(0)
	s_barrier
	s_and_saveexec_b64 s[22:23], s[8:9]
	s_cbranch_execz .LBB38_128
; %bb.127:                              ;   in Loop: Header=BB38_5 Depth=1
	ds_read2_b32 v[8:9], v1 offset1:32
	s_waitcnt lgkmcnt(0)
	v_cmp_lt_f32_e32 vcc, v8, v9
	v_cndmask_b32_e32 v4, v8, v9, vcc
	ds_write_b32 v1, v4
.LBB38_128:                             ;   in Loop: Header=BB38_5 Depth=1
	s_or_b64 exec, exec, s[22:23]
	s_waitcnt lgkmcnt(0)
	s_barrier
	s_and_saveexec_b64 s[22:23], s[10:11]
	s_cbranch_execz .LBB38_130
; %bb.129:                              ;   in Loop: Header=BB38_5 Depth=1
	ds_read2_b32 v[8:9], v1 offset1:16
	s_waitcnt lgkmcnt(0)
	v_cmp_lt_f32_e32 vcc, v8, v9
	v_cndmask_b32_e32 v4, v8, v9, vcc
	ds_write_b32 v1, v4
.LBB38_130:                             ;   in Loop: Header=BB38_5 Depth=1
	;; [unrolled: 12-line block ×5, first 2 shown]
	s_or_b64 exec, exec, s[22:23]
	s_waitcnt lgkmcnt(0)
	s_barrier
	s_and_saveexec_b64 s[22:23], s[18:19]
	s_cbranch_execz .LBB38_138
; %bb.137:                              ;   in Loop: Header=BB38_5 Depth=1
	ds_read_b64 v[8:9], v36
	s_waitcnt lgkmcnt(0)
	v_cmp_lt_f32_e32 vcc, v8, v9
	v_cndmask_b32_e32 v4, v8, v9, vcc
	ds_write_b32 v36, v4
.LBB38_138:                             ;   in Loop: Header=BB38_5 Depth=1
	s_or_b64 exec, exec, s[22:23]
	v_readlane_b32 s6, v44, 4
	v_readlane_b32 s7, v44, 5
	s_waitcnt lgkmcnt(0)
	s_barrier
	ds_read_b32 v4, v36
	s_load_dword s22, s[6:7], 0x0
	s_waitcnt lgkmcnt(0)
	v_div_scale_f32 v6, s[6:7], s22, s22, v4
	v_rcp_f32_e32 v8, v6
	v_div_scale_f32 v9, vcc, v4, s22, v4
	v_fma_f32 v10, -v6, v8, 1.0
	v_fmac_f32_e32 v8, v10, v8
	v_mul_f32_e32 v10, v9, v8
	v_fma_f32 v11, -v6, v10, v9
	v_fmac_f32_e32 v10, v11, v8
	v_fma_f32 v6, -v6, v10, v9
	v_div_fmas_f32 v6, v6, v8, v10
	v_div_fixup_f32 v4, v6, s22, v4
.LBB38_139:                             ;   in Loop: Header=BB38_5 Depth=1
	s_andn2_b64 vcc, exec, s[34:35]
	s_cbranch_vccnz .LBB38_157
; %bb.140:                              ;   in Loop: Header=BB38_5 Depth=1
	v_mov_b32_dpp v6, v2 row_shr:1 row_mask:0xf bank_mask:0xf
	v_cmp_lt_f32_e32 vcc, v2, v6
	v_cndmask_b32_e32 v2, v2, v6, vcc
	s_nop 1
	v_mov_b32_dpp v6, v2 row_shr:2 row_mask:0xf bank_mask:0xf
	v_cmp_lt_f32_e32 vcc, v2, v6
	v_cndmask_b32_e32 v2, v2, v6, vcc
	s_nop 1
	v_mov_b32_dpp v6, v2 row_shr:4 row_mask:0xf bank_mask:0xe
	s_mov_b64 s[22:23], exec
	v_readlane_b32 s6, v44, 12
	v_readlane_b32 s7, v44, 13
	s_and_b64 s[6:7], s[22:23], s[6:7]
	s_mov_b64 exec, s[6:7]
	s_cbranch_execz .LBB38_142
; %bb.141:                              ;   in Loop: Header=BB38_5 Depth=1
	v_cmp_lt_f32_e32 vcc, v2, v6
	v_cndmask_b32_e32 v2, v2, v6, vcc
	ds_write_b32 v32, v2
.LBB38_142:                             ;   in Loop: Header=BB38_5 Depth=1
	s_or_b64 exec, exec, s[22:23]
	s_waitcnt lgkmcnt(0)
	s_barrier
	s_mov_b64 s[22:23], exec
	v_readlane_b32 s6, v44, 14
	v_readlane_b32 s7, v44, 15
	s_and_b64 s[6:7], s[22:23], s[6:7]
	s_mov_b64 exec, s[6:7]
	s_cbranch_execz .LBB38_144
; %bb.143:                              ;   in Loop: Header=BB38_5 Depth=1
	ds_read2st64_b32 v[8:9], v1 offset1:1
	s_waitcnt lgkmcnt(0)
	v_cmp_lt_f32_e32 vcc, v8, v9
	v_cndmask_b32_e32 v2, v8, v9, vcc
	ds_write_b32 v1, v2
.LBB38_144:                             ;   in Loop: Header=BB38_5 Depth=1
	s_or_b64 exec, exec, s[22:23]
	s_waitcnt lgkmcnt(0)
	s_barrier
	s_and_saveexec_b64 s[22:23], s[8:9]
	s_cbranch_execz .LBB38_146
; %bb.145:                              ;   in Loop: Header=BB38_5 Depth=1
	ds_read2_b32 v[8:9], v1 offset1:32
	s_waitcnt lgkmcnt(0)
	v_cmp_lt_f32_e32 vcc, v8, v9
	v_cndmask_b32_e32 v2, v8, v9, vcc
	ds_write_b32 v1, v2
.LBB38_146:                             ;   in Loop: Header=BB38_5 Depth=1
	s_or_b64 exec, exec, s[22:23]
	s_waitcnt lgkmcnt(0)
	s_barrier
	s_and_saveexec_b64 s[22:23], s[10:11]
	s_cbranch_execz .LBB38_148
; %bb.147:                              ;   in Loop: Header=BB38_5 Depth=1
	ds_read2_b32 v[8:9], v1 offset1:16
	s_waitcnt lgkmcnt(0)
	v_cmp_lt_f32_e32 vcc, v8, v9
	v_cndmask_b32_e32 v2, v8, v9, vcc
	ds_write_b32 v1, v2
.LBB38_148:                             ;   in Loop: Header=BB38_5 Depth=1
	;; [unrolled: 12-line block ×5, first 2 shown]
	s_or_b64 exec, exec, s[22:23]
	s_waitcnt lgkmcnt(0)
	s_barrier
	s_and_saveexec_b64 s[22:23], s[18:19]
	s_cbranch_execz .LBB38_156
; %bb.155:                              ;   in Loop: Header=BB38_5 Depth=1
	ds_read_b64 v[8:9], v36
	s_waitcnt lgkmcnt(0)
	v_cmp_lt_f32_e32 vcc, v8, v9
	v_cndmask_b32_e32 v2, v8, v9, vcc
	ds_write_b32 v36, v2
.LBB38_156:                             ;   in Loop: Header=BB38_5 Depth=1
	s_or_b64 exec, exec, s[22:23]
	v_readlane_b32 s6, v44, 4
	v_readlane_b32 s7, v44, 5
	s_waitcnt lgkmcnt(0)
	s_barrier
	ds_read_b32 v2, v36
	s_load_dword s22, s[6:7], 0x0
	s_waitcnt lgkmcnt(0)
	v_div_scale_f32 v6, s[6:7], s22, s22, v2
	v_rcp_f32_e32 v8, v6
	v_div_scale_f32 v9, vcc, v2, s22, v2
	v_fma_f32 v10, -v6, v8, 1.0
	v_fmac_f32_e32 v8, v10, v8
	v_mul_f32_e32 v10, v9, v8
	v_fma_f32 v11, -v6, v10, v9
	v_fmac_f32_e32 v10, v11, v8
	v_fma_f32 v6, -v6, v10, v9
	v_div_fmas_f32 v6, v6, v8, v10
	v_div_fixup_f32 v2, v6, s22, v2
.LBB38_157:                             ;   in Loop: Header=BB38_5 Depth=1
	s_mov_b64 s[22:23], exec
	v_readlane_b32 s6, v44, 10
	v_readlane_b32 s7, v44, 11
	s_and_b64 s[6:7], s[22:23], s[6:7]
	s_mov_b64 exec, s[6:7]
	s_cbranch_execz .LBB38_169
; %bb.158:                              ;   in Loop: Header=BB38_5 Depth=1
	s_mov_b64 s[24:25], 0
	v_mov_b32_e32 v8, v30
	s_branch .LBB38_160
.LBB38_159:                             ;   in Loop: Header=BB38_160 Depth=2
	s_or_b64 exec, exec, s[26:27]
	v_add_u32_e32 v8, 0x80, v8
	v_cmp_le_u32_e32 vcc, s4, v8
	s_or_b64 s[24:25], vcc, s[24:25]
	s_andn2_b64 exec, exec, s[24:25]
	s_cbranch_execz .LBB38_169
.LBB38_160:                             ;   Parent Loop BB38_5 Depth=1
                                        ; =>  This Loop Header: Depth=2
                                        ;       Child Loop BB38_163 Depth 3
                                        ;       Child Loop BB38_166 Depth 3
	v_cmp_gt_i32_e32 vcc, s71, v8
	s_and_saveexec_b64 s[26:27], vcc
	s_cbranch_execz .LBB38_159
; %bb.161:                              ;   in Loop: Header=BB38_160 Depth=2
	v_ashrrev_i32_e32 v9, 31, v8
	v_lshlrev_b64 v[10:11], 2, v[8:9]
	v_mov_b32_e32 v6, s45
	v_add_co_u32_e32 v12, vcc, s44, v10
	v_addc_co_u32_e32 v13, vcc, v6, v11, vcc
	global_load_dword v6, v[12:13], off
	v_mov_b32_e32 v13, s47
	v_add_co_u32_e32 v12, vcc, s46, v10
	v_addc_co_u32_e32 v13, vcc, v13, v11, vcc
	global_load_dword v13, v[12:13], off
	s_waitcnt vmcnt(1)
	v_add_u32_e32 v12, v33, v6
	s_waitcnt vmcnt(0)
	v_subrev_u32_e32 v6, s0, v13
	v_cmp_lt_i32_e32 vcc, v12, v6
	s_and_saveexec_b64 s[28:29], vcc
	s_cbranch_execz .LBB38_164
; %bb.162:                              ;   in Loop: Header=BB38_160 Depth=2
	v_ashrrev_i32_e32 v13, 31, v12
	v_lshlrev_b64 v[16:17], 3, v[12:13]
	v_mov_b32_e32 v13, s81
	v_add_co_u32_e32 v14, vcc, s80, v16
	v_addc_co_u32_e32 v15, vcc, v13, v17, vcc
	v_mov_b32_e32 v13, s51
	v_add_co_u32_e32 v16, vcc, s50, v16
	v_addc_co_u32_e32 v17, vcc, v13, v17, vcc
	s_mov_b64 s[30:31], 0
.LBB38_163:                             ;   Parent Loop BB38_5 Depth=1
                                        ;     Parent Loop BB38_160 Depth=2
                                        ; =>    This Inner Loop Header: Depth=3
	global_load_dwordx2 v[18:19], v[14:15], off
	v_add_co_u32_e32 v14, vcc, 64, v14
	v_add_u32_e32 v12, 8, v12
	v_addc_co_u32_e32 v15, vcc, 0, v15, vcc
	v_cmp_ge_i32_e32 vcc, v12, v6
	s_or_b64 s[30:31], vcc, s[30:31]
	s_waitcnt vmcnt(0)
	global_store_dwordx2 v[16:17], v[18:19], off
	v_add_co_u32_e32 v16, vcc, 64, v16
	v_addc_co_u32_e32 v17, vcc, 0, v17, vcc
	s_andn2_b64 exec, exec, s[30:31]
	s_cbranch_execnz .LBB38_163
.LBB38_164:                             ;   in Loop: Header=BB38_160 Depth=2
	s_or_b64 exec, exec, s[28:29]
	v_mov_b32_e32 v6, s37
	v_add_co_u32_e32 v12, vcc, s36, v10
	v_addc_co_u32_e32 v13, vcc, v6, v11, vcc
	global_load_dword v6, v[12:13], off
	v_mov_b32_e32 v12, s39
	v_add_co_u32_e32 v10, vcc, s38, v10
	v_addc_co_u32_e32 v11, vcc, v12, v11, vcc
	global_load_dword v11, v[10:11], off
	s_waitcnt vmcnt(1)
	v_add_u32_e32 v10, v34, v6
	s_waitcnt vmcnt(0)
	v_subrev_u32_e32 v6, s1, v11
	v_cmp_lt_i32_e32 vcc, v10, v6
	s_and_saveexec_b64 s[28:29], vcc
	s_cbranch_execz .LBB38_167
; %bb.165:                              ;   in Loop: Header=BB38_160 Depth=2
	v_ashrrev_i32_e32 v11, 31, v10
	v_lshlrev_b64 v[14:15], 3, v[10:11]
	v_mov_b32_e32 v11, s83
	v_add_co_u32_e32 v12, vcc, s82, v14
	v_addc_co_u32_e32 v13, vcc, v11, v15, vcc
	v_mov_b32_e32 v11, s43
	v_add_co_u32_e32 v14, vcc, s42, v14
	v_addc_co_u32_e32 v15, vcc, v11, v15, vcc
	s_mov_b64 s[30:31], 0
.LBB38_166:                             ;   Parent Loop BB38_5 Depth=1
                                        ;     Parent Loop BB38_160 Depth=2
                                        ; =>    This Inner Loop Header: Depth=3
	global_load_dwordx2 v[16:17], v[12:13], off
	v_add_co_u32_e32 v12, vcc, 64, v12
	v_add_u32_e32 v10, 8, v10
	v_addc_co_u32_e32 v13, vcc, 0, v13, vcc
	v_cmp_ge_i32_e32 vcc, v10, v6
	s_or_b64 s[30:31], vcc, s[30:31]
	s_waitcnt vmcnt(0)
	global_store_dwordx2 v[14:15], v[16:17], off
	v_add_co_u32_e32 v14, vcc, 64, v14
	v_addc_co_u32_e32 v15, vcc, 0, v15, vcc
	s_andn2_b64 exec, exec, s[30:31]
	s_cbranch_execnz .LBB38_166
.LBB38_167:                             ;   in Loop: Header=BB38_160 Depth=2
	s_or_b64 exec, exec, s[28:29]
	s_and_b64 exec, exec, s[20:21]
	s_cbranch_execz .LBB38_159
; %bb.168:                              ;   in Loop: Header=BB38_160 Depth=2
	v_lshlrev_b64 v[10:11], 3, v[8:9]
	v_mov_b32_e32 v6, s63
	v_add_co_u32_e32 v12, vcc, s62, v10
	v_addc_co_u32_e32 v13, vcc, v6, v11, vcc
	global_load_dwordx2 v[12:13], v[12:13], off
	v_mov_b32_e32 v6, s61
	v_add_co_u32_e32 v10, vcc, s60, v10
	v_addc_co_u32_e32 v11, vcc, v6, v11, vcc
	s_waitcnt vmcnt(0)
	global_store_dwordx2 v[10:11], v[12:13], off
	s_branch .LBB38_159
.LBB38_169:                             ;   in Loop: Header=BB38_5 Depth=1
	s_or_b64 exec, exec, s[22:23]
	s_mov_b64 s[24:25], -1
	s_mov_b64 s[22:23], -1
	s_and_b64 vcc, exec, s[66:67]
	s_cbranch_vccz .LBB38_179
; %bb.170:                              ;   in Loop: Header=BB38_5 Depth=1
	v_readlane_b32 s6, v44, 16
	v_readlane_b32 s7, v44, 17
	s_and_b64 vcc, exec, s[6:7]
                                        ; implicit-def: $sgpr26_sgpr27
	s_cbranch_vccz .LBB38_176
; %bb.171:                              ;   in Loop: Header=BB38_5 Depth=1
	v_readlane_b32 s6, v44, 6
	v_readlane_b32 s7, v44, 7
	s_and_b64 vcc, exec, s[6:7]
                                        ; implicit-def: $sgpr26_sgpr27
	s_cbranch_vccz .LBB38_173
; %bb.172:                              ;   in Loop: Header=BB38_5 Depth=1
	v_cmp_ge_f32_e32 vcc, s70, v2
	s_mov_b64 s[22:23], 0
	s_and_b64 s[26:27], vcc, exec
.LBB38_173:                             ;   in Loop: Header=BB38_5 Depth=1
	s_andn2_b64 vcc, exec, s[22:23]
	s_cbranch_vccnz .LBB38_175
; %bb.174:                              ;   in Loop: Header=BB38_5 Depth=1
	v_cmp_ge_f32_e32 vcc, s70, v4
	s_andn2_b64 s[6:7], s[26:27], exec
	s_and_b64 s[22:23], vcc, exec
	s_or_b64 s[26:27], s[6:7], s[22:23]
.LBB38_175:                             ;   in Loop: Header=BB38_5 Depth=1
	s_mov_b64 s[22:23], 0
.LBB38_176:                             ;   in Loop: Header=BB38_5 Depth=1
	s_andn2_b64 vcc, exec, s[22:23]
	s_cbranch_vccnz .LBB38_178
; %bb.177:                              ;   in Loop: Header=BB38_5 Depth=1
	v_cmp_ge_f32_e32 vcc, s70, v4
	v_cmp_ge_f32_e64 s[22:23], s70, v2
	s_and_b64 s[6:7], vcc, s[22:23]
	s_andn2_b64 s[22:23], s[26:27], exec
	s_and_b64 s[6:7], s[6:7], exec
	s_or_b64 s[26:27], s[22:23], s[6:7]
.LBB38_178:                             ;   in Loop: Header=BB38_5 Depth=1
	s_xor_b64 s[22:23], s[26:27], -1
.LBB38_179:                             ;   in Loop: Header=BB38_5 Depth=1
	v_mov_b32_e32 v6, s3
	s_and_saveexec_b64 s[26:27], s[22:23]
	s_cbranch_execz .LBB38_4
; %bb.180:                              ;   in Loop: Header=BB38_5 Depth=1
	v_readlane_b32 s6, v44, 0
	s_add_i32 s3, s3, 1
	v_readlane_b32 s7, v44, 1
	s_cmp_eq_u32 s3, s7
	s_mov_b32 s23, s7
	s_cselect_b64 s[6:7], -1, 0
	v_mov_b32_e32 v6, s23
	s_orn2_b64 s[24:25], s[6:7], exec
	s_branch .LBB38_4
.LBB38_181:
	s_or_b64 exec, exec, s[86:87]
	v_readlane_b32 s8, v44, 8
	v_readlane_b32 s9, v44, 9
	s_load_dwordx4 s[20:23], s[8:9], 0xb8
	v_readlane_b32 s2, v44, 2
	v_readlane_b32 s3, v44, 3
	s_or_b64 exec, exec, s[2:3]
	s_andn2_b64 vcc, exec, s[66:67]
	s_cbranch_vccnz .LBB38_2
.LBB38_182:
	v_mov_b32_dpp v7, v6 row_shr:1 row_mask:0xf bank_mask:0xf
	v_max_i32_e32 v6, v6, v7
	v_cmp_eq_u32_e32 vcc, 7, v5
	s_nop 0
	v_mov_b32_dpp v7, v6 row_shr:2 row_mask:0xf bank_mask:0xf
	v_max_i32_e32 v6, v6, v7
	s_nop 1
	v_mov_b32_dpp v7, v6 row_shr:4 row_mask:0xf bank_mask:0xe
	s_and_saveexec_b64 s[0:1], vcc
	s_cbranch_execz .LBB38_184
; %bb.183:
	v_lshlrev_b32_e32 v3, 2, v3
	v_max_i32_e32 v5, v6, v7
	ds_write_b32 v3, v5 offset:512
.LBB38_184:
	s_or_b64 exec, exec, s[0:1]
	v_cmp_gt_u32_e32 vcc, 64, v0
	s_waitcnt lgkmcnt(0)
	s_barrier
	s_and_saveexec_b64 s[0:1], vcc
	s_cbranch_execz .LBB38_186
; %bb.185:
	ds_read2st64_b32 v[6:7], v1 offset0:2 offset1:3
	s_waitcnt lgkmcnt(0)
	v_max_i32_e32 v3, v6, v7
	ds_write_b32 v1, v3 offset:512
.LBB38_186:
	s_or_b64 exec, exec, s[0:1]
	v_cmp_gt_u32_e32 vcc, 32, v0
	s_waitcnt lgkmcnt(0)
	s_barrier
	s_and_saveexec_b64 s[0:1], vcc
	s_cbranch_execz .LBB38_188
; %bb.187:
	ds_read2_b32 v[6:7], v1 offset0:128 offset1:160
	s_waitcnt lgkmcnt(0)
	v_max_i32_e32 v3, v6, v7
	ds_write_b32 v1, v3 offset:512
.LBB38_188:
	s_or_b64 exec, exec, s[0:1]
	v_cmp_gt_u32_e32 vcc, 16, v0
	s_waitcnt lgkmcnt(0)
	s_barrier
	s_and_saveexec_b64 s[0:1], vcc
	s_cbranch_execz .LBB38_190
; %bb.189:
	ds_read2_b32 v[6:7], v1 offset0:128 offset1:144
	s_waitcnt lgkmcnt(0)
	v_max_i32_e32 v3, v6, v7
	ds_write_b32 v1, v3 offset:512
.LBB38_190:
	;; [unrolled: 12-line block ×5, first 2 shown]
	s_or_b64 exec, exec, s[0:1]
	v_cmp_eq_u32_e32 vcc, 0, v0
	s_waitcnt lgkmcnt(0)
	s_barrier
	s_and_saveexec_b64 s[0:1], vcc
	s_cbranch_execz .LBB38_198
; %bb.197:
	v_mov_b32_e32 v1, 0
	ds_read_b64 v[6:7], v1 offset:512
	s_waitcnt lgkmcnt(0)
	v_max_i32_e32 v3, v6, v7
	ds_write_b32 v1, v3 offset:512
.LBB38_198:
	s_or_b64 exec, exec, s[0:1]
	s_waitcnt lgkmcnt(0)
	s_barrier
	s_and_saveexec_b64 s[0:1], vcc
	s_cbranch_execz .LBB38_201
; %bb.199:
	v_mbcnt_lo_u32_b32 v1, exec_lo, 0
	v_mbcnt_hi_u32_b32 v1, exec_hi, v1
	v_cmp_eq_u32_e32 vcc, 0, v1
	s_and_b64 exec, exec, vcc
	s_cbranch_execz .LBB38_201
; %bb.200:
	v_mov_b32_e32 v1, 0
	ds_read_b32 v3, v1 offset:512
	s_load_dwordx2 s[2:3], s[8:9], 0x8
	s_waitcnt lgkmcnt(0)
	v_add_u32_e32 v3, 1, v3
	global_atomic_smax v1, v3, s[2:3]
.LBB38_201:
	s_or_b64 exec, exec, s[0:1]
	v_cmp_eq_u32_e32 vcc, 0, v0
	s_and_b64 s[0:1], vcc, s[64:65]
	s_and_saveexec_b64 s[4:5], s[0:1]
	s_cbranch_execz .LBB38_206
.LBB38_202:
	v_mov_b32_e32 v0, 0
	s_waitcnt lgkmcnt(0)
	global_load_dword v5, v0, s[20:21] glc
	s_brev_b32 s2, 1
	v_cmp_eq_f32_e64 s[0:1], 0, v4
	s_mov_b64 s[6:7], 0
                                        ; implicit-def: $sgpr8_sgpr9
                                        ; implicit-def: $sgpr12_sgpr13
	s_waitcnt vmcnt(0)
	v_cmp_eq_u32_e64 s[10:11], s2, v5
	s_branch .LBB38_204
.LBB38_203:                             ;   in Loop: Header=BB38_204 Depth=1
	s_or_b64 exec, exec, s[14:15]
	s_and_b64 s[2:3], exec, s[8:9]
	s_or_b64 s[6:7], s[2:3], s[6:7]
	s_andn2_b64 s[2:3], s[10:11], exec
	s_and_b64 s[10:11], s[12:13], exec
	s_or_b64 s[10:11], s[2:3], s[10:11]
	s_andn2_b64 exec, exec, s[6:7]
	s_cbranch_execz .LBB38_206
.LBB38_204:                             ; =>This Inner Loop Header: Depth=1
	v_cmp_lt_f32_e64 s[2:3], v5, v4
	s_and_b64 s[14:15], s[0:1], s[10:11]
	s_or_b64 s[2:3], s[2:3], s[14:15]
	s_andn2_b64 s[12:13], s[12:13], exec
	s_or_b64 s[8:9], s[8:9], exec
	s_and_saveexec_b64 s[14:15], s[2:3]
	s_cbranch_execz .LBB38_203
; %bb.205:                              ;   in Loop: Header=BB38_204 Depth=1
	global_atomic_cmpswap v1, v0, v[4:5], s[20:21] glc
	s_andn2_b64 s[12:13], s[12:13], exec
	s_andn2_b64 s[8:9], s[8:9], exec
                                        ; implicit-def: $sgpr10_sgpr11
	s_waitcnt vmcnt(0)
	v_cmp_eq_u32_e64 s[2:3], v1, v5
	v_cndmask_b32_e64 v3, v1, v5, s[2:3]
	v_cmp_class_f32_e64 s[16:17], v3, 32
	s_and_b64 s[2:3], s[2:3], exec
	s_and_b64 s[16:17], s[16:17], exec
	s_or_b64 s[8:9], s[8:9], s[2:3]
	s_or_b64 s[12:13], s[12:13], s[16:17]
	v_mov_b32_e32 v5, v1
	s_branch .LBB38_203
.LBB38_206:
	s_or_b64 exec, exec, s[4:5]
	s_and_b64 s[0:1], vcc, s[34:35]
	s_and_saveexec_b64 s[2:3], s[0:1]
	s_cbranch_execz .LBB38_211
; %bb.207:
	v_mov_b32_e32 v0, 0
	s_waitcnt lgkmcnt(0)
	global_load_dword v3, v0, s[22:23] glc
	s_brev_b32 s0, 1
	v_cmp_eq_f32_e32 vcc, 0, v2
	s_mov_b64 s[2:3], 0
                                        ; implicit-def: $sgpr4_sgpr5
                                        ; implicit-def: $sgpr8_sgpr9
	s_waitcnt vmcnt(0)
	v_cmp_eq_u32_e64 s[6:7], s0, v3
	s_branch .LBB38_209
.LBB38_208:                             ;   in Loop: Header=BB38_209 Depth=1
	s_or_b64 exec, exec, s[10:11]
	s_and_b64 s[0:1], exec, s[4:5]
	s_or_b64 s[2:3], s[0:1], s[2:3]
	s_andn2_b64 s[0:1], s[6:7], exec
	s_and_b64 s[6:7], s[8:9], exec
	s_or_b64 s[6:7], s[0:1], s[6:7]
	s_andn2_b64 exec, exec, s[2:3]
	s_cbranch_execz .LBB38_211
.LBB38_209:                             ; =>This Inner Loop Header: Depth=1
	v_cmp_lt_f32_e64 s[0:1], v3, v2
	s_and_b64 s[10:11], vcc, s[6:7]
	s_or_b64 s[0:1], s[0:1], s[10:11]
	s_andn2_b64 s[8:9], s[8:9], exec
	s_or_b64 s[4:5], s[4:5], exec
	s_and_saveexec_b64 s[10:11], s[0:1]
	s_cbranch_execz .LBB38_208
; %bb.210:                              ;   in Loop: Header=BB38_209 Depth=1
	global_atomic_cmpswap v1, v0, v[2:3], s[22:23] glc
	s_andn2_b64 s[8:9], s[8:9], exec
	s_andn2_b64 s[4:5], s[4:5], exec
                                        ; implicit-def: $sgpr6_sgpr7
	s_waitcnt vmcnt(0)
	v_cmp_eq_u32_e64 s[0:1], v1, v3
	v_cndmask_b32_e64 v3, v1, v3, s[0:1]
	v_cmp_class_f32_e64 s[12:13], v3, 32
	s_and_b64 s[0:1], s[0:1], exec
	s_and_b64 s[12:13], s[12:13], exec
	s_or_b64 s[4:5], s[4:5], s[0:1]
	s_or_b64 s[8:9], s[8:9], s[12:13]
	v_mov_b32_e32 v3, v1
	s_branch .LBB38_208
.LBB38_211:
	s_endpgm
	.section	.rodata,"a",@progbits
	.p2align	6, 0x0
	.amdhsa_kernel _ZN9rocsparseL6kernelILi1024ELi8E21rocsparse_complex_numIfEiiEEvbbbT3_PS3_NS_15floating_traitsIT1_E6data_tES3_T2_PKS9_SB_PKS3_PKS6_21rocsparse_index_base_SB_SB_SD_PS6_SH_SG_SB_SB_SD_SH_SH_SG_SH_SH_PS8_SI_PKS8_
		.amdhsa_group_segment_fixed_size 1024
		.amdhsa_private_segment_fixed_size 0
		.amdhsa_kernarg_size 208
		.amdhsa_user_sgpr_count 6
		.amdhsa_user_sgpr_private_segment_buffer 1
		.amdhsa_user_sgpr_dispatch_ptr 0
		.amdhsa_user_sgpr_queue_ptr 0
		.amdhsa_user_sgpr_kernarg_segment_ptr 1
		.amdhsa_user_sgpr_dispatch_id 0
		.amdhsa_user_sgpr_flat_scratch_init 0
		.amdhsa_user_sgpr_kernarg_preload_length 0
		.amdhsa_user_sgpr_kernarg_preload_offset 0
		.amdhsa_user_sgpr_private_segment_size 0
		.amdhsa_uses_dynamic_stack 0
		.amdhsa_system_sgpr_private_segment_wavefront_offset 0
		.amdhsa_system_sgpr_workgroup_id_x 1
		.amdhsa_system_sgpr_workgroup_id_y 0
		.amdhsa_system_sgpr_workgroup_id_z 0
		.amdhsa_system_sgpr_workgroup_info 0
		.amdhsa_system_vgpr_workitem_id 0
		.amdhsa_next_free_vgpr 45
		.amdhsa_next_free_sgpr 96
		.amdhsa_accum_offset 48
		.amdhsa_reserve_vcc 1
		.amdhsa_reserve_flat_scratch 0
		.amdhsa_float_round_mode_32 0
		.amdhsa_float_round_mode_16_64 0
		.amdhsa_float_denorm_mode_32 3
		.amdhsa_float_denorm_mode_16_64 3
		.amdhsa_dx10_clamp 1
		.amdhsa_ieee_mode 1
		.amdhsa_fp16_overflow 0
		.amdhsa_tg_split 0
		.amdhsa_exception_fp_ieee_invalid_op 0
		.amdhsa_exception_fp_denorm_src 0
		.amdhsa_exception_fp_ieee_div_zero 0
		.amdhsa_exception_fp_ieee_overflow 0
		.amdhsa_exception_fp_ieee_underflow 0
		.amdhsa_exception_fp_ieee_inexact 0
		.amdhsa_exception_int_div_zero 0
	.end_amdhsa_kernel
	.section	.text._ZN9rocsparseL6kernelILi1024ELi8E21rocsparse_complex_numIfEiiEEvbbbT3_PS3_NS_15floating_traitsIT1_E6data_tES3_T2_PKS9_SB_PKS3_PKS6_21rocsparse_index_base_SB_SB_SD_PS6_SH_SG_SB_SB_SD_SH_SH_SG_SH_SH_PS8_SI_PKS8_,"axG",@progbits,_ZN9rocsparseL6kernelILi1024ELi8E21rocsparse_complex_numIfEiiEEvbbbT3_PS3_NS_15floating_traitsIT1_E6data_tES3_T2_PKS9_SB_PKS3_PKS6_21rocsparse_index_base_SB_SB_SD_PS6_SH_SG_SB_SB_SD_SH_SH_SG_SH_SH_PS8_SI_PKS8_,comdat
.Lfunc_end38:
	.size	_ZN9rocsparseL6kernelILi1024ELi8E21rocsparse_complex_numIfEiiEEvbbbT3_PS3_NS_15floating_traitsIT1_E6data_tES3_T2_PKS9_SB_PKS3_PKS6_21rocsparse_index_base_SB_SB_SD_PS6_SH_SG_SB_SB_SD_SH_SH_SG_SH_SH_PS8_SI_PKS8_, .Lfunc_end38-_ZN9rocsparseL6kernelILi1024ELi8E21rocsparse_complex_numIfEiiEEvbbbT3_PS3_NS_15floating_traitsIT1_E6data_tES3_T2_PKS9_SB_PKS3_PKS6_21rocsparse_index_base_SB_SB_SD_PS6_SH_SG_SB_SB_SD_SH_SH_SG_SH_SH_PS8_SI_PKS8_
                                        ; -- End function
	.section	.AMDGPU.csdata,"",@progbits
; Kernel info:
; codeLenInByte = 8448
; NumSgprs: 100
; NumVgprs: 45
; NumAgprs: 0
; TotalNumVgprs: 45
; ScratchSize: 0
; MemoryBound: 0
; FloatMode: 240
; IeeeMode: 1
; LDSByteSize: 1024 bytes/workgroup (compile time only)
; SGPRBlocks: 12
; VGPRBlocks: 5
; NumSGPRsForWavesPerEU: 100
; NumVGPRsForWavesPerEU: 45
; AccumOffset: 48
; Occupancy: 8
; WaveLimiterHint : 1
; COMPUTE_PGM_RSRC2:SCRATCH_EN: 0
; COMPUTE_PGM_RSRC2:USER_SGPR: 6
; COMPUTE_PGM_RSRC2:TRAP_HANDLER: 0
; COMPUTE_PGM_RSRC2:TGID_X_EN: 1
; COMPUTE_PGM_RSRC2:TGID_Y_EN: 0
; COMPUTE_PGM_RSRC2:TGID_Z_EN: 0
; COMPUTE_PGM_RSRC2:TIDIG_COMP_CNT: 0
; COMPUTE_PGM_RSRC3_GFX90A:ACCUM_OFFSET: 11
; COMPUTE_PGM_RSRC3_GFX90A:TG_SPLIT: 0
	.section	.text._ZN9rocsparseL6kernelILi1024ELi16E21rocsparse_complex_numIfEiiEEvbbbT3_PS3_NS_15floating_traitsIT1_E6data_tES3_T2_PKS9_SB_PKS3_PKS6_21rocsparse_index_base_SB_SB_SD_PS6_SH_SG_SB_SB_SD_SH_SH_SG_SH_SH_PS8_SI_PKS8_,"axG",@progbits,_ZN9rocsparseL6kernelILi1024ELi16E21rocsparse_complex_numIfEiiEEvbbbT3_PS3_NS_15floating_traitsIT1_E6data_tES3_T2_PKS9_SB_PKS3_PKS6_21rocsparse_index_base_SB_SB_SD_PS6_SH_SG_SB_SB_SD_SH_SH_SG_SH_SH_PS8_SI_PKS8_,comdat
	.globl	_ZN9rocsparseL6kernelILi1024ELi16E21rocsparse_complex_numIfEiiEEvbbbT3_PS3_NS_15floating_traitsIT1_E6data_tES3_T2_PKS9_SB_PKS3_PKS6_21rocsparse_index_base_SB_SB_SD_PS6_SH_SG_SB_SB_SD_SH_SH_SG_SH_SH_PS8_SI_PKS8_ ; -- Begin function _ZN9rocsparseL6kernelILi1024ELi16E21rocsparse_complex_numIfEiiEEvbbbT3_PS3_NS_15floating_traitsIT1_E6data_tES3_T2_PKS9_SB_PKS3_PKS6_21rocsparse_index_base_SB_SB_SD_PS6_SH_SG_SB_SB_SD_SH_SH_SG_SH_SH_PS8_SI_PKS8_
	.p2align	8
	.type	_ZN9rocsparseL6kernelILi1024ELi16E21rocsparse_complex_numIfEiiEEvbbbT3_PS3_NS_15floating_traitsIT1_E6data_tES3_T2_PKS9_SB_PKS3_PKS6_21rocsparse_index_base_SB_SB_SD_PS6_SH_SG_SB_SB_SD_SH_SH_SG_SH_SH_PS8_SI_PKS8_,@function
_ZN9rocsparseL6kernelILi1024ELi16E21rocsparse_complex_numIfEiiEEvbbbT3_PS3_NS_15floating_traitsIT1_E6data_tES3_T2_PKS9_SB_PKS3_PKS6_21rocsparse_index_base_SB_SB_SD_PS6_SH_SG_SB_SB_SD_SH_SH_SG_SH_SH_PS8_SI_PKS8_: ; @_ZN9rocsparseL6kernelILi1024ELi16E21rocsparse_complex_numIfEiiEEvbbbT3_PS3_NS_15floating_traitsIT1_E6data_tES3_T2_PKS9_SB_PKS3_PKS6_21rocsparse_index_base_SB_SB_SD_PS6_SH_SG_SB_SB_SD_SH_SH_SG_SH_SH_PS8_SI_PKS8_
; %bb.0:
	s_load_dword s0, s[4:5], 0x0
	s_load_dwordx2 s[2:3], s[4:5], 0x0
	s_load_dwordx2 s[68:69], s[4:5], 0x10
	s_load_dwordx4 s[20:23], s[4:5], 0xb8
	v_lshrrev_b32_e32 v3, 4, v0
	s_waitcnt lgkmcnt(0)
	s_bitcmp1_b32 s0, 0
	s_cselect_b64 s[64:65], -1, 0
	s_bitcmp1_b32 s0, 8
	s_cselect_b64 s[34:35], -1, 0
	;; [unrolled: 2-line block ×3, first 2 shown]
	s_lshl_b32 s0, s6, 10
	v_or_b32_e32 v30, s0, v3
	s_cmp_gt_i32 s3, 0
	v_cmp_gt_i32_e32 vcc, s69, v30
	s_mov_b32 s1, s3
                                        ; implicit-def: $vgpr44 : SGPR spill to VGPR lane
	s_cselect_b64 s[2:3], -1, 0
	v_and_b32_e32 v5, 15, v0
	v_lshlrev_b32_e32 v1, 2, v0
	v_mov_b32_e32 v6, 0
	v_writelane_b32 v44, s0, 0
	s_and_b64 s[2:3], s[2:3], vcc
	s_mov_b32 s72, 0
	v_mov_b32_e32 v4, 0
	v_mov_b32_e32 v2, 0
	ds_write_b32 v1, v6
	s_waitcnt lgkmcnt(0)
	s_barrier
	v_writelane_b32 v44, s1, 1
	s_and_saveexec_b64 s[6:7], s[2:3]
	s_cbranch_execnz .LBB39_3
; %bb.1:
	s_or_b64 exec, exec, s[6:7]
	s_andn2_b64 vcc, exec, s[64:65]
	s_cbranch_vccz .LBB39_178
.LBB39_2:
	v_cmp_eq_u32_e32 vcc, 0, v0
	s_and_b64 s[0:1], vcc, s[34:35]
	s_and_saveexec_b64 s[4:5], s[0:1]
	s_cbranch_execnz .LBB39_196
	s_branch .LBB39_200
.LBB39_3:
	s_load_dwordx2 s[2:3], s[4:5], 0xc8
	v_writelane_b32 v44, s6, 2
	v_writelane_b32 v44, s7, 3
	s_load_dwordx4 s[60:63], s[4:5], 0xa8
	s_load_dwordx8 s[36:43], s[4:5], 0x78
	s_load_dwordx8 s[44:51], s[4:5], 0x48
	s_load_dwordx8 s[52:59], s[4:5], 0x20
	s_load_dword s33, s[4:5], 0x40
	s_load_dwordx2 s[78:79], s[4:5], 0x68
	s_load_dword s66, s[4:5], 0x70
	s_load_dwordx2 s[80:81], s[4:5], 0x98
	s_waitcnt lgkmcnt(0)
	v_writelane_b32 v44, s2, 4
	v_writelane_b32 v44, s3, 5
	s_xor_b64 s[2:3], s[34:35], -1
	v_writelane_b32 v44, s2, 6
	v_writelane_b32 v44, s3, 7
	;; [unrolled: 1-line block ×3, first 2 shown]
	s_addk_i32 s0, 0x400
	v_writelane_b32 v44, s5, 9
	v_cmp_gt_u32_e64 s[2:3], s0, v30
	s_load_dword s67, s[4:5], 0xa0
	v_writelane_b32 v44, s2, 10
	v_writelane_b32 v44, s3, 11
	v_cmp_eq_u32_e64 s[2:3], 15, v5
	v_writelane_b32 v44, s2, 12
	v_writelane_b32 v44, s3, 13
	s_and_b64 s[2:3], s[34:35], s[26:27]
	s_xor_b64 s[2:3], s[2:3], -1
	v_subrev_u32_e32 v31, s33, v5
	v_lshlrev_b32_e32 v32, 2, v3
	v_cmp_gt_u32_e64 s[6:7], 32, v0
	v_cmp_gt_u32_e64 s[8:9], 16, v0
	v_cmp_gt_u32_e64 s[10:11], 8, v0
	v_cmp_gt_u32_e64 s[12:13], 4, v0
	v_cmp_gt_u32_e64 s[14:15], 2, v0
	v_cmp_eq_u32_e64 s[16:17], 0, v0
	v_subrev_u32_e32 v33, s66, v5
	s_waitcnt lgkmcnt(0)
	v_subrev_u32_e32 v34, s67, v5
	v_cmp_eq_u32_e64 s[18:19], 0, v5
	v_writelane_b32 v44, s2, 14
	s_mov_b64 s[84:85], 0
	v_mov_b32_e32 v7, 0
	s_mov_b32 s1, 0xf800000
	v_mov_b32_e32 v35, 0x260
	s_movk_i32 s4, 0x1f8
	v_mov_b32_e32 v36, 0
	v_mov_b32_e32 v2, 0
	;; [unrolled: 1-line block ×3, first 2 shown]
	s_mov_b32 s5, 0
	v_writelane_b32 v44, s3, 15
	s_branch .LBB39_5
.LBB39_4:                               ;   in Loop: Header=BB39_5 Depth=1
	s_or_b64 exec, exec, s[24:25]
	s_and_b64 s[2:3], exec, s[22:23]
	s_or_b64 s[84:85], s[2:3], s[84:85]
	s_andn2_b64 exec, exec, s[84:85]
	s_cbranch_execz .LBB39_177
.LBB39_5:                               ; =>This Loop Header: Depth=1
                                        ;     Child Loop BB39_9 Depth 2
                                        ;       Child Loop BB39_14 Depth 3
                                        ;         Child Loop BB39_18 Depth 4
                                        ;         Child Loop BB39_53 Depth 4
	;; [unrolled: 1-line block ×5, first 2 shown]
                                        ;     Child Loop BB39_156 Depth 2
                                        ;       Child Loop BB39_159 Depth 3
                                        ;       Child Loop BB39_162 Depth 3
	v_cndmask_b32_e64 v4, v4, 0, s[34:35]
	v_cndmask_b32_e64 v2, v2, 0, s[26:27]
	s_mov_b32 s2, 0
	s_branch .LBB39_9
.LBB39_6:                               ;   in Loop: Header=BB39_9 Depth=2
	s_or_b64 exec, exec, s[90:91]
.LBB39_7:                               ;   in Loop: Header=BB39_9 Depth=2
	s_or_b64 exec, exec, s[88:89]
.LBB39_8:                               ;   in Loop: Header=BB39_9 Depth=2
	s_or_b64 exec, exec, s[86:87]
	s_add_i32 s2, s2, 1
	s_cmp_eq_u32 s2, 16
	s_cbranch_scc1 .LBB39_121
.LBB39_9:                               ;   Parent Loop BB39_5 Depth=1
                                        ; =>  This Loop Header: Depth=2
                                        ;       Child Loop BB39_14 Depth 3
                                        ;         Child Loop BB39_18 Depth 4
                                        ;         Child Loop BB39_53 Depth 4
	;; [unrolled: 1-line block ×5, first 2 shown]
	v_lshl_add_u32 v8, s2, 6, v30
	v_cmp_gt_i32_e32 vcc, s69, v8
	s_and_saveexec_b64 s[86:87], vcc
	s_cbranch_execz .LBB39_8
; %bb.10:                               ;   in Loop: Header=BB39_9 Depth=2
	v_ashrrev_i32_e32 v9, 31, v8
	v_lshlrev_b64 v[12:13], 2, v[8:9]
	v_mov_b32_e32 v6, s53
	v_add_co_u32_e32 v10, vcc, s52, v12
	v_addc_co_u32_e32 v11, vcc, v6, v13, vcc
	global_load_dword v6, v[10:11], off
	v_mov_b32_e32 v9, s55
	v_add_co_u32_e32 v10, vcc, s54, v12
	v_addc_co_u32_e32 v11, vcc, v9, v13, vcc
	global_load_dword v9, v[10:11], off
	s_waitcnt vmcnt(1)
	v_add_u32_e32 v10, v31, v6
	s_waitcnt vmcnt(0)
	v_subrev_u32_e32 v9, s33, v9
	v_cmp_lt_i32_e32 vcc, v10, v9
	s_and_saveexec_b64 s[88:89], vcc
	s_cbranch_execz .LBB39_7
; %bb.11:                               ;   in Loop: Header=BB39_9 Depth=2
	v_mov_b32_e32 v6, s47
	v_add_co_u32_e32 v14, vcc, s46, v12
	v_addc_co_u32_e32 v15, vcc, v6, v13, vcc
	v_mov_b32_e32 v6, s45
	v_add_co_u32_e32 v12, vcc, s44, v12
	v_addc_co_u32_e32 v13, vcc, v6, v13, vcc
	global_load_dword v6, v[12:13], off
	global_load_dword v11, v[14:15], off
	v_mov_b32_e32 v18, s49
	v_mov_b32_e32 v19, s51
	s_mov_b64 s[90:91], 0
	s_waitcnt vmcnt(1)
	v_subrev_u32_e32 v12, s66, v6
	v_ashrrev_i32_e32 v13, 31, v12
	v_lshlrev_b64 v[14:15], 2, v[12:13]
	v_lshlrev_b64 v[16:17], 3, v[12:13]
	v_add_co_u32_e32 v13, vcc, s48, v14
	v_addc_co_u32_e32 v38, vcc, v18, v15, vcc
	s_waitcnt vmcnt(0)
	v_sub_u32_e32 v37, v11, v6
	v_add_co_u32_e32 v39, vcc, s50, v16
	v_cmp_lt_i32_e64 s[20:21], 0, v37
	v_addc_co_u32_e32 v40, vcc, v19, v17, vcc
	s_branch .LBB39_14
.LBB39_12:                              ;   in Loop: Header=BB39_14 Depth=3
	s_or_b64 exec, exec, s[22:23]
.LBB39_13:                              ;   in Loop: Header=BB39_14 Depth=3
	s_or_b64 exec, exec, s[24:25]
	v_add_u32_e32 v10, 16, v10
	v_cmp_ge_i32_e32 vcc, v10, v9
	s_or_b64 s[90:91], vcc, s[90:91]
	s_andn2_b64 exec, exec, s[90:91]
	s_cbranch_execz .LBB39_6
.LBB39_14:                              ;   Parent Loop BB39_5 Depth=1
                                        ;     Parent Loop BB39_9 Depth=2
                                        ; =>    This Loop Header: Depth=3
                                        ;         Child Loop BB39_18 Depth 4
                                        ;         Child Loop BB39_53 Depth 4
	;; [unrolled: 1-line block ×5, first 2 shown]
	v_ashrrev_i32_e32 v11, 31, v10
	v_lshlrev_b64 v[14:15], 2, v[10:11]
	v_mov_b32_e32 v6, s57
	v_add_co_u32_e32 v14, vcc, s56, v14
	v_addc_co_u32_e32 v15, vcc, v6, v15, vcc
	global_load_dword v6, v[14:15], off
	v_mov_b32_e32 v19, s37
	v_mov_b32_e32 v20, s39
	s_mov_b32 s73, s72
	v_mov_b32_e32 v22, 0
	s_waitcnt vmcnt(0)
	v_subrev_u32_e32 v14, s33, v6
	v_ashrrev_i32_e32 v15, 31, v14
	v_lshlrev_b64 v[16:17], 2, v[14:15]
	v_add_co_u32_e32 v18, vcc, s36, v16
	v_addc_co_u32_e32 v19, vcc, v19, v17, vcc
	v_add_co_u32_e32 v16, vcc, s38, v16
	v_addc_co_u32_e32 v17, vcc, v20, v17, vcc
	global_load_dword v18, v[18:19], off
	s_nop 0
	global_load_dword v19, v[16:17], off
	v_mov_b32_e32 v6, 0
	v_pk_mov_b32 v[16:17], s[72:73], s[72:73] op_sel:[0,1]
	s_waitcnt vmcnt(1)
	v_subrev_u32_e32 v20, s67, v18
	s_waitcnt vmcnt(0)
	v_sub_u32_e32 v41, v19, v18
	s_and_saveexec_b64 s[22:23], s[20:21]
	s_cbranch_execz .LBB39_22
; %bb.15:                               ;   in Loop: Header=BB39_14 Depth=3
	v_ashrrev_i32_e32 v21, 31, v20
	v_lshlrev_b64 v[16:17], 2, v[20:21]
	v_mov_b32_e32 v6, s41
	v_add_co_u32_e32 v18, vcc, s40, v16
	v_addc_co_u32_e32 v19, vcc, v6, v17, vcc
	v_lshlrev_b64 v[16:17], 3, v[20:21]
	v_mov_b32_e32 v6, s43
	v_add_co_u32_e32 v21, vcc, s42, v16
	v_mov_b32_e32 v22, 0
	v_addc_co_u32_e32 v24, vcc, v6, v17, vcc
	s_mov_b64 s[24:25], 0
	v_pk_mov_b32 v[16:17], s[72:73], s[72:73] op_sel:[0,1]
	v_mov_b32_e32 v6, v22
                                        ; implicit-def: $sgpr28_sgpr29
	s_branch .LBB39_18
.LBB39_16:                              ;   in Loop: Header=BB39_18 Depth=4
	s_or_b64 exec, exec, s[70:71]
	v_cmp_le_i32_e32 vcc, v25, v26
	v_addc_co_u32_e32 v6, vcc, 0, v6, vcc
	v_cmp_ge_i32_e32 vcc, v25, v26
	v_addc_co_u32_e32 v22, vcc, 0, v22, vcc
	v_cmp_ge_i32_e32 vcc, v6, v37
	s_andn2_b64 s[28:29], s[28:29], exec
	s_and_b64 s[70:71], vcc, exec
	s_or_b64 s[28:29], s[28:29], s[70:71]
.LBB39_17:                              ;   in Loop: Header=BB39_18 Depth=4
	s_or_b64 exec, exec, s[30:31]
	s_and_b64 s[30:31], exec, s[28:29]
	s_or_b64 s[24:25], s[30:31], s[24:25]
	s_andn2_b64 exec, exec, s[24:25]
	s_cbranch_execz .LBB39_21
.LBB39_18:                              ;   Parent Loop BB39_5 Depth=1
                                        ;     Parent Loop BB39_9 Depth=2
                                        ;       Parent Loop BB39_14 Depth=3
                                        ; =>      This Inner Loop Header: Depth=4
	v_cmp_lt_i32_e32 vcc, v22, v41
	s_or_b64 s[28:29], s[28:29], exec
	s_and_saveexec_b64 s[30:31], vcc
	s_cbranch_execz .LBB39_17
; %bb.19:                               ;   in Loop: Header=BB39_18 Depth=4
	v_lshlrev_b64 v[26:27], 2, v[6:7]
	v_add_co_u32_e32 v26, vcc, v13, v26
	v_addc_co_u32_e32 v27, vcc, v38, v27, vcc
	v_mov_b32_e32 v23, v7
	global_load_dword v25, v[26:27], off
	v_lshlrev_b64 v[26:27], 2, v[22:23]
	v_add_co_u32_e32 v26, vcc, v18, v26
	v_addc_co_u32_e32 v27, vcc, v19, v27, vcc
	global_load_dword v26, v[26:27], off
	s_waitcnt vmcnt(1)
	v_subrev_u32_e32 v25, s66, v25
	s_waitcnt vmcnt(0)
	v_subrev_u32_e32 v26, s67, v26
	v_cmp_eq_u32_e32 vcc, v25, v26
	s_and_saveexec_b64 s[70:71], vcc
	s_cbranch_execz .LBB39_16
; %bb.20:                               ;   in Loop: Header=BB39_18 Depth=4
	v_lshlrev_b64 v[28:29], 3, v[6:7]
	v_add_co_u32_e32 v28, vcc, v39, v28
	v_addc_co_u32_e32 v29, vcc, v40, v29, vcc
	v_lshlrev_b64 v[42:43], 3, v[22:23]
	v_add_co_u32_e32 v42, vcc, v21, v42
	v_addc_co_u32_e32 v43, vcc, v24, v43, vcc
	global_load_dwordx2 v[42:43], v[42:43], off
	s_nop 0
	global_load_dwordx2 v[28:29], v[28:29], off
	s_waitcnt vmcnt(0)
	v_pk_fma_f32 v[16:17], v[28:29], v[42:43], v[16:17] op_sel_hi:[1,0,1]
	v_pk_fma_f32 v[16:17], v[28:29], v[42:43], v[16:17] op_sel:[1,1,0] op_sel_hi:[0,1,1] neg_lo:[1,0,0]
	s_branch .LBB39_16
.LBB39_21:                              ;   in Loop: Header=BB39_14 Depth=3
	s_or_b64 exec, exec, s[24:25]
.LBB39_22:                              ;   in Loop: Header=BB39_14 Depth=3
	s_or_b64 exec, exec, s[22:23]
	v_lshlrev_b64 v[18:19], 3, v[10:11]
	v_mov_b32_e32 v11, s59
	v_add_co_u32_e32 v18, vcc, s58, v18
	v_addc_co_u32_e32 v19, vcc, v11, v19, vcc
	global_load_dwordx2 v[18:19], v[18:19], off
	v_cmp_le_i32_e64 s[22:23], v8, v14
	v_cmp_gt_i32_e32 vcc, v8, v14
	s_waitcnt vmcnt(0)
	v_pk_add_f32 v[24:25], v[18:19], v[16:17] neg_lo:[0,1] neg_hi:[0,1]
	s_and_saveexec_b64 s[70:71], vcc
	s_cbranch_execz .LBB39_32
; %bb.23:                               ;   in Loop: Header=BB39_14 Depth=3
	v_lshlrev_b64 v[26:27], 3, v[14:15]
	v_mov_b32_e32 v11, s61
	v_add_co_u32_e32 v26, vcc, s60, v26
	v_addc_co_u32_e32 v27, vcc, v11, v27, vcc
	global_load_dwordx2 v[26:27], v[26:27], off
                                        ; implicit-def: $vgpr23
	s_waitcnt vmcnt(0)
	v_cmp_gt_f32_e32 vcc, 0, v26
	v_cndmask_b32_e64 v11, v26, -v26, vcc
	v_cmp_gt_f32_e32 vcc, 0, v27
	v_cndmask_b32_e64 v21, v27, -v27, vcc
	v_cmp_ngt_f32_e32 vcc, v11, v21
	s_and_saveexec_b64 s[24:25], vcc
	s_xor_b64 s[28:29], exec, s[24:25]
	s_cbranch_execz .LBB39_27
; %bb.24:                               ;   in Loop: Header=BB39_14 Depth=3
	v_cmp_neq_f32_e32 vcc, 0, v27
	v_mov_b32_e32 v23, 0
	s_and_saveexec_b64 s[30:31], vcc
	s_cbranch_execz .LBB39_26
; %bb.25:                               ;   in Loop: Header=BB39_14 Depth=3
	v_div_scale_f32 v23, s[24:25], v21, v21, v11
	v_rcp_f32_e32 v28, v23
	v_div_scale_f32 v29, vcc, v11, v21, v11
	v_fma_f32 v42, -v23, v28, 1.0
	v_fmac_f32_e32 v28, v42, v28
	v_mul_f32_e32 v42, v29, v28
	v_fma_f32 v43, -v23, v42, v29
	v_fmac_f32_e32 v42, v43, v28
	v_fma_f32 v23, -v23, v42, v29
	v_div_fmas_f32 v23, v23, v28, v42
	v_div_fixup_f32 v11, v23, v21, v11
	v_fma_f32 v11, v11, v11, 1.0
	v_mul_f32_e32 v23, 0x4f800000, v11
	v_cmp_gt_f32_e32 vcc, s1, v11
	v_cndmask_b32_e32 v11, v11, v23, vcc
	v_sqrt_f32_e32 v23, v11
	v_add_u32_e32 v28, -1, v23
	v_fma_f32 v42, -v28, v23, v11
	v_add_u32_e32 v29, 1, v23
	v_cmp_ge_f32_e64 s[24:25], 0, v42
	v_cndmask_b32_e64 v28, v23, v28, s[24:25]
	v_fma_f32 v23, -v29, v23, v11
	v_cmp_lt_f32_e64 s[24:25], 0, v23
	v_cndmask_b32_e64 v23, v28, v29, s[24:25]
	v_mul_f32_e32 v28, 0x37800000, v23
	v_cndmask_b32_e32 v23, v23, v28, vcc
	v_cmp_class_f32_e32 vcc, v11, v35
	v_cndmask_b32_e32 v11, v23, v11, vcc
	v_mul_f32_e32 v23, v21, v11
.LBB39_26:                              ;   in Loop: Header=BB39_14 Depth=3
	s_or_b64 exec, exec, s[30:31]
                                        ; implicit-def: $vgpr11
                                        ; implicit-def: $vgpr21
.LBB39_27:                              ;   in Loop: Header=BB39_14 Depth=3
	s_andn2_saveexec_b64 s[28:29], s[28:29]
	s_cbranch_execz .LBB39_29
; %bb.28:                               ;   in Loop: Header=BB39_14 Depth=3
	v_div_scale_f32 v23, s[24:25], v11, v11, v21
	v_rcp_f32_e32 v28, v23
	v_div_scale_f32 v29, vcc, v21, v11, v21
	v_fma_f32 v42, -v23, v28, 1.0
	v_fmac_f32_e32 v28, v42, v28
	v_mul_f32_e32 v42, v29, v28
	v_fma_f32 v43, -v23, v42, v29
	v_fmac_f32_e32 v42, v43, v28
	v_fma_f32 v23, -v23, v42, v29
	v_div_fmas_f32 v23, v23, v28, v42
	v_div_fixup_f32 v21, v23, v11, v21
	v_fma_f32 v21, v21, v21, 1.0
	v_mul_f32_e32 v23, 0x4f800000, v21
	v_cmp_gt_f32_e32 vcc, s1, v21
	v_cndmask_b32_e32 v21, v21, v23, vcc
	v_sqrt_f32_e32 v23, v21
	v_add_u32_e32 v28, -1, v23
	v_fma_f32 v29, -v28, v23, v21
	v_cmp_ge_f32_e64 s[24:25], 0, v29
	v_add_u32_e32 v29, 1, v23
	v_cndmask_b32_e64 v28, v23, v28, s[24:25]
	v_fma_f32 v23, -v29, v23, v21
	v_cmp_lt_f32_e64 s[24:25], 0, v23
	v_cndmask_b32_e64 v23, v28, v29, s[24:25]
	v_mul_f32_e32 v28, 0x37800000, v23
	v_cndmask_b32_e32 v23, v23, v28, vcc
	v_cmp_class_f32_e32 vcc, v21, v35
	v_cndmask_b32_e32 v21, v23, v21, vcc
	v_mul_f32_e32 v23, v11, v21
.LBB39_29:                              ;   in Loop: Header=BB39_14 Depth=3
	s_or_b64 exec, exec, s[28:29]
	v_cmp_lt_f32_e32 vcc, 0, v23
	v_mov_b32_e32 v29, 0
	v_mov_b32_e32 v28, 0
	s_and_saveexec_b64 s[24:25], vcc
	s_cbranch_execz .LBB39_31
; %bb.30:                               ;   in Loop: Header=BB39_14 Depth=3
	v_mul_f32_e32 v11, v27, v27
	v_fmac_f32_e32 v11, v26, v26
	v_div_scale_f32 v21, s[28:29], v11, v11, 1.0
	v_rcp_f32_e32 v23, v21
	v_div_scale_f32 v28, vcc, 1.0, v11, 1.0
	v_xor_b32_e32 v43, 0x80000000, v24
	v_fma_f32 v29, -v21, v23, 1.0
	v_fmac_f32_e32 v23, v29, v23
	v_mul_f32_e32 v29, v28, v23
	v_fma_f32 v42, -v21, v29, v28
	v_fmac_f32_e32 v29, v42, v23
	v_fma_f32 v21, -v21, v29, v28
	v_mov_b32_e32 v42, v25
	v_div_fmas_f32 v21, v21, v23, v29
	v_pk_mul_f32 v[42:43], v[42:43], v[26:27] op_sel:[0,1]
	v_div_fixup_f32 v28, v21, v11, 1.0
	v_pk_fma_f32 v[24:25], v[24:25], v[26:27], v[42:43] op_sel_hi:[1,0,1]
	v_pk_mul_f32 v[28:29], v[24:25], v[28:29] op_sel_hi:[1,0]
.LBB39_31:                              ;   in Loop: Header=BB39_14 Depth=3
	s_or_b64 exec, exec, s[24:25]
	v_mov_b32_e32 v25, v29
	v_mov_b32_e32 v24, v28
.LBB39_32:                              ;   in Loop: Header=BB39_14 Depth=3
	s_or_b64 exec, exec, s[70:71]
	v_cmp_gt_f32_e32 vcc, 0, v24
	v_cndmask_b32_e64 v11, v24, -v24, vcc
	v_cmp_gt_f32_e32 vcc, 0, v25
	v_cndmask_b32_e64 v21, v25, -v25, vcc
	v_cmp_ngt_f32_e32 vcc, v11, v21
                                        ; implicit-def: $vgpr23
	s_and_saveexec_b64 s[24:25], vcc
	s_xor_b64 s[28:29], exec, s[24:25]
	s_cbranch_execnz .LBB39_36
; %bb.33:                               ;   in Loop: Header=BB39_14 Depth=3
	s_andn2_saveexec_b64 s[28:29], s[28:29]
	s_cbranch_execnz .LBB39_39
.LBB39_34:                              ;   in Loop: Header=BB39_14 Depth=3
	s_or_b64 exec, exec, s[28:29]
	v_cmp_class_f32_e64 s[24:25], v23, s4
	s_and_saveexec_b64 s[92:93], s[24:25]
	s_cbranch_execnz .LBB39_40
.LBB39_35:                              ;   in Loop: Header=BB39_14 Depth=3
	s_or_b64 exec, exec, s[92:93]
	s_and_b64 s[22:23], s[24:25], s[26:27]
	s_and_saveexec_b64 s[24:25], s[22:23]
	s_cbranch_execz .LBB39_13
	s_branch .LBB39_81
.LBB39_36:                              ;   in Loop: Header=BB39_14 Depth=3
	v_cmp_neq_f32_e32 vcc, 0, v25
	v_mov_b32_e32 v23, 0
	s_and_saveexec_b64 s[30:31], vcc
	s_cbranch_execz .LBB39_38
; %bb.37:                               ;   in Loop: Header=BB39_14 Depth=3
	v_div_scale_f32 v23, s[24:25], v21, v21, v11
	v_rcp_f32_e32 v26, v23
	v_div_scale_f32 v27, vcc, v11, v21, v11
	v_fma_f32 v28, -v23, v26, 1.0
	v_fmac_f32_e32 v26, v28, v26
	v_mul_f32_e32 v28, v27, v26
	v_fma_f32 v29, -v23, v28, v27
	v_fmac_f32_e32 v28, v29, v26
	v_fma_f32 v23, -v23, v28, v27
	v_div_fmas_f32 v23, v23, v26, v28
	v_div_fixup_f32 v11, v23, v21, v11
	v_fma_f32 v11, v11, v11, 1.0
	v_mul_f32_e32 v23, 0x4f800000, v11
	v_cmp_gt_f32_e32 vcc, s1, v11
	v_cndmask_b32_e32 v11, v11, v23, vcc
	v_sqrt_f32_e32 v23, v11
	v_add_u32_e32 v26, -1, v23
	v_fma_f32 v27, -v26, v23, v11
	v_cmp_ge_f32_e64 s[24:25], 0, v27
	v_add_u32_e32 v27, 1, v23
	v_cndmask_b32_e64 v26, v23, v26, s[24:25]
	v_fma_f32 v23, -v27, v23, v11
	v_cmp_lt_f32_e64 s[24:25], 0, v23
	v_cndmask_b32_e64 v23, v26, v27, s[24:25]
	v_mul_f32_e32 v26, 0x37800000, v23
	v_cndmask_b32_e32 v23, v23, v26, vcc
	v_cmp_class_f32_e32 vcc, v11, v35
	v_cndmask_b32_e32 v11, v23, v11, vcc
	v_mul_f32_e32 v23, v21, v11
.LBB39_38:                              ;   in Loop: Header=BB39_14 Depth=3
	s_or_b64 exec, exec, s[30:31]
                                        ; implicit-def: $vgpr11
                                        ; implicit-def: $vgpr21
	s_andn2_saveexec_b64 s[28:29], s[28:29]
	s_cbranch_execz .LBB39_34
.LBB39_39:                              ;   in Loop: Header=BB39_14 Depth=3
	v_div_scale_f32 v23, s[24:25], v11, v11, v21
	v_rcp_f32_e32 v26, v23
	v_div_scale_f32 v27, vcc, v21, v11, v21
	v_fma_f32 v28, -v23, v26, 1.0
	v_fmac_f32_e32 v26, v28, v26
	v_mul_f32_e32 v28, v27, v26
	v_fma_f32 v29, -v23, v28, v27
	v_fmac_f32_e32 v28, v29, v26
	v_fma_f32 v23, -v23, v28, v27
	v_div_fmas_f32 v23, v23, v26, v28
	v_div_fixup_f32 v21, v23, v11, v21
	v_fma_f32 v21, v21, v21, 1.0
	v_mul_f32_e32 v23, 0x4f800000, v21
	v_cmp_gt_f32_e32 vcc, s1, v21
	v_cndmask_b32_e32 v21, v21, v23, vcc
	v_sqrt_f32_e32 v23, v21
	v_add_u32_e32 v26, -1, v23
	v_fma_f32 v27, -v26, v23, v21
	v_cmp_ge_f32_e64 s[24:25], 0, v27
	v_add_u32_e32 v27, 1, v23
	v_cndmask_b32_e64 v26, v23, v26, s[24:25]
	v_fma_f32 v23, -v27, v23, v21
	v_cmp_lt_f32_e64 s[24:25], 0, v23
	v_cndmask_b32_e64 v23, v26, v27, s[24:25]
	v_mul_f32_e32 v26, 0x37800000, v23
	v_cndmask_b32_e32 v23, v23, v26, vcc
	v_cmp_class_f32_e32 vcc, v21, v35
	v_cndmask_b32_e32 v21, v23, v21, vcc
	v_mul_f32_e32 v23, v11, v21
	s_or_b64 exec, exec, s[28:29]
	v_cmp_class_f32_e64 s[24:25], v23, s4
	s_and_saveexec_b64 s[92:93], s[24:25]
	s_cbranch_execz .LBB39_35
.LBB39_40:                              ;   in Loop: Header=BB39_14 Depth=3
	s_and_saveexec_b64 s[28:29], s[22:23]
	s_xor_b64 s[94:95], exec, s[28:29]
	s_cbranch_execz .LBB39_65
; %bb.41:                               ;   in Loop: Header=BB39_14 Depth=3
	v_cmp_ge_i32_e32 vcc, v8, v14
	s_and_saveexec_b64 s[22:23], vcc
	s_xor_b64 s[70:71], exec, s[22:23]
	s_cbranch_execz .LBB39_49
; %bb.42:                               ;   in Loop: Header=BB39_14 Depth=3
	v_lshlrev_b64 v[26:27], 3, v[14:15]
	v_mov_b32_e32 v11, s63
	v_add_co_u32_e32 v28, vcc, s62, v26
	v_addc_co_u32_e32 v29, vcc, v11, v27, vcc
	s_andn2_b64 vcc, exec, s[34:35]
	global_store_dwordx2 v[28:29], v[24:25], off
	s_cbranch_vccnz .LBB39_48
; %bb.43:                               ;   in Loop: Header=BB39_14 Depth=3
	v_mov_b32_e32 v11, s61
	v_add_co_u32_e32 v26, vcc, s60, v26
	v_addc_co_u32_e32 v27, vcc, v11, v27, vcc
	global_load_dwordx2 v[26:27], v[26:27], off
                                        ; implicit-def: $vgpr23
	s_waitcnt vmcnt(0)
	v_sub_f32_e32 v11, v26, v24
	v_sub_f32_e32 v24, v27, v25
	v_cmp_gt_f32_e32 vcc, 0, v11
	v_cndmask_b32_e64 v11, v11, -v11, vcc
	v_cmp_gt_f32_e32 vcc, 0, v24
	v_cndmask_b32_e64 v21, v24, -v24, vcc
	v_cmp_ngt_f32_e32 vcc, v11, v21
	s_and_saveexec_b64 s[22:23], vcc
	s_xor_b64 s[28:29], exec, s[22:23]
	s_cbranch_execnz .LBB39_109
; %bb.44:                               ;   in Loop: Header=BB39_14 Depth=3
	s_andn2_saveexec_b64 s[28:29], s[28:29]
	s_cbranch_execnz .LBB39_112
.LBB39_45:                              ;   in Loop: Header=BB39_14 Depth=3
	s_or_b64 exec, exec, s[28:29]
	v_cmp_class_f32_e64 s[28:29], v23, s4
	s_and_saveexec_b64 s[22:23], s[28:29]
.LBB39_46:                              ;   in Loop: Header=BB39_14 Depth=3
	v_cmp_lt_f32_e32 vcc, v4, v23
	v_cndmask_b32_e32 v4, v4, v23, vcc
.LBB39_47:                              ;   in Loop: Header=BB39_14 Depth=3
	s_or_b64 exec, exec, s[22:23]
.LBB39_48:                              ;   in Loop: Header=BB39_14 Depth=3
                                        ; implicit-def: $vgpr24_vgpr25
.LBB39_49:                              ;   in Loop: Header=BB39_14 Depth=3
	s_andn2_saveexec_b64 s[70:71], s[70:71]
	s_cbranch_execz .LBB39_64
; %bb.50:                               ;   in Loop: Header=BB39_14 Depth=3
	v_cmp_lt_i32_e32 vcc, v22, v41
	s_and_saveexec_b64 s[76:77], vcc
	s_cbranch_execz .LBB39_63
; %bb.51:                               ;   in Loop: Header=BB39_14 Depth=3
	s_mov_b64 s[22:23], 0
	v_mov_b32_e32 v11, v22
                                        ; implicit-def: $sgpr28_sgpr29
                                        ; implicit-def: $sgpr74_sgpr75
                                        ; implicit-def: $sgpr30_sgpr31
	s_branch .LBB39_53
.LBB39_52:                              ;   in Loop: Header=BB39_53 Depth=4
	s_or_b64 exec, exec, s[82:83]
	s_and_b64 s[82:83], exec, s[74:75]
	s_or_b64 s[22:23], s[82:83], s[22:23]
	s_andn2_b64 s[28:29], s[28:29], exec
	s_and_b64 s[82:83], s[30:31], exec
	s_or_b64 s[28:29], s[28:29], s[82:83]
	s_andn2_b64 exec, exec, s[22:23]
	s_cbranch_execz .LBB39_55
.LBB39_53:                              ;   Parent Loop BB39_5 Depth=1
                                        ;     Parent Loop BB39_9 Depth=2
                                        ;       Parent Loop BB39_14 Depth=3
                                        ; =>      This Inner Loop Header: Depth=4
	v_add_u32_e32 v26, v20, v11
	v_ashrrev_i32_e32 v27, 31, v26
	v_lshlrev_b64 v[28:29], 2, v[26:27]
	v_mov_b32_e32 v21, s41
	v_add_co_u32_e32 v28, vcc, s40, v28
	v_addc_co_u32_e32 v29, vcc, v21, v29, vcc
	global_load_dword v21, v[28:29], off
	s_or_b64 s[30:31], s[30:31], exec
	s_or_b64 s[74:75], s[74:75], exec
	s_waitcnt vmcnt(0)
	v_subrev_u32_e32 v21, s67, v21
	v_cmp_ne_u32_e32 vcc, v21, v8
	s_and_saveexec_b64 s[82:83], vcc
	s_cbranch_execz .LBB39_52
; %bb.54:                               ;   in Loop: Header=BB39_53 Depth=4
	v_add_u32_e32 v11, 1, v11
	v_cmp_ge_i32_e32 vcc, v11, v41
	s_andn2_b64 s[74:75], s[74:75], exec
	s_and_b64 vcc, vcc, exec
	s_andn2_b64 s[30:31], s[30:31], exec
	s_or_b64 s[74:75], s[74:75], vcc
	s_branch .LBB39_52
.LBB39_55:                              ;   in Loop: Header=BB39_14 Depth=3
	s_or_b64 exec, exec, s[22:23]
	s_and_saveexec_b64 s[22:23], s[28:29]
	s_xor_b64 s[28:29], exec, s[22:23]
	s_cbranch_execz .LBB39_62
; %bb.56:                               ;   in Loop: Header=BB39_14 Depth=3
	v_lshlrev_b64 v[26:27], 3, v[26:27]
	v_mov_b32_e32 v11, s81
	v_add_co_u32_e32 v28, vcc, s80, v26
	v_addc_co_u32_e32 v29, vcc, v11, v27, vcc
	s_andn2_b64 vcc, exec, s[34:35]
	global_store_dwordx2 v[28:29], v[24:25], off
	s_cbranch_vccnz .LBB39_62
; %bb.57:                               ;   in Loop: Header=BB39_14 Depth=3
	v_mov_b32_e32 v11, s43
	v_add_co_u32_e32 v26, vcc, s42, v26
	v_addc_co_u32_e32 v27, vcc, v11, v27, vcc
	global_load_dwordx2 v[26:27], v[26:27], off
                                        ; implicit-def: $vgpr23
	s_waitcnt vmcnt(0)
	v_sub_f32_e32 v11, v26, v24
	v_sub_f32_e32 v24, v27, v25
	v_cmp_gt_f32_e32 vcc, 0, v11
	v_cndmask_b32_e64 v11, v11, -v11, vcc
	v_cmp_gt_f32_e32 vcc, 0, v24
	v_cndmask_b32_e64 v21, v24, -v24, vcc
	v_cmp_ngt_f32_e32 vcc, v11, v21
	s_and_saveexec_b64 s[22:23], vcc
	s_xor_b64 s[30:31], exec, s[22:23]
	s_cbranch_execnz .LBB39_117
; %bb.58:                               ;   in Loop: Header=BB39_14 Depth=3
	s_andn2_saveexec_b64 s[30:31], s[30:31]
	s_cbranch_execnz .LBB39_120
.LBB39_59:                              ;   in Loop: Header=BB39_14 Depth=3
	s_or_b64 exec, exec, s[30:31]
	v_cmp_class_f32_e64 s[30:31], v23, s4
	s_and_saveexec_b64 s[22:23], s[30:31]
.LBB39_60:                              ;   in Loop: Header=BB39_14 Depth=3
	v_cmp_lt_f32_e32 vcc, v4, v23
	v_cndmask_b32_e32 v4, v4, v23, vcc
.LBB39_61:                              ;   in Loop: Header=BB39_14 Depth=3
	s_or_b64 exec, exec, s[22:23]
.LBB39_62:                              ;   in Loop: Header=BB39_14 Depth=3
	s_or_b64 exec, exec, s[28:29]
.LBB39_63:                              ;   in Loop: Header=BB39_14 Depth=3
	s_or_b64 exec, exec, s[76:77]
.LBB39_64:                              ;   in Loop: Header=BB39_14 Depth=3
	s_or_b64 exec, exec, s[70:71]
                                        ; implicit-def: $vgpr24_vgpr25
.LBB39_65:                              ;   in Loop: Header=BB39_14 Depth=3
	s_andn2_saveexec_b64 s[94:95], s[94:95]
	s_cbranch_execz .LBB39_80
; %bb.66:                               ;   in Loop: Header=BB39_14 Depth=3
	v_cmp_lt_i32_e32 vcc, v6, v37
	s_and_saveexec_b64 s[70:71], vcc
	s_cbranch_execz .LBB39_79
; %bb.67:                               ;   in Loop: Header=BB39_14 Depth=3
	s_mov_b64 s[22:23], 0
	v_mov_b32_e32 v11, v6
                                        ; implicit-def: $sgpr28_sgpr29
                                        ; implicit-def: $sgpr74_sgpr75
                                        ; implicit-def: $sgpr30_sgpr31
	s_branch .LBB39_69
.LBB39_68:                              ;   in Loop: Header=BB39_69 Depth=4
	s_or_b64 exec, exec, s[76:77]
	s_and_b64 s[76:77], exec, s[74:75]
	s_or_b64 s[22:23], s[76:77], s[22:23]
	s_andn2_b64 s[28:29], s[28:29], exec
	s_and_b64 s[76:77], s[30:31], exec
	s_or_b64 s[28:29], s[28:29], s[76:77]
	s_andn2_b64 exec, exec, s[22:23]
	s_cbranch_execz .LBB39_71
.LBB39_69:                              ;   Parent Loop BB39_5 Depth=1
                                        ;     Parent Loop BB39_9 Depth=2
                                        ;       Parent Loop BB39_14 Depth=3
                                        ; =>      This Inner Loop Header: Depth=4
	v_add_u32_e32 v26, v12, v11
	v_ashrrev_i32_e32 v27, 31, v26
	v_lshlrev_b64 v[28:29], 2, v[26:27]
	v_mov_b32_e32 v21, s49
	v_add_co_u32_e32 v28, vcc, s48, v28
	v_addc_co_u32_e32 v29, vcc, v21, v29, vcc
	global_load_dword v21, v[28:29], off
	s_or_b64 s[30:31], s[30:31], exec
	s_or_b64 s[74:75], s[74:75], exec
	s_waitcnt vmcnt(0)
	v_subrev_u32_e32 v21, s66, v21
	v_cmp_ne_u32_e32 vcc, v21, v14
	s_and_saveexec_b64 s[76:77], vcc
	s_cbranch_execz .LBB39_68
; %bb.70:                               ;   in Loop: Header=BB39_69 Depth=4
	v_add_u32_e32 v11, 1, v11
	v_cmp_ge_i32_e32 vcc, v11, v37
	s_andn2_b64 s[74:75], s[74:75], exec
	s_and_b64 s[82:83], vcc, exec
	s_andn2_b64 s[30:31], s[30:31], exec
	s_or_b64 s[74:75], s[74:75], s[82:83]
	s_branch .LBB39_68
.LBB39_71:                              ;   in Loop: Header=BB39_14 Depth=3
	s_or_b64 exec, exec, s[22:23]
	s_and_saveexec_b64 s[22:23], s[28:29]
	s_xor_b64 s[28:29], exec, s[22:23]
	s_cbranch_execz .LBB39_78
; %bb.72:                               ;   in Loop: Header=BB39_14 Depth=3
	v_lshlrev_b64 v[26:27], 3, v[26:27]
	v_mov_b32_e32 v11, s79
	v_add_co_u32_e32 v28, vcc, s78, v26
	v_addc_co_u32_e32 v29, vcc, v11, v27, vcc
	s_andn2_b64 vcc, exec, s[34:35]
	global_store_dwordx2 v[28:29], v[24:25], off
	s_cbranch_vccnz .LBB39_78
; %bb.73:                               ;   in Loop: Header=BB39_14 Depth=3
	v_mov_b32_e32 v11, s51
	v_add_co_u32_e32 v26, vcc, s50, v26
	v_addc_co_u32_e32 v27, vcc, v11, v27, vcc
	global_load_dwordx2 v[26:27], v[26:27], off
                                        ; implicit-def: $vgpr23
	s_waitcnt vmcnt(0)
	v_sub_f32_e32 v11, v26, v24
	v_sub_f32_e32 v24, v27, v25
	v_cmp_gt_f32_e32 vcc, 0, v11
	v_cndmask_b32_e64 v11, v11, -v11, vcc
	v_cmp_gt_f32_e32 vcc, 0, v24
	v_cndmask_b32_e64 v21, v24, -v24, vcc
	v_cmp_ngt_f32_e32 vcc, v11, v21
	s_and_saveexec_b64 s[22:23], vcc
	s_xor_b64 s[30:31], exec, s[22:23]
	s_cbranch_execnz .LBB39_113
; %bb.74:                               ;   in Loop: Header=BB39_14 Depth=3
	s_andn2_saveexec_b64 s[30:31], s[30:31]
	s_cbranch_execnz .LBB39_116
.LBB39_75:                              ;   in Loop: Header=BB39_14 Depth=3
	s_or_b64 exec, exec, s[30:31]
	v_cmp_class_f32_e64 s[30:31], v23, s4
	s_and_saveexec_b64 s[22:23], s[30:31]
.LBB39_76:                              ;   in Loop: Header=BB39_14 Depth=3
	v_cmp_lt_f32_e32 vcc, v4, v23
	v_cndmask_b32_e32 v4, v4, v23, vcc
.LBB39_77:                              ;   in Loop: Header=BB39_14 Depth=3
	s_or_b64 exec, exec, s[22:23]
.LBB39_78:                              ;   in Loop: Header=BB39_14 Depth=3
	s_or_b64 exec, exec, s[28:29]
.LBB39_79:                              ;   in Loop: Header=BB39_14 Depth=3
	s_or_b64 exec, exec, s[70:71]
.LBB39_80:                              ;   in Loop: Header=BB39_14 Depth=3
	s_or_b64 exec, exec, s[94:95]
	s_or_b64 exec, exec, s[92:93]
	s_and_b64 s[22:23], s[24:25], s[26:27]
	s_and_saveexec_b64 s[24:25], s[22:23]
	s_cbranch_execz .LBB39_13
.LBB39_81:                              ;   in Loop: Header=BB39_14 Depth=3
	v_cmp_ge_i32_e32 vcc, v22, v41
	s_and_saveexec_b64 s[22:23], vcc
	s_xor_b64 s[22:23], exec, s[22:23]
	s_cbranch_execnz .LBB39_88
; %bb.82:                               ;   in Loop: Header=BB39_14 Depth=3
	s_andn2_saveexec_b64 s[22:23], s[22:23]
	s_cbranch_execnz .LBB39_102
.LBB39_83:                              ;   in Loop: Header=BB39_14 Depth=3
	s_or_b64 exec, exec, s[22:23]
	v_cmp_eq_u32_e32 vcc, v8, v14
	s_and_saveexec_b64 s[22:23], vcc
	s_cbranch_execz .LBB39_85
.LBB39_84:                              ;   in Loop: Header=BB39_14 Depth=3
	v_lshlrev_b64 v[14:15], 3, v[14:15]
	v_mov_b32_e32 v6, s61
	v_add_co_u32_e32 v14, vcc, s60, v14
	v_addc_co_u32_e32 v15, vcc, v6, v15, vcc
	global_load_dwordx2 v[14:15], v[14:15], off
	s_waitcnt vmcnt(0)
	v_pk_add_f32 v[16:17], v[16:17], v[14:15]
.LBB39_85:                              ;   in Loop: Header=BB39_14 Depth=3
	s_or_b64 exec, exec, s[22:23]
	v_pk_add_f32 v[14:15], v[18:19], v[16:17] neg_lo:[0,1] neg_hi:[0,1]
	v_cmp_gt_f32_e32 vcc, 0, v14
	v_cndmask_b32_e64 v6, v14, -v14, vcc
	v_cmp_gt_f32_e32 vcc, 0, v15
	v_cndmask_b32_e64 v11, v15, -v15, vcc
	v_cmp_ngt_f32_e32 vcc, v6, v11
                                        ; implicit-def: $vgpr14
	s_and_saveexec_b64 s[22:23], vcc
	s_xor_b64 s[28:29], exec, s[22:23]
	s_cbranch_execnz .LBB39_93
; %bb.86:                               ;   in Loop: Header=BB39_14 Depth=3
	s_andn2_saveexec_b64 s[28:29], s[28:29]
	s_cbranch_execnz .LBB39_96
.LBB39_87:                              ;   in Loop: Header=BB39_14 Depth=3
	s_or_b64 exec, exec, s[28:29]
	v_cmp_class_f32_e64 s[28:29], v14, s4
	s_and_saveexec_b64 s[22:23], s[28:29]
	s_cbranch_execz .LBB39_12
	s_branch .LBB39_97
.LBB39_88:                              ;   in Loop: Header=BB39_14 Depth=3
	v_cmp_lt_i32_e32 vcc, v6, v37
	s_and_saveexec_b64 s[28:29], vcc
	s_cbranch_execz .LBB39_101
; %bb.89:                               ;   in Loop: Header=BB39_14 Depth=3
	s_mov_b64 s[30:31], 0
                                        ; implicit-def: $sgpr70_sgpr71
                                        ; implicit-def: $sgpr74_sgpr75
                                        ; implicit-def: $sgpr76_sgpr77
	s_branch .LBB39_91
.LBB39_90:                              ;   in Loop: Header=BB39_91 Depth=4
	s_or_b64 exec, exec, s[82:83]
	s_and_b64 s[82:83], exec, s[74:75]
	s_or_b64 s[30:31], s[82:83], s[30:31]
	s_andn2_b64 s[70:71], s[70:71], exec
	s_and_b64 s[82:83], s[76:77], exec
	s_or_b64 s[70:71], s[70:71], s[82:83]
	s_andn2_b64 exec, exec, s[30:31]
	s_cbranch_execz .LBB39_98
.LBB39_91:                              ;   Parent Loop BB39_5 Depth=1
                                        ;     Parent Loop BB39_9 Depth=2
                                        ;       Parent Loop BB39_14 Depth=3
                                        ; =>      This Inner Loop Header: Depth=4
	v_add_u32_e32 v20, v12, v6
	v_ashrrev_i32_e32 v21, 31, v20
	v_lshlrev_b64 v[22:23], 2, v[20:21]
	v_mov_b32_e32 v11, s49
	v_add_co_u32_e32 v22, vcc, s48, v22
	v_addc_co_u32_e32 v23, vcc, v11, v23, vcc
	global_load_dword v11, v[22:23], off
	s_or_b64 s[76:77], s[76:77], exec
	s_or_b64 s[74:75], s[74:75], exec
	s_waitcnt vmcnt(0)
	v_subrev_u32_e32 v11, s66, v11
	v_cmp_ne_u32_e32 vcc, v11, v14
	s_and_saveexec_b64 s[82:83], vcc
	s_cbranch_execz .LBB39_90
; %bb.92:                               ;   in Loop: Header=BB39_91 Depth=4
	v_add_u32_e32 v6, 1, v6
	v_cmp_ge_i32_e32 vcc, v6, v37
	s_andn2_b64 s[74:75], s[74:75], exec
	s_and_b64 s[92:93], vcc, exec
	s_andn2_b64 s[76:77], s[76:77], exec
	s_or_b64 s[74:75], s[74:75], s[92:93]
	s_branch .LBB39_90
.LBB39_93:                              ;   in Loop: Header=BB39_14 Depth=3
	v_cmp_neq_f32_e32 vcc, 0, v15
	v_mov_b32_e32 v14, 0
	s_and_saveexec_b64 s[30:31], vcc
	s_cbranch_execz .LBB39_95
; %bb.94:                               ;   in Loop: Header=BB39_14 Depth=3
	v_div_scale_f32 v14, s[22:23], v11, v11, v6
	v_rcp_f32_e32 v15, v14
	v_div_scale_f32 v16, vcc, v6, v11, v6
	v_fma_f32 v17, -v14, v15, 1.0
	v_fmac_f32_e32 v15, v17, v15
	v_mul_f32_e32 v17, v16, v15
	v_fma_f32 v18, -v14, v17, v16
	v_fmac_f32_e32 v17, v18, v15
	v_fma_f32 v14, -v14, v17, v16
	v_div_fmas_f32 v14, v14, v15, v17
	v_div_fixup_f32 v6, v14, v11, v6
	v_fma_f32 v6, v6, v6, 1.0
	v_mul_f32_e32 v14, 0x4f800000, v6
	v_cmp_gt_f32_e32 vcc, s1, v6
	v_cndmask_b32_e32 v6, v6, v14, vcc
	v_sqrt_f32_e32 v14, v6
	v_add_u32_e32 v15, -1, v14
	v_fma_f32 v16, -v15, v14, v6
	v_cmp_ge_f32_e64 s[22:23], 0, v16
	v_add_u32_e32 v16, 1, v14
	v_cndmask_b32_e64 v15, v14, v15, s[22:23]
	v_fma_f32 v14, -v16, v14, v6
	v_cmp_lt_f32_e64 s[22:23], 0, v14
	v_cndmask_b32_e64 v14, v15, v16, s[22:23]
	v_mul_f32_e32 v15, 0x37800000, v14
	v_cndmask_b32_e32 v14, v14, v15, vcc
	v_cmp_class_f32_e32 vcc, v6, v35
	v_cndmask_b32_e32 v6, v14, v6, vcc
	v_mul_f32_e32 v14, v11, v6
.LBB39_95:                              ;   in Loop: Header=BB39_14 Depth=3
	s_or_b64 exec, exec, s[30:31]
                                        ; implicit-def: $vgpr6
                                        ; implicit-def: $vgpr11
	s_andn2_saveexec_b64 s[28:29], s[28:29]
	s_cbranch_execz .LBB39_87
.LBB39_96:                              ;   in Loop: Header=BB39_14 Depth=3
	v_div_scale_f32 v14, s[22:23], v6, v6, v11
	v_rcp_f32_e32 v15, v14
	v_div_scale_f32 v16, vcc, v11, v6, v11
	v_fma_f32 v17, -v14, v15, 1.0
	v_fmac_f32_e32 v15, v17, v15
	v_mul_f32_e32 v17, v16, v15
	v_fma_f32 v18, -v14, v17, v16
	v_fmac_f32_e32 v17, v18, v15
	v_fma_f32 v14, -v14, v17, v16
	v_div_fmas_f32 v14, v14, v15, v17
	v_div_fixup_f32 v11, v14, v6, v11
	v_fma_f32 v11, v11, v11, 1.0
	v_mul_f32_e32 v14, 0x4f800000, v11
	v_cmp_gt_f32_e32 vcc, s1, v11
	v_cndmask_b32_e32 v11, v11, v14, vcc
	v_sqrt_f32_e32 v14, v11
	v_add_u32_e32 v15, -1, v14
	v_fma_f32 v16, -v15, v14, v11
	v_cmp_ge_f32_e64 s[22:23], 0, v16
	v_add_u32_e32 v16, 1, v14
	v_cndmask_b32_e64 v15, v14, v15, s[22:23]
	v_fma_f32 v14, -v16, v14, v11
	v_cmp_lt_f32_e64 s[22:23], 0, v14
	v_cndmask_b32_e64 v14, v15, v16, s[22:23]
	v_mul_f32_e32 v15, 0x37800000, v14
	v_cndmask_b32_e32 v14, v14, v15, vcc
	v_cmp_class_f32_e32 vcc, v11, v35
	v_cndmask_b32_e32 v11, v14, v11, vcc
	v_mul_f32_e32 v14, v6, v11
	s_or_b64 exec, exec, s[28:29]
	v_cmp_class_f32_e64 s[28:29], v14, s4
	s_and_saveexec_b64 s[22:23], s[28:29]
	s_cbranch_execz .LBB39_12
.LBB39_97:                              ;   in Loop: Header=BB39_14 Depth=3
	v_cmp_lt_f32_e32 vcc, v2, v14
	v_cndmask_b32_e32 v2, v2, v14, vcc
	s_branch .LBB39_12
.LBB39_98:                              ;   in Loop: Header=BB39_14 Depth=3
	s_or_b64 exec, exec, s[30:31]
	s_and_saveexec_b64 s[30:31], s[70:71]
	s_xor_b64 s[30:31], exec, s[30:31]
	s_cbranch_execz .LBB39_100
; %bb.99:                               ;   in Loop: Header=BB39_14 Depth=3
	v_lshlrev_b64 v[20:21], 3, v[20:21]
	v_mov_b32_e32 v6, s51
	v_add_co_u32_e32 v20, vcc, s50, v20
	v_addc_co_u32_e32 v21, vcc, v6, v21, vcc
	v_lshlrev_b64 v[22:23], 3, v[14:15]
	v_mov_b32_e32 v6, s61
	v_add_co_u32_e32 v22, vcc, s60, v22
	v_addc_co_u32_e32 v23, vcc, v6, v23, vcc
	global_load_dwordx2 v[20:21], v[20:21], off
	s_nop 0
	global_load_dwordx2 v[22:23], v[22:23], off
	s_waitcnt vmcnt(0)
	v_pk_mul_f32 v[24:25], v[22:23], v[20:21] op_sel:[1,1] op_sel_hi:[1,0] neg_lo:[0,1]
	v_pk_fma_f32 v[20:21], v[20:21], v[22:23], v[24:25] op_sel_hi:[1,0,1]
	v_pk_add_f32 v[16:17], v[16:17], v[20:21]
.LBB39_100:                             ;   in Loop: Header=BB39_14 Depth=3
	s_or_b64 exec, exec, s[30:31]
.LBB39_101:                             ;   in Loop: Header=BB39_14 Depth=3
	s_or_b64 exec, exec, s[28:29]
                                        ; implicit-def: $vgpr22
                                        ; implicit-def: $vgpr20
                                        ; implicit-def: $vgpr41
	s_andn2_saveexec_b64 s[22:23], s[22:23]
	s_cbranch_execz .LBB39_83
.LBB39_102:                             ;   in Loop: Header=BB39_14 Depth=3
	s_mov_b64 s[28:29], 0
                                        ; implicit-def: $sgpr30_sgpr31
                                        ; implicit-def: $sgpr74_sgpr75
                                        ; implicit-def: $sgpr70_sgpr71
	s_branch .LBB39_104
.LBB39_103:                             ;   in Loop: Header=BB39_104 Depth=4
	s_or_b64 exec, exec, s[76:77]
	s_and_b64 s[76:77], exec, s[74:75]
	s_or_b64 s[28:29], s[76:77], s[28:29]
	s_andn2_b64 s[30:31], s[30:31], exec
	s_and_b64 s[76:77], s[70:71], exec
	s_or_b64 s[30:31], s[30:31], s[76:77]
	s_andn2_b64 exec, exec, s[28:29]
	s_cbranch_execz .LBB39_106
.LBB39_104:                             ;   Parent Loop BB39_5 Depth=1
                                        ;     Parent Loop BB39_9 Depth=2
                                        ;       Parent Loop BB39_14 Depth=3
                                        ; =>      This Inner Loop Header: Depth=4
	v_add_u32_e32 v24, v20, v22
	v_ashrrev_i32_e32 v25, 31, v24
	v_lshlrev_b64 v[26:27], 2, v[24:25]
	v_mov_b32_e32 v6, s41
	v_add_co_u32_e32 v26, vcc, s40, v26
	v_addc_co_u32_e32 v27, vcc, v6, v27, vcc
	global_load_dword v6, v[26:27], off
	s_or_b64 s[70:71], s[70:71], exec
	s_or_b64 s[74:75], s[74:75], exec
	s_waitcnt vmcnt(0)
	v_subrev_u32_e32 v6, s67, v6
	v_cmp_ne_u32_e32 vcc, v6, v8
	s_and_saveexec_b64 s[76:77], vcc
	s_cbranch_execz .LBB39_103
; %bb.105:                              ;   in Loop: Header=BB39_104 Depth=4
	v_add_u32_e32 v22, 1, v22
	v_cmp_ge_i32_e32 vcc, v22, v41
	s_andn2_b64 s[74:75], s[74:75], exec
	s_and_b64 s[82:83], vcc, exec
	s_andn2_b64 s[70:71], s[70:71], exec
	s_or_b64 s[74:75], s[74:75], s[82:83]
	s_branch .LBB39_103
.LBB39_106:                             ;   in Loop: Header=BB39_14 Depth=3
	s_or_b64 exec, exec, s[28:29]
	s_and_saveexec_b64 s[28:29], s[30:31]
	s_xor_b64 s[28:29], exec, s[28:29]
	s_cbranch_execz .LBB39_108
; %bb.107:                              ;   in Loop: Header=BB39_14 Depth=3
	v_lshlrev_b64 v[20:21], 3, v[24:25]
	v_mov_b32_e32 v6, s43
	v_add_co_u32_e32 v20, vcc, s42, v20
	v_addc_co_u32_e32 v21, vcc, v6, v21, vcc
	global_load_dwordx2 v[20:21], v[20:21], off
	s_waitcnt vmcnt(0)
	v_pk_add_f32 v[16:17], v[16:17], v[20:21]
.LBB39_108:                             ;   in Loop: Header=BB39_14 Depth=3
	s_or_b64 exec, exec, s[28:29]
	s_or_b64 exec, exec, s[22:23]
	v_cmp_eq_u32_e32 vcc, v8, v14
	s_and_saveexec_b64 s[22:23], vcc
	s_cbranch_execnz .LBB39_84
	s_branch .LBB39_85
.LBB39_109:                             ;   in Loop: Header=BB39_14 Depth=3
	v_cmp_neq_f32_e32 vcc, 0, v24
	v_mov_b32_e32 v23, 0
	s_and_saveexec_b64 s[30:31], vcc
	s_cbranch_execz .LBB39_111
; %bb.110:                              ;   in Loop: Header=BB39_14 Depth=3
	v_div_scale_f32 v23, s[22:23], v21, v21, v11
	v_rcp_f32_e32 v24, v23
	v_div_scale_f32 v25, vcc, v11, v21, v11
	v_fma_f32 v26, -v23, v24, 1.0
	v_fmac_f32_e32 v24, v26, v24
	v_mul_f32_e32 v26, v25, v24
	v_fma_f32 v27, -v23, v26, v25
	v_fmac_f32_e32 v26, v27, v24
	v_fma_f32 v23, -v23, v26, v25
	v_div_fmas_f32 v23, v23, v24, v26
	v_div_fixup_f32 v11, v23, v21, v11
	v_fma_f32 v11, v11, v11, 1.0
	v_mul_f32_e32 v23, 0x4f800000, v11
	v_cmp_gt_f32_e32 vcc, s1, v11
	v_cndmask_b32_e32 v11, v11, v23, vcc
	v_sqrt_f32_e32 v23, v11
	v_add_u32_e32 v24, -1, v23
	v_fma_f32 v26, -v24, v23, v11
	v_add_u32_e32 v25, 1, v23
	v_cmp_ge_f32_e64 s[22:23], 0, v26
	v_cndmask_b32_e64 v24, v23, v24, s[22:23]
	v_fma_f32 v23, -v25, v23, v11
	v_cmp_lt_f32_e64 s[22:23], 0, v23
	v_cndmask_b32_e64 v23, v24, v25, s[22:23]
	v_mul_f32_e32 v24, 0x37800000, v23
	v_cndmask_b32_e32 v23, v23, v24, vcc
	v_cmp_class_f32_e32 vcc, v11, v35
	v_cndmask_b32_e32 v11, v23, v11, vcc
	v_mul_f32_e32 v23, v21, v11
.LBB39_111:                             ;   in Loop: Header=BB39_14 Depth=3
	s_or_b64 exec, exec, s[30:31]
                                        ; implicit-def: $vgpr11
                                        ; implicit-def: $vgpr21
	s_andn2_saveexec_b64 s[28:29], s[28:29]
	s_cbranch_execz .LBB39_45
.LBB39_112:                             ;   in Loop: Header=BB39_14 Depth=3
	v_div_scale_f32 v23, s[22:23], v11, v11, v21
	v_rcp_f32_e32 v24, v23
	v_div_scale_f32 v25, vcc, v21, v11, v21
	v_fma_f32 v26, -v23, v24, 1.0
	v_fmac_f32_e32 v24, v26, v24
	v_mul_f32_e32 v26, v25, v24
	v_fma_f32 v27, -v23, v26, v25
	v_fmac_f32_e32 v26, v27, v24
	v_fma_f32 v23, -v23, v26, v25
	v_div_fmas_f32 v23, v23, v24, v26
	v_div_fixup_f32 v21, v23, v11, v21
	v_fma_f32 v21, v21, v21, 1.0
	v_mul_f32_e32 v23, 0x4f800000, v21
	v_cmp_gt_f32_e32 vcc, s1, v21
	v_cndmask_b32_e32 v21, v21, v23, vcc
	v_sqrt_f32_e32 v23, v21
	v_add_u32_e32 v24, -1, v23
	v_fma_f32 v26, -v24, v23, v21
	v_add_u32_e32 v25, 1, v23
	v_cmp_ge_f32_e64 s[22:23], 0, v26
	v_cndmask_b32_e64 v24, v23, v24, s[22:23]
	v_fma_f32 v23, -v25, v23, v21
	v_cmp_lt_f32_e64 s[22:23], 0, v23
	v_cndmask_b32_e64 v23, v24, v25, s[22:23]
	v_mul_f32_e32 v24, 0x37800000, v23
	v_cndmask_b32_e32 v23, v23, v24, vcc
	v_cmp_class_f32_e32 vcc, v21, v35
	v_cndmask_b32_e32 v21, v23, v21, vcc
	v_mul_f32_e32 v23, v11, v21
	s_or_b64 exec, exec, s[28:29]
	v_cmp_class_f32_e64 s[28:29], v23, s4
	s_and_saveexec_b64 s[22:23], s[28:29]
	s_cbranch_execnz .LBB39_46
	s_branch .LBB39_47
.LBB39_113:                             ;   in Loop: Header=BB39_14 Depth=3
	v_cmp_neq_f32_e32 vcc, 0, v24
	v_mov_b32_e32 v23, 0
	s_and_saveexec_b64 s[74:75], vcc
	s_cbranch_execz .LBB39_115
; %bb.114:                              ;   in Loop: Header=BB39_14 Depth=3
	v_div_scale_f32 v23, s[22:23], v21, v21, v11
	v_rcp_f32_e32 v24, v23
	v_div_scale_f32 v25, vcc, v11, v21, v11
	v_fma_f32 v26, -v23, v24, 1.0
	v_fmac_f32_e32 v24, v26, v24
	v_mul_f32_e32 v26, v25, v24
	v_fma_f32 v27, -v23, v26, v25
	v_fmac_f32_e32 v26, v27, v24
	v_fma_f32 v23, -v23, v26, v25
	v_div_fmas_f32 v23, v23, v24, v26
	v_div_fixup_f32 v11, v23, v21, v11
	v_fma_f32 v11, v11, v11, 1.0
	v_mul_f32_e32 v23, 0x4f800000, v11
	v_cmp_gt_f32_e32 vcc, s1, v11
	v_cndmask_b32_e32 v11, v11, v23, vcc
	v_sqrt_f32_e32 v23, v11
	v_add_u32_e32 v24, -1, v23
	v_fma_f32 v26, -v24, v23, v11
	v_add_u32_e32 v25, 1, v23
	v_cmp_ge_f32_e64 s[22:23], 0, v26
	v_cndmask_b32_e64 v24, v23, v24, s[22:23]
	v_fma_f32 v23, -v25, v23, v11
	v_cmp_lt_f32_e64 s[22:23], 0, v23
	v_cndmask_b32_e64 v23, v24, v25, s[22:23]
	v_mul_f32_e32 v24, 0x37800000, v23
	v_cndmask_b32_e32 v23, v23, v24, vcc
	v_cmp_class_f32_e32 vcc, v11, v35
	v_cndmask_b32_e32 v11, v23, v11, vcc
	v_mul_f32_e32 v23, v21, v11
.LBB39_115:                             ;   in Loop: Header=BB39_14 Depth=3
	s_or_b64 exec, exec, s[74:75]
                                        ; implicit-def: $vgpr11
                                        ; implicit-def: $vgpr21
	s_andn2_saveexec_b64 s[30:31], s[30:31]
	s_cbranch_execz .LBB39_75
.LBB39_116:                             ;   in Loop: Header=BB39_14 Depth=3
	v_div_scale_f32 v23, s[22:23], v11, v11, v21
	v_rcp_f32_e32 v24, v23
	v_div_scale_f32 v25, vcc, v21, v11, v21
	v_fma_f32 v26, -v23, v24, 1.0
	v_fmac_f32_e32 v24, v26, v24
	v_mul_f32_e32 v26, v25, v24
	v_fma_f32 v27, -v23, v26, v25
	v_fmac_f32_e32 v26, v27, v24
	v_fma_f32 v23, -v23, v26, v25
	v_div_fmas_f32 v23, v23, v24, v26
	v_div_fixup_f32 v21, v23, v11, v21
	v_fma_f32 v21, v21, v21, 1.0
	v_mul_f32_e32 v23, 0x4f800000, v21
	v_cmp_gt_f32_e32 vcc, s1, v21
	v_cndmask_b32_e32 v21, v21, v23, vcc
	v_sqrt_f32_e32 v23, v21
	v_add_u32_e32 v24, -1, v23
	v_fma_f32 v26, -v24, v23, v21
	v_add_u32_e32 v25, 1, v23
	v_cmp_ge_f32_e64 s[22:23], 0, v26
	v_cndmask_b32_e64 v24, v23, v24, s[22:23]
	v_fma_f32 v23, -v25, v23, v21
	v_cmp_lt_f32_e64 s[22:23], 0, v23
	v_cndmask_b32_e64 v23, v24, v25, s[22:23]
	v_mul_f32_e32 v24, 0x37800000, v23
	v_cndmask_b32_e32 v23, v23, v24, vcc
	v_cmp_class_f32_e32 vcc, v21, v35
	v_cndmask_b32_e32 v21, v23, v21, vcc
	v_mul_f32_e32 v23, v11, v21
	s_or_b64 exec, exec, s[30:31]
	v_cmp_class_f32_e64 s[30:31], v23, s4
	s_and_saveexec_b64 s[22:23], s[30:31]
	s_cbranch_execnz .LBB39_76
	s_branch .LBB39_77
.LBB39_117:                             ;   in Loop: Header=BB39_14 Depth=3
	v_cmp_neq_f32_e32 vcc, 0, v24
	v_mov_b32_e32 v23, 0
	s_and_saveexec_b64 s[74:75], vcc
	s_cbranch_execz .LBB39_119
; %bb.118:                              ;   in Loop: Header=BB39_14 Depth=3
	v_div_scale_f32 v23, s[22:23], v21, v21, v11
	v_rcp_f32_e32 v24, v23
	v_div_scale_f32 v25, vcc, v11, v21, v11
	v_fma_f32 v26, -v23, v24, 1.0
	v_fmac_f32_e32 v24, v26, v24
	v_mul_f32_e32 v26, v25, v24
	v_fma_f32 v27, -v23, v26, v25
	v_fmac_f32_e32 v26, v27, v24
	v_fma_f32 v23, -v23, v26, v25
	v_div_fmas_f32 v23, v23, v24, v26
	v_div_fixup_f32 v11, v23, v21, v11
	v_fma_f32 v11, v11, v11, 1.0
	v_mul_f32_e32 v23, 0x4f800000, v11
	v_cmp_gt_f32_e32 vcc, s1, v11
	v_cndmask_b32_e32 v11, v11, v23, vcc
	v_sqrt_f32_e32 v23, v11
	v_add_u32_e32 v24, -1, v23
	v_fma_f32 v26, -v24, v23, v11
	v_add_u32_e32 v25, 1, v23
	v_cmp_ge_f32_e64 s[22:23], 0, v26
	v_cndmask_b32_e64 v24, v23, v24, s[22:23]
	v_fma_f32 v23, -v25, v23, v11
	v_cmp_lt_f32_e64 s[22:23], 0, v23
	v_cndmask_b32_e64 v23, v24, v25, s[22:23]
	v_mul_f32_e32 v24, 0x37800000, v23
	v_cndmask_b32_e32 v23, v23, v24, vcc
	v_cmp_class_f32_e32 vcc, v11, v35
	v_cndmask_b32_e32 v11, v23, v11, vcc
	v_mul_f32_e32 v23, v21, v11
.LBB39_119:                             ;   in Loop: Header=BB39_14 Depth=3
	s_or_b64 exec, exec, s[74:75]
                                        ; implicit-def: $vgpr11
                                        ; implicit-def: $vgpr21
	s_andn2_saveexec_b64 s[30:31], s[30:31]
	s_cbranch_execz .LBB39_59
.LBB39_120:                             ;   in Loop: Header=BB39_14 Depth=3
	v_div_scale_f32 v23, s[22:23], v11, v11, v21
	v_rcp_f32_e32 v24, v23
	v_div_scale_f32 v25, vcc, v21, v11, v21
	v_fma_f32 v26, -v23, v24, 1.0
	v_fmac_f32_e32 v24, v26, v24
	v_mul_f32_e32 v26, v25, v24
	v_fma_f32 v27, -v23, v26, v25
	v_fmac_f32_e32 v26, v27, v24
	v_fma_f32 v23, -v23, v26, v25
	v_div_fmas_f32 v23, v23, v24, v26
	v_div_fixup_f32 v21, v23, v11, v21
	v_fma_f32 v21, v21, v21, 1.0
	v_mul_f32_e32 v23, 0x4f800000, v21
	v_cmp_gt_f32_e32 vcc, s1, v21
	v_cndmask_b32_e32 v21, v21, v23, vcc
	v_sqrt_f32_e32 v23, v21
	v_add_u32_e32 v24, -1, v23
	v_fma_f32 v26, -v24, v23, v21
	v_add_u32_e32 v25, 1, v23
	v_cmp_ge_f32_e64 s[22:23], 0, v26
	v_cndmask_b32_e64 v24, v23, v24, s[22:23]
	v_fma_f32 v23, -v25, v23, v21
	v_cmp_lt_f32_e64 s[22:23], 0, v23
	v_cndmask_b32_e64 v23, v24, v25, s[22:23]
	v_mul_f32_e32 v24, 0x37800000, v23
	v_cndmask_b32_e32 v23, v23, v24, vcc
	v_cmp_class_f32_e32 vcc, v21, v35
	v_cndmask_b32_e32 v21, v23, v21, vcc
	v_mul_f32_e32 v23, v11, v21
	s_or_b64 exec, exec, s[30:31]
	v_cmp_class_f32_e64 s[30:31], v23, s4
	s_and_saveexec_b64 s[22:23], s[30:31]
	s_cbranch_execnz .LBB39_60
	s_branch .LBB39_61
.LBB39_121:                             ;   in Loop: Header=BB39_5 Depth=1
	s_and_b64 vcc, exec, s[34:35]
	s_cbranch_vccz .LBB39_137
; %bb.122:                              ;   in Loop: Header=BB39_5 Depth=1
	v_mov_b32_dpp v6, v4 row_shr:1 row_mask:0xf bank_mask:0xf
	v_cmp_lt_f32_e32 vcc, v4, v6
	v_cndmask_b32_e32 v4, v4, v6, vcc
	s_nop 1
	v_mov_b32_dpp v6, v4 row_shr:2 row_mask:0xf bank_mask:0xf
	v_cmp_lt_f32_e32 vcc, v4, v6
	v_cndmask_b32_e32 v4, v4, v6, vcc
	s_nop 1
	;; [unrolled: 4-line block ×3, first 2 shown]
	v_mov_b32_dpp v6, v4 row_shr:8 row_mask:0xf bank_mask:0xc
	s_mov_b64 s[20:21], exec
	v_readlane_b32 s2, v44, 12
	v_readlane_b32 s3, v44, 13
	s_and_b64 s[2:3], s[20:21], s[2:3]
	s_mov_b64 exec, s[2:3]
	s_cbranch_execz .LBB39_124
; %bb.123:                              ;   in Loop: Header=BB39_5 Depth=1
	v_cmp_lt_f32_e32 vcc, v4, v6
	v_cndmask_b32_e32 v4, v4, v6, vcc
	ds_write_b32 v32, v4
.LBB39_124:                             ;   in Loop: Header=BB39_5 Depth=1
	s_or_b64 exec, exec, s[20:21]
	s_waitcnt lgkmcnt(0)
	s_barrier
	s_and_saveexec_b64 s[20:21], s[6:7]
	s_cbranch_execz .LBB39_126
; %bb.125:                              ;   in Loop: Header=BB39_5 Depth=1
	ds_read2_b32 v[8:9], v1 offset1:32
	s_waitcnt lgkmcnt(0)
	v_cmp_lt_f32_e32 vcc, v8, v9
	v_cndmask_b32_e32 v4, v8, v9, vcc
	ds_write_b32 v1, v4
.LBB39_126:                             ;   in Loop: Header=BB39_5 Depth=1
	s_or_b64 exec, exec, s[20:21]
	s_waitcnt lgkmcnt(0)
	s_barrier
	s_and_saveexec_b64 s[20:21], s[8:9]
	s_cbranch_execz .LBB39_128
; %bb.127:                              ;   in Loop: Header=BB39_5 Depth=1
	ds_read2_b32 v[8:9], v1 offset1:16
	s_waitcnt lgkmcnt(0)
	v_cmp_lt_f32_e32 vcc, v8, v9
	v_cndmask_b32_e32 v4, v8, v9, vcc
	ds_write_b32 v1, v4
.LBB39_128:                             ;   in Loop: Header=BB39_5 Depth=1
	;; [unrolled: 12-line block ×5, first 2 shown]
	s_or_b64 exec, exec, s[20:21]
	s_waitcnt lgkmcnt(0)
	s_barrier
	s_and_saveexec_b64 s[20:21], s[16:17]
	s_cbranch_execz .LBB39_136
; %bb.135:                              ;   in Loop: Header=BB39_5 Depth=1
	ds_read_b64 v[8:9], v36
	s_waitcnt lgkmcnt(0)
	v_cmp_lt_f32_e32 vcc, v8, v9
	v_cndmask_b32_e32 v4, v8, v9, vcc
	ds_write_b32 v36, v4
.LBB39_136:                             ;   in Loop: Header=BB39_5 Depth=1
	s_or_b64 exec, exec, s[20:21]
	v_readlane_b32 s2, v44, 4
	v_readlane_b32 s3, v44, 5
	s_waitcnt lgkmcnt(0)
	s_barrier
	ds_read_b32 v4, v36
	s_load_dword s20, s[2:3], 0x0
	s_waitcnt lgkmcnt(0)
	v_div_scale_f32 v6, s[2:3], s20, s20, v4
	v_rcp_f32_e32 v8, v6
	v_div_scale_f32 v9, vcc, v4, s20, v4
	v_fma_f32 v10, -v6, v8, 1.0
	v_fmac_f32_e32 v8, v10, v8
	v_mul_f32_e32 v10, v9, v8
	v_fma_f32 v11, -v6, v10, v9
	v_fmac_f32_e32 v10, v11, v8
	v_fma_f32 v6, -v6, v10, v9
	v_div_fmas_f32 v6, v6, v8, v10
	v_div_fixup_f32 v4, v6, s20, v4
.LBB39_137:                             ;   in Loop: Header=BB39_5 Depth=1
	s_andn2_b64 vcc, exec, s[26:27]
	s_cbranch_vccnz .LBB39_153
; %bb.138:                              ;   in Loop: Header=BB39_5 Depth=1
	v_mov_b32_dpp v6, v2 row_shr:1 row_mask:0xf bank_mask:0xf
	v_cmp_lt_f32_e32 vcc, v2, v6
	v_cndmask_b32_e32 v2, v2, v6, vcc
	s_nop 1
	v_mov_b32_dpp v6, v2 row_shr:2 row_mask:0xf bank_mask:0xf
	v_cmp_lt_f32_e32 vcc, v2, v6
	v_cndmask_b32_e32 v2, v2, v6, vcc
	s_nop 1
	;; [unrolled: 4-line block ×3, first 2 shown]
	v_mov_b32_dpp v6, v2 row_shr:8 row_mask:0xf bank_mask:0xc
	s_mov_b64 s[20:21], exec
	v_readlane_b32 s2, v44, 12
	v_readlane_b32 s3, v44, 13
	s_and_b64 s[2:3], s[20:21], s[2:3]
	s_mov_b64 exec, s[2:3]
	s_cbranch_execz .LBB39_140
; %bb.139:                              ;   in Loop: Header=BB39_5 Depth=1
	v_cmp_lt_f32_e32 vcc, v2, v6
	v_cndmask_b32_e32 v2, v2, v6, vcc
	ds_write_b32 v32, v2
.LBB39_140:                             ;   in Loop: Header=BB39_5 Depth=1
	s_or_b64 exec, exec, s[20:21]
	s_waitcnt lgkmcnt(0)
	s_barrier
	s_and_saveexec_b64 s[20:21], s[6:7]
	s_cbranch_execz .LBB39_142
; %bb.141:                              ;   in Loop: Header=BB39_5 Depth=1
	ds_read2_b32 v[8:9], v1 offset1:32
	s_waitcnt lgkmcnt(0)
	v_cmp_lt_f32_e32 vcc, v8, v9
	v_cndmask_b32_e32 v2, v8, v9, vcc
	ds_write_b32 v1, v2
.LBB39_142:                             ;   in Loop: Header=BB39_5 Depth=1
	s_or_b64 exec, exec, s[20:21]
	s_waitcnt lgkmcnt(0)
	s_barrier
	s_and_saveexec_b64 s[20:21], s[8:9]
	s_cbranch_execz .LBB39_144
; %bb.143:                              ;   in Loop: Header=BB39_5 Depth=1
	ds_read2_b32 v[8:9], v1 offset1:16
	s_waitcnt lgkmcnt(0)
	v_cmp_lt_f32_e32 vcc, v8, v9
	v_cndmask_b32_e32 v2, v8, v9, vcc
	ds_write_b32 v1, v2
.LBB39_144:                             ;   in Loop: Header=BB39_5 Depth=1
	;; [unrolled: 12-line block ×5, first 2 shown]
	s_or_b64 exec, exec, s[20:21]
	s_waitcnt lgkmcnt(0)
	s_barrier
	s_and_saveexec_b64 s[20:21], s[16:17]
	s_cbranch_execz .LBB39_152
; %bb.151:                              ;   in Loop: Header=BB39_5 Depth=1
	ds_read_b64 v[8:9], v36
	s_waitcnt lgkmcnt(0)
	v_cmp_lt_f32_e32 vcc, v8, v9
	v_cndmask_b32_e32 v2, v8, v9, vcc
	ds_write_b32 v36, v2
.LBB39_152:                             ;   in Loop: Header=BB39_5 Depth=1
	s_or_b64 exec, exec, s[20:21]
	v_readlane_b32 s2, v44, 4
	v_readlane_b32 s3, v44, 5
	s_waitcnt lgkmcnt(0)
	s_barrier
	ds_read_b32 v2, v36
	s_load_dword s20, s[2:3], 0x0
	s_waitcnt lgkmcnt(0)
	v_div_scale_f32 v6, s[2:3], s20, s20, v2
	v_rcp_f32_e32 v8, v6
	v_div_scale_f32 v9, vcc, v2, s20, v2
	v_fma_f32 v10, -v6, v8, 1.0
	v_fmac_f32_e32 v8, v10, v8
	v_mul_f32_e32 v10, v9, v8
	v_fma_f32 v11, -v6, v10, v9
	v_fmac_f32_e32 v10, v11, v8
	v_fma_f32 v6, -v6, v10, v9
	v_div_fmas_f32 v6, v6, v8, v10
	v_div_fixup_f32 v2, v6, s20, v2
.LBB39_153:                             ;   in Loop: Header=BB39_5 Depth=1
	s_mov_b64 s[20:21], exec
	v_readlane_b32 s2, v44, 10
	v_readlane_b32 s3, v44, 11
	s_and_b64 s[2:3], s[20:21], s[2:3]
	s_mov_b64 exec, s[2:3]
	s_cbranch_execz .LBB39_165
; %bb.154:                              ;   in Loop: Header=BB39_5 Depth=1
	s_mov_b64 s[22:23], 0
	v_mov_b32_e32 v8, v30
	s_branch .LBB39_156
.LBB39_155:                             ;   in Loop: Header=BB39_156 Depth=2
	s_or_b64 exec, exec, s[24:25]
	v_add_u32_e32 v8, 64, v8
	v_cmp_le_u32_e32 vcc, s0, v8
	s_or_b64 s[22:23], vcc, s[22:23]
	s_andn2_b64 exec, exec, s[22:23]
	s_cbranch_execz .LBB39_165
.LBB39_156:                             ;   Parent Loop BB39_5 Depth=1
                                        ; =>  This Loop Header: Depth=2
                                        ;       Child Loop BB39_159 Depth 3
                                        ;       Child Loop BB39_162 Depth 3
	v_cmp_gt_i32_e32 vcc, s69, v8
	s_and_saveexec_b64 s[24:25], vcc
	s_cbranch_execz .LBB39_155
; %bb.157:                              ;   in Loop: Header=BB39_156 Depth=2
	v_ashrrev_i32_e32 v9, 31, v8
	v_lshlrev_b64 v[10:11], 2, v[8:9]
	v_mov_b32_e32 v6, s45
	v_add_co_u32_e32 v12, vcc, s44, v10
	v_addc_co_u32_e32 v13, vcc, v6, v11, vcc
	global_load_dword v6, v[12:13], off
	v_mov_b32_e32 v13, s47
	v_add_co_u32_e32 v12, vcc, s46, v10
	v_addc_co_u32_e32 v13, vcc, v13, v11, vcc
	global_load_dword v13, v[12:13], off
	s_waitcnt vmcnt(1)
	v_add_u32_e32 v12, v33, v6
	s_waitcnt vmcnt(0)
	v_subrev_u32_e32 v6, s66, v13
	v_cmp_lt_i32_e32 vcc, v12, v6
	s_and_saveexec_b64 s[28:29], vcc
	s_cbranch_execz .LBB39_160
; %bb.158:                              ;   in Loop: Header=BB39_156 Depth=2
	v_ashrrev_i32_e32 v13, 31, v12
	v_lshlrev_b64 v[16:17], 3, v[12:13]
	v_mov_b32_e32 v13, s79
	v_add_co_u32_e32 v14, vcc, s78, v16
	v_addc_co_u32_e32 v15, vcc, v13, v17, vcc
	v_mov_b32_e32 v13, s51
	v_add_co_u32_e32 v16, vcc, s50, v16
	v_addc_co_u32_e32 v17, vcc, v13, v17, vcc
	s_mov_b64 s[30:31], 0
.LBB39_159:                             ;   Parent Loop BB39_5 Depth=1
                                        ;     Parent Loop BB39_156 Depth=2
                                        ; =>    This Inner Loop Header: Depth=3
	global_load_dwordx2 v[18:19], v[14:15], off
	v_add_co_u32_e32 v14, vcc, 0x80, v14
	v_add_u32_e32 v12, 16, v12
	v_addc_co_u32_e32 v15, vcc, 0, v15, vcc
	v_cmp_ge_i32_e32 vcc, v12, v6
	s_or_b64 s[30:31], vcc, s[30:31]
	s_waitcnt vmcnt(0)
	global_store_dwordx2 v[16:17], v[18:19], off
	v_add_co_u32_e32 v16, vcc, 0x80, v16
	v_addc_co_u32_e32 v17, vcc, 0, v17, vcc
	s_andn2_b64 exec, exec, s[30:31]
	s_cbranch_execnz .LBB39_159
.LBB39_160:                             ;   in Loop: Header=BB39_156 Depth=2
	s_or_b64 exec, exec, s[28:29]
	v_mov_b32_e32 v6, s37
	v_add_co_u32_e32 v12, vcc, s36, v10
	v_addc_co_u32_e32 v13, vcc, v6, v11, vcc
	global_load_dword v6, v[12:13], off
	v_mov_b32_e32 v12, s39
	v_add_co_u32_e32 v10, vcc, s38, v10
	v_addc_co_u32_e32 v11, vcc, v12, v11, vcc
	global_load_dword v11, v[10:11], off
	s_waitcnt vmcnt(1)
	v_add_u32_e32 v10, v34, v6
	s_waitcnt vmcnt(0)
	v_subrev_u32_e32 v6, s67, v11
	v_cmp_lt_i32_e32 vcc, v10, v6
	s_and_saveexec_b64 s[28:29], vcc
	s_cbranch_execz .LBB39_163
; %bb.161:                              ;   in Loop: Header=BB39_156 Depth=2
	v_ashrrev_i32_e32 v11, 31, v10
	v_lshlrev_b64 v[14:15], 3, v[10:11]
	v_mov_b32_e32 v11, s81
	v_add_co_u32_e32 v12, vcc, s80, v14
	v_addc_co_u32_e32 v13, vcc, v11, v15, vcc
	v_mov_b32_e32 v11, s43
	v_add_co_u32_e32 v14, vcc, s42, v14
	v_addc_co_u32_e32 v15, vcc, v11, v15, vcc
	s_mov_b64 s[30:31], 0
.LBB39_162:                             ;   Parent Loop BB39_5 Depth=1
                                        ;     Parent Loop BB39_156 Depth=2
                                        ; =>    This Inner Loop Header: Depth=3
	global_load_dwordx2 v[16:17], v[12:13], off
	v_add_co_u32_e32 v12, vcc, 0x80, v12
	v_add_u32_e32 v10, 16, v10
	v_addc_co_u32_e32 v13, vcc, 0, v13, vcc
	v_cmp_ge_i32_e32 vcc, v10, v6
	s_or_b64 s[30:31], vcc, s[30:31]
	s_waitcnt vmcnt(0)
	global_store_dwordx2 v[14:15], v[16:17], off
	v_add_co_u32_e32 v14, vcc, 0x80, v14
	v_addc_co_u32_e32 v15, vcc, 0, v15, vcc
	s_andn2_b64 exec, exec, s[30:31]
	s_cbranch_execnz .LBB39_162
.LBB39_163:                             ;   in Loop: Header=BB39_156 Depth=2
	s_or_b64 exec, exec, s[28:29]
	s_and_b64 exec, exec, s[18:19]
	s_cbranch_execz .LBB39_155
; %bb.164:                              ;   in Loop: Header=BB39_156 Depth=2
	v_lshlrev_b64 v[10:11], 3, v[8:9]
	v_mov_b32_e32 v6, s63
	v_add_co_u32_e32 v12, vcc, s62, v10
	v_addc_co_u32_e32 v13, vcc, v6, v11, vcc
	global_load_dwordx2 v[12:13], v[12:13], off
	v_mov_b32_e32 v6, s61
	v_add_co_u32_e32 v10, vcc, s60, v10
	v_addc_co_u32_e32 v11, vcc, v6, v11, vcc
	s_waitcnt vmcnt(0)
	global_store_dwordx2 v[10:11], v[12:13], off
	s_branch .LBB39_155
.LBB39_165:                             ;   in Loop: Header=BB39_5 Depth=1
	s_or_b64 exec, exec, s[20:21]
	s_mov_b64 s[22:23], -1
	s_mov_b64 s[20:21], -1
	s_and_b64 vcc, exec, s[64:65]
	s_cbranch_vccz .LBB39_175
; %bb.166:                              ;   in Loop: Header=BB39_5 Depth=1
	v_readlane_b32 s2, v44, 14
	v_readlane_b32 s3, v44, 15
	s_and_b64 vcc, exec, s[2:3]
                                        ; implicit-def: $sgpr24_sgpr25
	s_cbranch_vccz .LBB39_172
; %bb.167:                              ;   in Loop: Header=BB39_5 Depth=1
	v_readlane_b32 s2, v44, 6
	v_readlane_b32 s3, v44, 7
	s_and_b64 vcc, exec, s[2:3]
                                        ; implicit-def: $sgpr24_sgpr25
	s_cbranch_vccz .LBB39_169
; %bb.168:                              ;   in Loop: Header=BB39_5 Depth=1
	v_cmp_ge_f32_e32 vcc, s68, v2
	s_mov_b64 s[20:21], 0
	s_and_b64 s[24:25], vcc, exec
.LBB39_169:                             ;   in Loop: Header=BB39_5 Depth=1
	s_andn2_b64 vcc, exec, s[20:21]
	s_cbranch_vccnz .LBB39_171
; %bb.170:                              ;   in Loop: Header=BB39_5 Depth=1
	v_cmp_ge_f32_e32 vcc, s68, v4
	s_andn2_b64 s[2:3], s[24:25], exec
	s_and_b64 s[20:21], vcc, exec
	s_or_b64 s[24:25], s[2:3], s[20:21]
.LBB39_171:                             ;   in Loop: Header=BB39_5 Depth=1
	s_mov_b64 s[20:21], 0
.LBB39_172:                             ;   in Loop: Header=BB39_5 Depth=1
	s_andn2_b64 vcc, exec, s[20:21]
	s_cbranch_vccnz .LBB39_174
; %bb.173:                              ;   in Loop: Header=BB39_5 Depth=1
	v_cmp_ge_f32_e32 vcc, s68, v4
	v_cmp_ge_f32_e64 s[20:21], s68, v2
	s_and_b64 s[2:3], vcc, s[20:21]
	s_andn2_b64 s[20:21], s[24:25], exec
	s_and_b64 s[2:3], s[2:3], exec
	s_or_b64 s[24:25], s[20:21], s[2:3]
.LBB39_174:                             ;   in Loop: Header=BB39_5 Depth=1
	s_xor_b64 s[20:21], s[24:25], -1
.LBB39_175:                             ;   in Loop: Header=BB39_5 Depth=1
	v_mov_b32_e32 v6, s5
	s_and_saveexec_b64 s[24:25], s[20:21]
	s_cbranch_execz .LBB39_4
; %bb.176:                              ;   in Loop: Header=BB39_5 Depth=1
	v_readlane_b32 s2, v44, 0
	s_add_i32 s5, s5, 1
	v_readlane_b32 s3, v44, 1
	s_cmp_eq_u32 s5, s3
	s_mov_b32 s21, s3
	s_cselect_b64 s[2:3], -1, 0
	v_mov_b32_e32 v6, s21
	s_orn2_b64 s[22:23], s[2:3], exec
	s_branch .LBB39_4
.LBB39_177:
	s_or_b64 exec, exec, s[84:85]
	v_readlane_b32 s4, v44, 8
	v_readlane_b32 s5, v44, 9
	s_load_dwordx4 s[20:23], s[4:5], 0xb8
	v_readlane_b32 s6, v44, 2
	v_readlane_b32 s7, v44, 3
	s_or_b64 exec, exec, s[6:7]
	s_andn2_b64 vcc, exec, s[64:65]
	s_cbranch_vccnz .LBB39_2
.LBB39_178:
	v_mov_b32_dpp v7, v6 row_shr:1 row_mask:0xf bank_mask:0xf
	v_max_i32_e32 v6, v6, v7
	v_cmp_eq_u32_e32 vcc, 15, v5
	s_nop 0
	v_mov_b32_dpp v7, v6 row_shr:2 row_mask:0xf bank_mask:0xf
	v_max_i32_e32 v6, v6, v7
	s_nop 1
	v_mov_b32_dpp v7, v6 row_shr:4 row_mask:0xf bank_mask:0xe
	v_max_i32_e32 v6, v6, v7
	s_nop 1
	v_mov_b32_dpp v7, v6 row_shr:8 row_mask:0xf bank_mask:0xc
	s_and_saveexec_b64 s[0:1], vcc
	s_cbranch_execz .LBB39_180
; %bb.179:
	v_lshlrev_b32_e32 v3, 2, v3
	v_max_i32_e32 v5, v6, v7
	ds_write_b32 v3, v5 offset:256
.LBB39_180:
	s_or_b64 exec, exec, s[0:1]
	v_cmp_gt_u32_e32 vcc, 32, v0
	s_waitcnt lgkmcnt(0)
	s_barrier
	s_and_saveexec_b64 s[0:1], vcc
	s_cbranch_execz .LBB39_182
; %bb.181:
	ds_read2_b32 v[6:7], v1 offset0:64 offset1:96
	s_waitcnt lgkmcnt(0)
	v_max_i32_e32 v3, v6, v7
	ds_write_b32 v1, v3 offset:256
.LBB39_182:
	s_or_b64 exec, exec, s[0:1]
	v_cmp_gt_u32_e32 vcc, 16, v0
	s_waitcnt lgkmcnt(0)
	s_barrier
	s_and_saveexec_b64 s[0:1], vcc
	s_cbranch_execz .LBB39_184
; %bb.183:
	ds_read2_b32 v[6:7], v1 offset0:64 offset1:80
	s_waitcnt lgkmcnt(0)
	v_max_i32_e32 v3, v6, v7
	ds_write_b32 v1, v3 offset:256
.LBB39_184:
	;; [unrolled: 12-line block ×5, first 2 shown]
	s_or_b64 exec, exec, s[0:1]
	v_cmp_eq_u32_e32 vcc, 0, v0
	s_waitcnt lgkmcnt(0)
	s_barrier
	s_and_saveexec_b64 s[0:1], vcc
	s_cbranch_execz .LBB39_192
; %bb.191:
	v_mov_b32_e32 v1, 0
	ds_read_b64 v[6:7], v1 offset:256
	s_waitcnt lgkmcnt(0)
	v_max_i32_e32 v3, v6, v7
	ds_write_b32 v1, v3 offset:256
.LBB39_192:
	s_or_b64 exec, exec, s[0:1]
	s_waitcnt lgkmcnt(0)
	s_barrier
	s_and_saveexec_b64 s[0:1], vcc
	s_cbranch_execz .LBB39_195
; %bb.193:
	v_mbcnt_lo_u32_b32 v1, exec_lo, 0
	v_mbcnt_hi_u32_b32 v1, exec_hi, v1
	v_cmp_eq_u32_e32 vcc, 0, v1
	s_and_b64 exec, exec, vcc
	s_cbranch_execz .LBB39_195
; %bb.194:
	v_mov_b32_e32 v1, 0
	ds_read_b32 v3, v1 offset:256
	s_load_dwordx2 s[2:3], s[4:5], 0x8
	s_waitcnt lgkmcnt(0)
	v_add_u32_e32 v3, 1, v3
	global_atomic_smax v1, v3, s[2:3]
.LBB39_195:
	s_or_b64 exec, exec, s[0:1]
	v_cmp_eq_u32_e32 vcc, 0, v0
	s_and_b64 s[0:1], vcc, s[34:35]
	s_and_saveexec_b64 s[4:5], s[0:1]
	s_cbranch_execz .LBB39_200
.LBB39_196:
	v_mov_b32_e32 v0, 0
	s_waitcnt lgkmcnt(0)
	global_load_dword v5, v0, s[20:21] glc
	s_brev_b32 s2, 1
	v_cmp_eq_f32_e64 s[0:1], 0, v4
	s_mov_b64 s[6:7], 0
                                        ; implicit-def: $sgpr8_sgpr9
                                        ; implicit-def: $sgpr12_sgpr13
	s_waitcnt vmcnt(0)
	v_cmp_eq_u32_e64 s[10:11], s2, v5
	s_branch .LBB39_198
.LBB39_197:                             ;   in Loop: Header=BB39_198 Depth=1
	s_or_b64 exec, exec, s[14:15]
	s_and_b64 s[2:3], exec, s[8:9]
	s_or_b64 s[6:7], s[2:3], s[6:7]
	s_andn2_b64 s[2:3], s[10:11], exec
	s_and_b64 s[10:11], s[12:13], exec
	s_or_b64 s[10:11], s[2:3], s[10:11]
	s_andn2_b64 exec, exec, s[6:7]
	s_cbranch_execz .LBB39_200
.LBB39_198:                             ; =>This Inner Loop Header: Depth=1
	v_cmp_lt_f32_e64 s[2:3], v5, v4
	s_and_b64 s[14:15], s[0:1], s[10:11]
	s_or_b64 s[2:3], s[2:3], s[14:15]
	s_andn2_b64 s[12:13], s[12:13], exec
	s_or_b64 s[8:9], s[8:9], exec
	s_and_saveexec_b64 s[14:15], s[2:3]
	s_cbranch_execz .LBB39_197
; %bb.199:                              ;   in Loop: Header=BB39_198 Depth=1
	global_atomic_cmpswap v1, v0, v[4:5], s[20:21] glc
	s_andn2_b64 s[12:13], s[12:13], exec
	s_andn2_b64 s[8:9], s[8:9], exec
                                        ; implicit-def: $sgpr10_sgpr11
	s_waitcnt vmcnt(0)
	v_cmp_eq_u32_e64 s[2:3], v1, v5
	v_cndmask_b32_e64 v3, v1, v5, s[2:3]
	v_cmp_class_f32_e64 s[16:17], v3, 32
	s_and_b64 s[2:3], s[2:3], exec
	s_and_b64 s[16:17], s[16:17], exec
	s_or_b64 s[8:9], s[8:9], s[2:3]
	s_or_b64 s[12:13], s[12:13], s[16:17]
	v_mov_b32_e32 v5, v1
	s_branch .LBB39_197
.LBB39_200:
	s_or_b64 exec, exec, s[4:5]
	s_and_b64 s[0:1], vcc, s[26:27]
	s_and_saveexec_b64 s[2:3], s[0:1]
	s_cbranch_execz .LBB39_205
; %bb.201:
	v_mov_b32_e32 v0, 0
	s_waitcnt lgkmcnt(0)
	global_load_dword v3, v0, s[22:23] glc
	s_brev_b32 s0, 1
	v_cmp_eq_f32_e32 vcc, 0, v2
	s_mov_b64 s[2:3], 0
                                        ; implicit-def: $sgpr4_sgpr5
                                        ; implicit-def: $sgpr8_sgpr9
	s_waitcnt vmcnt(0)
	v_cmp_eq_u32_e64 s[6:7], s0, v3
	s_branch .LBB39_203
.LBB39_202:                             ;   in Loop: Header=BB39_203 Depth=1
	s_or_b64 exec, exec, s[10:11]
	s_and_b64 s[0:1], exec, s[4:5]
	s_or_b64 s[2:3], s[0:1], s[2:3]
	s_andn2_b64 s[0:1], s[6:7], exec
	s_and_b64 s[6:7], s[8:9], exec
	s_or_b64 s[6:7], s[0:1], s[6:7]
	s_andn2_b64 exec, exec, s[2:3]
	s_cbranch_execz .LBB39_205
.LBB39_203:                             ; =>This Inner Loop Header: Depth=1
	v_cmp_lt_f32_e64 s[0:1], v3, v2
	s_and_b64 s[10:11], vcc, s[6:7]
	s_or_b64 s[0:1], s[0:1], s[10:11]
	s_andn2_b64 s[8:9], s[8:9], exec
	s_or_b64 s[4:5], s[4:5], exec
	s_and_saveexec_b64 s[10:11], s[0:1]
	s_cbranch_execz .LBB39_202
; %bb.204:                              ;   in Loop: Header=BB39_203 Depth=1
	global_atomic_cmpswap v1, v0, v[2:3], s[22:23] glc
	s_andn2_b64 s[8:9], s[8:9], exec
	s_andn2_b64 s[4:5], s[4:5], exec
                                        ; implicit-def: $sgpr6_sgpr7
	s_waitcnt vmcnt(0)
	v_cmp_eq_u32_e64 s[0:1], v1, v3
	v_cndmask_b32_e64 v3, v1, v3, s[0:1]
	v_cmp_class_f32_e64 s[12:13], v3, 32
	s_and_b64 s[0:1], s[0:1], exec
	s_and_b64 s[12:13], s[12:13], exec
	s_or_b64 s[4:5], s[4:5], s[0:1]
	s_or_b64 s[8:9], s[8:9], s[12:13]
	v_mov_b32_e32 v3, v1
	s_branch .LBB39_202
.LBB39_205:
	s_endpgm
	.section	.rodata,"a",@progbits
	.p2align	6, 0x0
	.amdhsa_kernel _ZN9rocsparseL6kernelILi1024ELi16E21rocsparse_complex_numIfEiiEEvbbbT3_PS3_NS_15floating_traitsIT1_E6data_tES3_T2_PKS9_SB_PKS3_PKS6_21rocsparse_index_base_SB_SB_SD_PS6_SH_SG_SB_SB_SD_SH_SH_SG_SH_SH_PS8_SI_PKS8_
		.amdhsa_group_segment_fixed_size 512
		.amdhsa_private_segment_fixed_size 0
		.amdhsa_kernarg_size 208
		.amdhsa_user_sgpr_count 6
		.amdhsa_user_sgpr_private_segment_buffer 1
		.amdhsa_user_sgpr_dispatch_ptr 0
		.amdhsa_user_sgpr_queue_ptr 0
		.amdhsa_user_sgpr_kernarg_segment_ptr 1
		.amdhsa_user_sgpr_dispatch_id 0
		.amdhsa_user_sgpr_flat_scratch_init 0
		.amdhsa_user_sgpr_kernarg_preload_length 0
		.amdhsa_user_sgpr_kernarg_preload_offset 0
		.amdhsa_user_sgpr_private_segment_size 0
		.amdhsa_uses_dynamic_stack 0
		.amdhsa_system_sgpr_private_segment_wavefront_offset 0
		.amdhsa_system_sgpr_workgroup_id_x 1
		.amdhsa_system_sgpr_workgroup_id_y 0
		.amdhsa_system_sgpr_workgroup_id_z 0
		.amdhsa_system_sgpr_workgroup_info 0
		.amdhsa_system_vgpr_workitem_id 0
		.amdhsa_next_free_vgpr 45
		.amdhsa_next_free_sgpr 96
		.amdhsa_accum_offset 48
		.amdhsa_reserve_vcc 1
		.amdhsa_reserve_flat_scratch 0
		.amdhsa_float_round_mode_32 0
		.amdhsa_float_round_mode_16_64 0
		.amdhsa_float_denorm_mode_32 3
		.amdhsa_float_denorm_mode_16_64 3
		.amdhsa_dx10_clamp 1
		.amdhsa_ieee_mode 1
		.amdhsa_fp16_overflow 0
		.amdhsa_tg_split 0
		.amdhsa_exception_fp_ieee_invalid_op 0
		.amdhsa_exception_fp_denorm_src 0
		.amdhsa_exception_fp_ieee_div_zero 0
		.amdhsa_exception_fp_ieee_overflow 0
		.amdhsa_exception_fp_ieee_underflow 0
		.amdhsa_exception_fp_ieee_inexact 0
		.amdhsa_exception_int_div_zero 0
	.end_amdhsa_kernel
	.section	.text._ZN9rocsparseL6kernelILi1024ELi16E21rocsparse_complex_numIfEiiEEvbbbT3_PS3_NS_15floating_traitsIT1_E6data_tES3_T2_PKS9_SB_PKS3_PKS6_21rocsparse_index_base_SB_SB_SD_PS6_SH_SG_SB_SB_SD_SH_SH_SG_SH_SH_PS8_SI_PKS8_,"axG",@progbits,_ZN9rocsparseL6kernelILi1024ELi16E21rocsparse_complex_numIfEiiEEvbbbT3_PS3_NS_15floating_traitsIT1_E6data_tES3_T2_PKS9_SB_PKS3_PKS6_21rocsparse_index_base_SB_SB_SD_PS6_SH_SG_SB_SB_SD_SH_SH_SG_SH_SH_PS8_SI_PKS8_,comdat
.Lfunc_end39:
	.size	_ZN9rocsparseL6kernelILi1024ELi16E21rocsparse_complex_numIfEiiEEvbbbT3_PS3_NS_15floating_traitsIT1_E6data_tES3_T2_PKS9_SB_PKS3_PKS6_21rocsparse_index_base_SB_SB_SD_PS6_SH_SG_SB_SB_SD_SH_SH_SG_SH_SH_PS8_SI_PKS8_, .Lfunc_end39-_ZN9rocsparseL6kernelILi1024ELi16E21rocsparse_complex_numIfEiiEEvbbbT3_PS3_NS_15floating_traitsIT1_E6data_tES3_T2_PKS9_SB_PKS3_PKS6_21rocsparse_index_base_SB_SB_SD_PS6_SH_SG_SB_SB_SD_SH_SH_SG_SH_SH_PS8_SI_PKS8_
                                        ; -- End function
	.section	.AMDGPU.csdata,"",@progbits
; Kernel info:
; codeLenInByte = 8296
; NumSgprs: 100
; NumVgprs: 45
; NumAgprs: 0
; TotalNumVgprs: 45
; ScratchSize: 0
; MemoryBound: 0
; FloatMode: 240
; IeeeMode: 1
; LDSByteSize: 512 bytes/workgroup (compile time only)
; SGPRBlocks: 12
; VGPRBlocks: 5
; NumSGPRsForWavesPerEU: 100
; NumVGPRsForWavesPerEU: 45
; AccumOffset: 48
; Occupancy: 8
; WaveLimiterHint : 1
; COMPUTE_PGM_RSRC2:SCRATCH_EN: 0
; COMPUTE_PGM_RSRC2:USER_SGPR: 6
; COMPUTE_PGM_RSRC2:TRAP_HANDLER: 0
; COMPUTE_PGM_RSRC2:TGID_X_EN: 1
; COMPUTE_PGM_RSRC2:TGID_Y_EN: 0
; COMPUTE_PGM_RSRC2:TGID_Z_EN: 0
; COMPUTE_PGM_RSRC2:TIDIG_COMP_CNT: 0
; COMPUTE_PGM_RSRC3_GFX90A:ACCUM_OFFSET: 11
; COMPUTE_PGM_RSRC3_GFX90A:TG_SPLIT: 0
	.section	.text._ZN9rocsparseL6kernelILi1024ELi32E21rocsparse_complex_numIfEiiEEvbbbT3_PS3_NS_15floating_traitsIT1_E6data_tES3_T2_PKS9_SB_PKS3_PKS6_21rocsparse_index_base_SB_SB_SD_PS6_SH_SG_SB_SB_SD_SH_SH_SG_SH_SH_PS8_SI_PKS8_,"axG",@progbits,_ZN9rocsparseL6kernelILi1024ELi32E21rocsparse_complex_numIfEiiEEvbbbT3_PS3_NS_15floating_traitsIT1_E6data_tES3_T2_PKS9_SB_PKS3_PKS6_21rocsparse_index_base_SB_SB_SD_PS6_SH_SG_SB_SB_SD_SH_SH_SG_SH_SH_PS8_SI_PKS8_,comdat
	.globl	_ZN9rocsparseL6kernelILi1024ELi32E21rocsparse_complex_numIfEiiEEvbbbT3_PS3_NS_15floating_traitsIT1_E6data_tES3_T2_PKS9_SB_PKS3_PKS6_21rocsparse_index_base_SB_SB_SD_PS6_SH_SG_SB_SB_SD_SH_SH_SG_SH_SH_PS8_SI_PKS8_ ; -- Begin function _ZN9rocsparseL6kernelILi1024ELi32E21rocsparse_complex_numIfEiiEEvbbbT3_PS3_NS_15floating_traitsIT1_E6data_tES3_T2_PKS9_SB_PKS3_PKS6_21rocsparse_index_base_SB_SB_SD_PS6_SH_SG_SB_SB_SD_SH_SH_SG_SH_SH_PS8_SI_PKS8_
	.p2align	8
	.type	_ZN9rocsparseL6kernelILi1024ELi32E21rocsparse_complex_numIfEiiEEvbbbT3_PS3_NS_15floating_traitsIT1_E6data_tES3_T2_PKS9_SB_PKS3_PKS6_21rocsparse_index_base_SB_SB_SD_PS6_SH_SG_SB_SB_SD_SH_SH_SG_SH_SH_PS8_SI_PKS8_,@function
_ZN9rocsparseL6kernelILi1024ELi32E21rocsparse_complex_numIfEiiEEvbbbT3_PS3_NS_15floating_traitsIT1_E6data_tES3_T2_PKS9_SB_PKS3_PKS6_21rocsparse_index_base_SB_SB_SD_PS6_SH_SG_SB_SB_SD_SH_SH_SG_SH_SH_PS8_SI_PKS8_: ; @_ZN9rocsparseL6kernelILi1024ELi32E21rocsparse_complex_numIfEiiEEvbbbT3_PS3_NS_15floating_traitsIT1_E6data_tES3_T2_PKS9_SB_PKS3_PKS6_21rocsparse_index_base_SB_SB_SD_PS6_SH_SG_SB_SB_SD_SH_SH_SG_SH_SH_PS8_SI_PKS8_
; %bb.0:
	s_load_dword s0, s[4:5], 0x0
	s_load_dwordx2 s[2:3], s[4:5], 0x0
	s_load_dwordx2 s[66:67], s[4:5], 0x10
	s_load_dwordx4 s[20:23], s[4:5], 0xb8
	v_lshrrev_b32_e32 v3, 5, v0
	s_waitcnt lgkmcnt(0)
	s_bitcmp1_b32 s0, 0
	s_cselect_b64 s[62:63], -1, 0
	s_bitcmp1_b32 s0, 8
	s_cselect_b64 s[60:61], -1, 0
	;; [unrolled: 2-line block ×3, first 2 shown]
	s_lshl_b32 s81, s6, 10
	s_mov_b32 s1, s3
                                        ; implicit-def: $vgpr44 : SGPR spill to VGPR lane
	v_or_b32_e32 v30, s81, v3
	v_writelane_b32 v44, s0, 0
	s_cmp_gt_i32 s3, 0
	v_cmp_gt_i32_e32 vcc, s67, v30
	v_writelane_b32 v44, s1, 1
	s_cselect_b64 s[0:1], -1, 0
	v_and_b32_e32 v5, 31, v0
	v_lshlrev_b32_e32 v1, 2, v0
	v_mov_b32_e32 v6, 0
	s_and_b64 s[0:1], s[0:1], vcc
	s_mov_b32 s70, 0
	v_mov_b32_e32 v4, 0
	v_mov_b32_e32 v2, 0
	ds_write_b32 v1, v6
	s_waitcnt lgkmcnt(0)
	s_barrier
	s_and_saveexec_b64 s[2:3], s[0:1]
	s_cbranch_execnz .LBB40_3
; %bb.1:
	s_or_b64 exec, exec, s[2:3]
	s_andn2_b64 vcc, exec, s[62:63]
	s_cbranch_vccz .LBB40_174
.LBB40_2:
	v_cmp_eq_u32_e32 vcc, 0, v0
	s_and_b64 s[0:1], vcc, s[60:61]
	s_and_saveexec_b64 s[4:5], s[0:1]
	s_cbranch_execnz .LBB40_190
	s_branch .LBB40_194
.LBB40_3:
	s_load_dwordx2 s[0:1], s[4:5], 0xc8
	v_writelane_b32 v44, s2, 2
	v_writelane_b32 v44, s3, 3
	s_load_dwordx4 s[56:59], s[4:5], 0xa8
	s_load_dwordx8 s[24:31], s[4:5], 0x78
	s_load_dwordx8 s[36:43], s[4:5], 0x48
	;; [unrolled: 1-line block ×3, first 2 shown]
	s_load_dword s33, s[4:5], 0x40
	s_load_dwordx2 s[76:77], s[4:5], 0x68
	s_load_dword s64, s[4:5], 0x70
	s_load_dwordx2 s[78:79], s[4:5], 0x98
	s_waitcnt lgkmcnt(0)
	v_writelane_b32 v44, s0, 4
	v_writelane_b32 v44, s1, 5
	s_xor_b64 s[0:1], s[60:61], -1
	v_writelane_b32 v44, s0, 6
	v_writelane_b32 v44, s1, 7
	;; [unrolled: 1-line block ×3, first 2 shown]
	s_addk_i32 s81, 0x400
	v_writelane_b32 v44, s5, 9
	s_load_dword s80, s[4:5], 0xa0
	v_cmp_gt_u32_e64 s[0:1], s81, v30
	v_writelane_b32 v44, s0, 10
	v_writelane_b32 v44, s1, 11
	s_and_b64 s[0:1], s[60:61], s[34:35]
	s_xor_b64 s[0:1], s[0:1], -1
	v_writelane_b32 v44, s0, 12
	v_subrev_u32_e32 v31, s33, v5
	v_cmp_eq_u32_e64 s[2:3], 31, v5
	v_lshlrev_b32_e32 v32, 2, v3
	v_cmp_gt_u32_e64 s[6:7], 16, v0
	v_cmp_gt_u32_e64 s[8:9], 8, v0
	;; [unrolled: 1-line block ×4, first 2 shown]
	v_cmp_eq_u32_e64 s[14:15], 0, v0
	v_subrev_u32_e32 v33, s64, v5
	s_waitcnt lgkmcnt(0)
	v_subrev_u32_e32 v34, s80, v5
	v_cmp_eq_u32_e64 s[16:17], 0, v5
	v_writelane_b32 v44, s1, 13
	s_mov_b64 s[82:83], 0
	v_mov_b32_e32 v7, 0
	s_mov_b32 s65, 0xf800000
	v_mov_b32_e32 v35, 0x260
	s_movk_i32 s0, 0x1f8
	v_mov_b32_e32 v36, 0
	v_mov_b32_e32 v2, 0
	;; [unrolled: 1-line block ×3, first 2 shown]
	s_mov_b32 s1, 0
	s_branch .LBB40_5
.LBB40_4:                               ;   in Loop: Header=BB40_5 Depth=1
	s_or_b64 exec, exec, s[22:23]
	s_and_b64 s[4:5], exec, s[20:21]
	s_or_b64 s[82:83], s[4:5], s[82:83]
	s_andn2_b64 exec, exec, s[82:83]
	s_cbranch_execz .LBB40_173
.LBB40_5:                               ; =>This Loop Header: Depth=1
                                        ;     Child Loop BB40_9 Depth 2
                                        ;       Child Loop BB40_14 Depth 3
                                        ;         Child Loop BB40_18 Depth 4
                                        ;         Child Loop BB40_53 Depth 4
	;; [unrolled: 1-line block ×5, first 2 shown]
                                        ;     Child Loop BB40_152 Depth 2
                                        ;       Child Loop BB40_155 Depth 3
                                        ;       Child Loop BB40_158 Depth 3
	v_cndmask_b32_e64 v4, v4, 0, s[60:61]
	v_cndmask_b32_e64 v2, v2, 0, s[34:35]
	s_mov_b32 s4, 0
	s_branch .LBB40_9
.LBB40_6:                               ;   in Loop: Header=BB40_9 Depth=2
	s_or_b64 exec, exec, s[88:89]
.LBB40_7:                               ;   in Loop: Header=BB40_9 Depth=2
	s_or_b64 exec, exec, s[86:87]
.LBB40_8:                               ;   in Loop: Header=BB40_9 Depth=2
	s_or_b64 exec, exec, s[84:85]
	s_add_i32 s4, s4, 1
	s_cmp_eq_u32 s4, 32
	s_cbranch_scc1 .LBB40_121
.LBB40_9:                               ;   Parent Loop BB40_5 Depth=1
                                        ; =>  This Loop Header: Depth=2
                                        ;       Child Loop BB40_14 Depth 3
                                        ;         Child Loop BB40_18 Depth 4
                                        ;         Child Loop BB40_53 Depth 4
                                        ;         Child Loop BB40_69 Depth 4
                                        ;         Child Loop BB40_91 Depth 4
                                        ;         Child Loop BB40_104 Depth 4
	v_lshl_add_u32 v8, s4, 5, v30
	v_cmp_gt_i32_e32 vcc, s67, v8
	s_and_saveexec_b64 s[84:85], vcc
	s_cbranch_execz .LBB40_8
; %bb.10:                               ;   in Loop: Header=BB40_9 Depth=2
	v_ashrrev_i32_e32 v9, 31, v8
	v_lshlrev_b64 v[12:13], 2, v[8:9]
	v_mov_b32_e32 v6, s45
	v_add_co_u32_e32 v10, vcc, s44, v12
	v_addc_co_u32_e32 v11, vcc, v6, v13, vcc
	global_load_dword v6, v[10:11], off
	v_mov_b32_e32 v9, s47
	v_add_co_u32_e32 v10, vcc, s46, v12
	v_addc_co_u32_e32 v11, vcc, v9, v13, vcc
	global_load_dword v9, v[10:11], off
	s_waitcnt vmcnt(1)
	v_add_u32_e32 v10, v31, v6
	s_waitcnt vmcnt(0)
	v_subrev_u32_e32 v9, s33, v9
	v_cmp_lt_i32_e32 vcc, v10, v9
	s_and_saveexec_b64 s[86:87], vcc
	s_cbranch_execz .LBB40_7
; %bb.11:                               ;   in Loop: Header=BB40_9 Depth=2
	v_mov_b32_e32 v6, s39
	v_add_co_u32_e32 v14, vcc, s38, v12
	v_addc_co_u32_e32 v15, vcc, v6, v13, vcc
	v_mov_b32_e32 v6, s37
	v_add_co_u32_e32 v12, vcc, s36, v12
	v_addc_co_u32_e32 v13, vcc, v6, v13, vcc
	global_load_dword v6, v[12:13], off
	global_load_dword v11, v[14:15], off
	v_mov_b32_e32 v18, s41
	v_mov_b32_e32 v19, s43
	s_mov_b64 s[88:89], 0
	s_waitcnt vmcnt(1)
	v_subrev_u32_e32 v12, s64, v6
	v_ashrrev_i32_e32 v13, 31, v12
	v_lshlrev_b64 v[14:15], 2, v[12:13]
	v_lshlrev_b64 v[16:17], 3, v[12:13]
	v_add_co_u32_e32 v13, vcc, s40, v14
	v_addc_co_u32_e32 v38, vcc, v18, v15, vcc
	s_waitcnt vmcnt(0)
	v_sub_u32_e32 v37, v11, v6
	v_add_co_u32_e32 v39, vcc, s42, v16
	v_cmp_lt_i32_e64 s[18:19], 0, v37
	v_addc_co_u32_e32 v40, vcc, v19, v17, vcc
	s_branch .LBB40_14
.LBB40_12:                              ;   in Loop: Header=BB40_14 Depth=3
	s_or_b64 exec, exec, s[20:21]
.LBB40_13:                              ;   in Loop: Header=BB40_14 Depth=3
	s_or_b64 exec, exec, s[22:23]
	v_add_u32_e32 v10, 32, v10
	v_cmp_ge_i32_e32 vcc, v10, v9
	s_or_b64 s[88:89], vcc, s[88:89]
	s_andn2_b64 exec, exec, s[88:89]
	s_cbranch_execz .LBB40_6
.LBB40_14:                              ;   Parent Loop BB40_5 Depth=1
                                        ;     Parent Loop BB40_9 Depth=2
                                        ; =>    This Loop Header: Depth=3
                                        ;         Child Loop BB40_18 Depth 4
                                        ;         Child Loop BB40_53 Depth 4
	;; [unrolled: 1-line block ×5, first 2 shown]
	v_ashrrev_i32_e32 v11, 31, v10
	v_lshlrev_b64 v[14:15], 2, v[10:11]
	v_mov_b32_e32 v6, s49
	v_add_co_u32_e32 v14, vcc, s48, v14
	v_addc_co_u32_e32 v15, vcc, v6, v15, vcc
	global_load_dword v6, v[14:15], off
	v_mov_b32_e32 v19, s25
	v_mov_b32_e32 v20, s27
	s_mov_b32 s71, s70
	v_mov_b32_e32 v22, 0
	s_waitcnt vmcnt(0)
	v_subrev_u32_e32 v14, s33, v6
	v_ashrrev_i32_e32 v15, 31, v14
	v_lshlrev_b64 v[16:17], 2, v[14:15]
	v_add_co_u32_e32 v18, vcc, s24, v16
	v_addc_co_u32_e32 v19, vcc, v19, v17, vcc
	v_add_co_u32_e32 v16, vcc, s26, v16
	v_addc_co_u32_e32 v17, vcc, v20, v17, vcc
	global_load_dword v18, v[18:19], off
	s_nop 0
	global_load_dword v19, v[16:17], off
	v_mov_b32_e32 v6, 0
	v_pk_mov_b32 v[16:17], s[70:71], s[70:71] op_sel:[0,1]
	s_waitcnt vmcnt(1)
	v_subrev_u32_e32 v20, s80, v18
	s_waitcnt vmcnt(0)
	v_sub_u32_e32 v41, v19, v18
	s_and_saveexec_b64 s[20:21], s[18:19]
	s_cbranch_execz .LBB40_22
; %bb.15:                               ;   in Loop: Header=BB40_14 Depth=3
	v_ashrrev_i32_e32 v21, 31, v20
	v_lshlrev_b64 v[16:17], 2, v[20:21]
	v_mov_b32_e32 v6, s29
	v_add_co_u32_e32 v18, vcc, s28, v16
	v_addc_co_u32_e32 v19, vcc, v6, v17, vcc
	v_lshlrev_b64 v[16:17], 3, v[20:21]
	v_mov_b32_e32 v6, s31
	v_add_co_u32_e32 v21, vcc, s30, v16
	v_mov_b32_e32 v22, 0
	v_addc_co_u32_e32 v24, vcc, v6, v17, vcc
	s_mov_b64 s[22:23], 0
	v_pk_mov_b32 v[16:17], s[70:71], s[70:71] op_sel:[0,1]
	v_mov_b32_e32 v6, v22
                                        ; implicit-def: $sgpr68_sgpr69
	s_branch .LBB40_18
.LBB40_16:                              ;   in Loop: Header=BB40_18 Depth=4
	s_or_b64 exec, exec, s[52:53]
	v_cmp_le_i32_e32 vcc, v25, v26
	v_addc_co_u32_e32 v6, vcc, 0, v6, vcc
	v_cmp_ge_i32_e32 vcc, v25, v26
	v_addc_co_u32_e32 v22, vcc, 0, v22, vcc
	v_cmp_ge_i32_e32 vcc, v6, v37
	s_andn2_b64 s[52:53], s[68:69], exec
	s_and_b64 s[54:55], vcc, exec
	s_or_b64 s[68:69], s[52:53], s[54:55]
.LBB40_17:                              ;   in Loop: Header=BB40_18 Depth=4
	s_or_b64 exec, exec, s[74:75]
	s_and_b64 s[52:53], exec, s[68:69]
	s_or_b64 s[22:23], s[52:53], s[22:23]
	s_andn2_b64 exec, exec, s[22:23]
	s_cbranch_execz .LBB40_21
.LBB40_18:                              ;   Parent Loop BB40_5 Depth=1
                                        ;     Parent Loop BB40_9 Depth=2
                                        ;       Parent Loop BB40_14 Depth=3
                                        ; =>      This Inner Loop Header: Depth=4
	v_cmp_lt_i32_e32 vcc, v22, v41
	s_or_b64 s[68:69], s[68:69], exec
	s_and_saveexec_b64 s[74:75], vcc
	s_cbranch_execz .LBB40_17
; %bb.19:                               ;   in Loop: Header=BB40_18 Depth=4
	v_lshlrev_b64 v[26:27], 2, v[6:7]
	v_add_co_u32_e32 v26, vcc, v13, v26
	v_addc_co_u32_e32 v27, vcc, v38, v27, vcc
	v_mov_b32_e32 v23, v7
	global_load_dword v25, v[26:27], off
	v_lshlrev_b64 v[26:27], 2, v[22:23]
	v_add_co_u32_e32 v26, vcc, v18, v26
	v_addc_co_u32_e32 v27, vcc, v19, v27, vcc
	global_load_dword v26, v[26:27], off
	s_waitcnt vmcnt(1)
	v_subrev_u32_e32 v25, s64, v25
	s_waitcnt vmcnt(0)
	v_subrev_u32_e32 v26, s80, v26
	v_cmp_eq_u32_e32 vcc, v25, v26
	s_and_saveexec_b64 s[52:53], vcc
	s_cbranch_execz .LBB40_16
; %bb.20:                               ;   in Loop: Header=BB40_18 Depth=4
	v_lshlrev_b64 v[28:29], 3, v[6:7]
	v_add_co_u32_e32 v28, vcc, v39, v28
	v_addc_co_u32_e32 v29, vcc, v40, v29, vcc
	v_lshlrev_b64 v[42:43], 3, v[22:23]
	v_add_co_u32_e32 v42, vcc, v21, v42
	v_addc_co_u32_e32 v43, vcc, v24, v43, vcc
	global_load_dwordx2 v[42:43], v[42:43], off
	s_nop 0
	global_load_dwordx2 v[28:29], v[28:29], off
	s_waitcnt vmcnt(0)
	v_pk_fma_f32 v[16:17], v[28:29], v[42:43], v[16:17] op_sel_hi:[1,0,1]
	v_pk_fma_f32 v[16:17], v[28:29], v[42:43], v[16:17] op_sel:[1,1,0] op_sel_hi:[0,1,1] neg_lo:[1,0,0]
	s_branch .LBB40_16
.LBB40_21:                              ;   in Loop: Header=BB40_14 Depth=3
	s_or_b64 exec, exec, s[22:23]
.LBB40_22:                              ;   in Loop: Header=BB40_14 Depth=3
	s_or_b64 exec, exec, s[20:21]
	v_lshlrev_b64 v[18:19], 3, v[10:11]
	v_mov_b32_e32 v11, s51
	v_add_co_u32_e32 v18, vcc, s50, v18
	v_addc_co_u32_e32 v19, vcc, v11, v19, vcc
	global_load_dwordx2 v[18:19], v[18:19], off
	v_cmp_le_i32_e64 s[20:21], v8, v14
	v_cmp_gt_i32_e32 vcc, v8, v14
	s_waitcnt vmcnt(0)
	v_pk_add_f32 v[24:25], v[18:19], v[16:17] neg_lo:[0,1] neg_hi:[0,1]
	s_and_saveexec_b64 s[68:69], vcc
	s_cbranch_execz .LBB40_32
; %bb.23:                               ;   in Loop: Header=BB40_14 Depth=3
	v_lshlrev_b64 v[26:27], 3, v[14:15]
	v_mov_b32_e32 v11, s57
	v_add_co_u32_e32 v26, vcc, s56, v26
	v_addc_co_u32_e32 v27, vcc, v11, v27, vcc
	global_load_dwordx2 v[26:27], v[26:27], off
                                        ; implicit-def: $vgpr23
	s_waitcnt vmcnt(0)
	v_cmp_gt_f32_e32 vcc, 0, v26
	v_cndmask_b32_e64 v11, v26, -v26, vcc
	v_cmp_gt_f32_e32 vcc, 0, v27
	v_cndmask_b32_e64 v21, v27, -v27, vcc
	v_cmp_ngt_f32_e32 vcc, v11, v21
	s_and_saveexec_b64 s[22:23], vcc
	s_xor_b64 s[52:53], exec, s[22:23]
	s_cbranch_execz .LBB40_27
; %bb.24:                               ;   in Loop: Header=BB40_14 Depth=3
	v_cmp_neq_f32_e32 vcc, 0, v27
	v_mov_b32_e32 v23, 0
	s_and_saveexec_b64 s[54:55], vcc
	s_cbranch_execz .LBB40_26
; %bb.25:                               ;   in Loop: Header=BB40_14 Depth=3
	v_div_scale_f32 v23, s[22:23], v21, v21, v11
	v_rcp_f32_e32 v28, v23
	v_div_scale_f32 v29, vcc, v11, v21, v11
	v_fma_f32 v42, -v23, v28, 1.0
	v_fmac_f32_e32 v28, v42, v28
	v_mul_f32_e32 v42, v29, v28
	v_fma_f32 v43, -v23, v42, v29
	v_fmac_f32_e32 v42, v43, v28
	v_fma_f32 v23, -v23, v42, v29
	v_div_fmas_f32 v23, v23, v28, v42
	v_div_fixup_f32 v11, v23, v21, v11
	v_fma_f32 v11, v11, v11, 1.0
	v_mul_f32_e32 v23, 0x4f800000, v11
	v_cmp_gt_f32_e32 vcc, s65, v11
	v_cndmask_b32_e32 v11, v11, v23, vcc
	v_sqrt_f32_e32 v23, v11
	v_add_u32_e32 v28, -1, v23
	v_fma_f32 v29, -v28, v23, v11
	v_cmp_ge_f32_e64 s[22:23], 0, v29
	v_add_u32_e32 v29, 1, v23
	v_cndmask_b32_e64 v28, v23, v28, s[22:23]
	v_fma_f32 v23, -v29, v23, v11
	v_cmp_lt_f32_e64 s[22:23], 0, v23
	v_cndmask_b32_e64 v23, v28, v29, s[22:23]
	v_mul_f32_e32 v28, 0x37800000, v23
	v_cndmask_b32_e32 v23, v23, v28, vcc
	v_cmp_class_f32_e32 vcc, v11, v35
	v_cndmask_b32_e32 v11, v23, v11, vcc
	v_mul_f32_e32 v23, v21, v11
.LBB40_26:                              ;   in Loop: Header=BB40_14 Depth=3
	s_or_b64 exec, exec, s[54:55]
                                        ; implicit-def: $vgpr11
                                        ; implicit-def: $vgpr21
.LBB40_27:                              ;   in Loop: Header=BB40_14 Depth=3
	s_andn2_saveexec_b64 s[52:53], s[52:53]
	s_cbranch_execz .LBB40_29
; %bb.28:                               ;   in Loop: Header=BB40_14 Depth=3
	v_div_scale_f32 v23, s[22:23], v11, v11, v21
	v_rcp_f32_e32 v28, v23
	v_div_scale_f32 v29, vcc, v21, v11, v21
	v_fma_f32 v42, -v23, v28, 1.0
	v_fmac_f32_e32 v28, v42, v28
	v_mul_f32_e32 v42, v29, v28
	v_fma_f32 v43, -v23, v42, v29
	v_fmac_f32_e32 v42, v43, v28
	v_fma_f32 v23, -v23, v42, v29
	v_div_fmas_f32 v23, v23, v28, v42
	v_div_fixup_f32 v21, v23, v11, v21
	v_fma_f32 v21, v21, v21, 1.0
	v_mul_f32_e32 v23, 0x4f800000, v21
	v_cmp_gt_f32_e32 vcc, s65, v21
	v_cndmask_b32_e32 v21, v21, v23, vcc
	v_sqrt_f32_e32 v23, v21
	v_add_u32_e32 v28, -1, v23
	v_fma_f32 v29, -v28, v23, v21
	v_cmp_ge_f32_e64 s[22:23], 0, v29
	v_add_u32_e32 v29, 1, v23
	v_cndmask_b32_e64 v28, v23, v28, s[22:23]
	v_fma_f32 v23, -v29, v23, v21
	v_cmp_lt_f32_e64 s[22:23], 0, v23
	v_cndmask_b32_e64 v23, v28, v29, s[22:23]
	v_mul_f32_e32 v28, 0x37800000, v23
	v_cndmask_b32_e32 v23, v23, v28, vcc
	v_cmp_class_f32_e32 vcc, v21, v35
	v_cndmask_b32_e32 v21, v23, v21, vcc
	v_mul_f32_e32 v23, v11, v21
.LBB40_29:                              ;   in Loop: Header=BB40_14 Depth=3
	s_or_b64 exec, exec, s[52:53]
	v_cmp_lt_f32_e32 vcc, 0, v23
	v_mov_b32_e32 v29, 0
	v_mov_b32_e32 v28, 0
	s_and_saveexec_b64 s[22:23], vcc
	s_cbranch_execz .LBB40_31
; %bb.30:                               ;   in Loop: Header=BB40_14 Depth=3
	v_mul_f32_e32 v11, v27, v27
	v_fmac_f32_e32 v11, v26, v26
	v_div_scale_f32 v21, s[52:53], v11, v11, 1.0
	v_rcp_f32_e32 v23, v21
	v_div_scale_f32 v28, vcc, 1.0, v11, 1.0
	v_xor_b32_e32 v43, 0x80000000, v24
	v_fma_f32 v29, -v21, v23, 1.0
	v_fmac_f32_e32 v23, v29, v23
	v_mul_f32_e32 v29, v28, v23
	v_fma_f32 v42, -v21, v29, v28
	v_fmac_f32_e32 v29, v42, v23
	v_fma_f32 v21, -v21, v29, v28
	v_mov_b32_e32 v42, v25
	v_div_fmas_f32 v21, v21, v23, v29
	v_pk_mul_f32 v[42:43], v[42:43], v[26:27] op_sel:[0,1]
	v_div_fixup_f32 v28, v21, v11, 1.0
	v_pk_fma_f32 v[24:25], v[24:25], v[26:27], v[42:43] op_sel_hi:[1,0,1]
	v_pk_mul_f32 v[28:29], v[24:25], v[28:29] op_sel_hi:[1,0]
.LBB40_31:                              ;   in Loop: Header=BB40_14 Depth=3
	s_or_b64 exec, exec, s[22:23]
	v_mov_b32_e32 v25, v29
	v_mov_b32_e32 v24, v28
.LBB40_32:                              ;   in Loop: Header=BB40_14 Depth=3
	s_or_b64 exec, exec, s[68:69]
	v_cmp_gt_f32_e32 vcc, 0, v24
	v_cndmask_b32_e64 v11, v24, -v24, vcc
	v_cmp_gt_f32_e32 vcc, 0, v25
	v_cndmask_b32_e64 v21, v25, -v25, vcc
	v_cmp_ngt_f32_e32 vcc, v11, v21
                                        ; implicit-def: $vgpr23
	s_and_saveexec_b64 s[22:23], vcc
	s_xor_b64 s[52:53], exec, s[22:23]
	s_cbranch_execnz .LBB40_36
; %bb.33:                               ;   in Loop: Header=BB40_14 Depth=3
	s_andn2_saveexec_b64 s[52:53], s[52:53]
	s_cbranch_execnz .LBB40_39
.LBB40_34:                              ;   in Loop: Header=BB40_14 Depth=3
	s_or_b64 exec, exec, s[52:53]
	v_cmp_class_f32_e64 s[22:23], v23, s0
	s_and_saveexec_b64 s[90:91], s[22:23]
	s_cbranch_execnz .LBB40_40
.LBB40_35:                              ;   in Loop: Header=BB40_14 Depth=3
	s_or_b64 exec, exec, s[90:91]
	s_and_b64 s[20:21], s[22:23], s[34:35]
	s_and_saveexec_b64 s[22:23], s[20:21]
	s_cbranch_execz .LBB40_13
	s_branch .LBB40_81
.LBB40_36:                              ;   in Loop: Header=BB40_14 Depth=3
	v_cmp_neq_f32_e32 vcc, 0, v25
	v_mov_b32_e32 v23, 0
	s_and_saveexec_b64 s[54:55], vcc
	s_cbranch_execz .LBB40_38
; %bb.37:                               ;   in Loop: Header=BB40_14 Depth=3
	v_div_scale_f32 v23, s[22:23], v21, v21, v11
	v_rcp_f32_e32 v26, v23
	v_div_scale_f32 v27, vcc, v11, v21, v11
	v_fma_f32 v28, -v23, v26, 1.0
	v_fmac_f32_e32 v26, v28, v26
	v_mul_f32_e32 v28, v27, v26
	v_fma_f32 v29, -v23, v28, v27
	v_fmac_f32_e32 v28, v29, v26
	v_fma_f32 v23, -v23, v28, v27
	v_div_fmas_f32 v23, v23, v26, v28
	v_div_fixup_f32 v11, v23, v21, v11
	v_fma_f32 v11, v11, v11, 1.0
	v_mul_f32_e32 v23, 0x4f800000, v11
	v_cmp_gt_f32_e32 vcc, s65, v11
	v_cndmask_b32_e32 v11, v11, v23, vcc
	v_sqrt_f32_e32 v23, v11
	v_add_u32_e32 v26, -1, v23
	v_fma_f32 v27, -v26, v23, v11
	v_cmp_ge_f32_e64 s[22:23], 0, v27
	v_add_u32_e32 v27, 1, v23
	v_cndmask_b32_e64 v26, v23, v26, s[22:23]
	v_fma_f32 v23, -v27, v23, v11
	v_cmp_lt_f32_e64 s[22:23], 0, v23
	v_cndmask_b32_e64 v23, v26, v27, s[22:23]
	v_mul_f32_e32 v26, 0x37800000, v23
	v_cndmask_b32_e32 v23, v23, v26, vcc
	v_cmp_class_f32_e32 vcc, v11, v35
	v_cndmask_b32_e32 v11, v23, v11, vcc
	v_mul_f32_e32 v23, v21, v11
.LBB40_38:                              ;   in Loop: Header=BB40_14 Depth=3
	s_or_b64 exec, exec, s[54:55]
                                        ; implicit-def: $vgpr11
                                        ; implicit-def: $vgpr21
	s_andn2_saveexec_b64 s[52:53], s[52:53]
	s_cbranch_execz .LBB40_34
.LBB40_39:                              ;   in Loop: Header=BB40_14 Depth=3
	v_div_scale_f32 v23, s[22:23], v11, v11, v21
	v_rcp_f32_e32 v26, v23
	v_div_scale_f32 v27, vcc, v21, v11, v21
	v_fma_f32 v28, -v23, v26, 1.0
	v_fmac_f32_e32 v26, v28, v26
	v_mul_f32_e32 v28, v27, v26
	v_fma_f32 v29, -v23, v28, v27
	v_fmac_f32_e32 v28, v29, v26
	v_fma_f32 v23, -v23, v28, v27
	v_div_fmas_f32 v23, v23, v26, v28
	v_div_fixup_f32 v21, v23, v11, v21
	v_fma_f32 v21, v21, v21, 1.0
	v_mul_f32_e32 v23, 0x4f800000, v21
	v_cmp_gt_f32_e32 vcc, s65, v21
	v_cndmask_b32_e32 v21, v21, v23, vcc
	v_sqrt_f32_e32 v23, v21
	v_add_u32_e32 v26, -1, v23
	v_fma_f32 v27, -v26, v23, v21
	v_cmp_ge_f32_e64 s[22:23], 0, v27
	v_add_u32_e32 v27, 1, v23
	v_cndmask_b32_e64 v26, v23, v26, s[22:23]
	v_fma_f32 v23, -v27, v23, v21
	v_cmp_lt_f32_e64 s[22:23], 0, v23
	v_cndmask_b32_e64 v23, v26, v27, s[22:23]
	v_mul_f32_e32 v26, 0x37800000, v23
	v_cndmask_b32_e32 v23, v23, v26, vcc
	v_cmp_class_f32_e32 vcc, v21, v35
	v_cndmask_b32_e32 v21, v23, v21, vcc
	v_mul_f32_e32 v23, v11, v21
	s_or_b64 exec, exec, s[52:53]
	v_cmp_class_f32_e64 s[22:23], v23, s0
	s_and_saveexec_b64 s[90:91], s[22:23]
	s_cbranch_execz .LBB40_35
.LBB40_40:                              ;   in Loop: Header=BB40_14 Depth=3
	s_and_saveexec_b64 s[52:53], s[20:21]
	s_xor_b64 s[92:93], exec, s[52:53]
	s_cbranch_execz .LBB40_65
; %bb.41:                               ;   in Loop: Header=BB40_14 Depth=3
	v_cmp_ge_i32_e32 vcc, v8, v14
	s_and_saveexec_b64 s[20:21], vcc
	s_xor_b64 s[68:69], exec, s[20:21]
	s_cbranch_execz .LBB40_49
; %bb.42:                               ;   in Loop: Header=BB40_14 Depth=3
	v_lshlrev_b64 v[26:27], 3, v[14:15]
	v_mov_b32_e32 v11, s59
	v_add_co_u32_e32 v28, vcc, s58, v26
	v_addc_co_u32_e32 v29, vcc, v11, v27, vcc
	s_andn2_b64 vcc, exec, s[60:61]
	global_store_dwordx2 v[28:29], v[24:25], off
	s_cbranch_vccnz .LBB40_48
; %bb.43:                               ;   in Loop: Header=BB40_14 Depth=3
	v_mov_b32_e32 v11, s57
	v_add_co_u32_e32 v26, vcc, s56, v26
	v_addc_co_u32_e32 v27, vcc, v11, v27, vcc
	global_load_dwordx2 v[26:27], v[26:27], off
                                        ; implicit-def: $vgpr23
	s_waitcnt vmcnt(0)
	v_sub_f32_e32 v11, v26, v24
	v_sub_f32_e32 v24, v27, v25
	v_cmp_gt_f32_e32 vcc, 0, v11
	v_cndmask_b32_e64 v11, v11, -v11, vcc
	v_cmp_gt_f32_e32 vcc, 0, v24
	v_cndmask_b32_e64 v21, v24, -v24, vcc
	v_cmp_ngt_f32_e32 vcc, v11, v21
	s_and_saveexec_b64 s[20:21], vcc
	s_xor_b64 s[52:53], exec, s[20:21]
	s_cbranch_execnz .LBB40_109
; %bb.44:                               ;   in Loop: Header=BB40_14 Depth=3
	s_andn2_saveexec_b64 s[52:53], s[52:53]
	s_cbranch_execnz .LBB40_112
.LBB40_45:                              ;   in Loop: Header=BB40_14 Depth=3
	s_or_b64 exec, exec, s[52:53]
	v_cmp_class_f32_e64 s[52:53], v23, s0
	s_and_saveexec_b64 s[20:21], s[52:53]
.LBB40_46:                              ;   in Loop: Header=BB40_14 Depth=3
	v_cmp_lt_f32_e32 vcc, v4, v23
	v_cndmask_b32_e32 v4, v4, v23, vcc
.LBB40_47:                              ;   in Loop: Header=BB40_14 Depth=3
	s_or_b64 exec, exec, s[20:21]
.LBB40_48:                              ;   in Loop: Header=BB40_14 Depth=3
                                        ; implicit-def: $vgpr24_vgpr25
.LBB40_49:                              ;   in Loop: Header=BB40_14 Depth=3
	s_andn2_saveexec_b64 s[94:95], s[68:69]
	s_cbranch_execz .LBB40_64
; %bb.50:                               ;   in Loop: Header=BB40_14 Depth=3
	v_cmp_lt_i32_e32 vcc, v22, v41
	s_and_saveexec_b64 s[68:69], vcc
	s_cbranch_execz .LBB40_63
; %bb.51:                               ;   in Loop: Header=BB40_14 Depth=3
	s_mov_b64 s[20:21], 0
	v_mov_b32_e32 v11, v22
                                        ; implicit-def: $sgpr74_sgpr75
                                        ; implicit-def: $sgpr54_sgpr55
                                        ; implicit-def: $sgpr52_sgpr53
	s_branch .LBB40_53
.LBB40_52:                              ;   in Loop: Header=BB40_53 Depth=4
	s_or_b64 exec, exec, s[72:73]
	s_and_b64 s[72:73], exec, s[54:55]
	s_or_b64 s[20:21], s[72:73], s[20:21]
	s_andn2_b64 s[72:73], s[74:75], exec
	s_and_b64 s[74:75], s[52:53], exec
	s_or_b64 s[74:75], s[72:73], s[74:75]
	s_andn2_b64 exec, exec, s[20:21]
	s_cbranch_execz .LBB40_55
.LBB40_53:                              ;   Parent Loop BB40_5 Depth=1
                                        ;     Parent Loop BB40_9 Depth=2
                                        ;       Parent Loop BB40_14 Depth=3
                                        ; =>      This Inner Loop Header: Depth=4
	v_add_u32_e32 v26, v20, v11
	v_ashrrev_i32_e32 v27, 31, v26
	v_lshlrev_b64 v[28:29], 2, v[26:27]
	v_mov_b32_e32 v21, s29
	v_add_co_u32_e32 v28, vcc, s28, v28
	v_addc_co_u32_e32 v29, vcc, v21, v29, vcc
	global_load_dword v21, v[28:29], off
	s_or_b64 s[52:53], s[52:53], exec
	s_or_b64 s[54:55], s[54:55], exec
	s_waitcnt vmcnt(0)
	v_subrev_u32_e32 v21, s80, v21
	v_cmp_ne_u32_e32 vcc, v21, v8
	s_and_saveexec_b64 s[72:73], vcc
	s_cbranch_execz .LBB40_52
; %bb.54:                               ;   in Loop: Header=BB40_53 Depth=4
	v_add_u32_e32 v11, 1, v11
	v_cmp_ge_i32_e32 vcc, v11, v41
	s_andn2_b64 s[54:55], s[54:55], exec
	s_and_b64 vcc, vcc, exec
	s_andn2_b64 s[52:53], s[52:53], exec
	s_or_b64 s[54:55], s[54:55], vcc
	s_branch .LBB40_52
.LBB40_55:                              ;   in Loop: Header=BB40_14 Depth=3
	s_or_b64 exec, exec, s[20:21]
	s_and_saveexec_b64 s[20:21], s[74:75]
	s_xor_b64 s[74:75], exec, s[20:21]
	s_cbranch_execz .LBB40_62
; %bb.56:                               ;   in Loop: Header=BB40_14 Depth=3
	v_lshlrev_b64 v[26:27], 3, v[26:27]
	v_mov_b32_e32 v11, s79
	v_add_co_u32_e32 v28, vcc, s78, v26
	v_addc_co_u32_e32 v29, vcc, v11, v27, vcc
	s_andn2_b64 vcc, exec, s[60:61]
	global_store_dwordx2 v[28:29], v[24:25], off
	s_cbranch_vccnz .LBB40_62
; %bb.57:                               ;   in Loop: Header=BB40_14 Depth=3
	v_mov_b32_e32 v11, s31
	v_add_co_u32_e32 v26, vcc, s30, v26
	v_addc_co_u32_e32 v27, vcc, v11, v27, vcc
	global_load_dwordx2 v[26:27], v[26:27], off
                                        ; implicit-def: $vgpr23
	s_waitcnt vmcnt(0)
	v_sub_f32_e32 v11, v26, v24
	v_sub_f32_e32 v24, v27, v25
	v_cmp_gt_f32_e32 vcc, 0, v11
	v_cndmask_b32_e64 v11, v11, -v11, vcc
	v_cmp_gt_f32_e32 vcc, 0, v24
	v_cndmask_b32_e64 v21, v24, -v24, vcc
	v_cmp_ngt_f32_e32 vcc, v11, v21
	s_and_saveexec_b64 s[20:21], vcc
	s_xor_b64 s[52:53], exec, s[20:21]
	s_cbranch_execnz .LBB40_117
; %bb.58:                               ;   in Loop: Header=BB40_14 Depth=3
	s_andn2_saveexec_b64 s[52:53], s[52:53]
	s_cbranch_execnz .LBB40_120
.LBB40_59:                              ;   in Loop: Header=BB40_14 Depth=3
	s_or_b64 exec, exec, s[52:53]
	v_cmp_class_f32_e64 s[52:53], v23, s0
	s_and_saveexec_b64 s[20:21], s[52:53]
.LBB40_60:                              ;   in Loop: Header=BB40_14 Depth=3
	v_cmp_lt_f32_e32 vcc, v4, v23
	v_cndmask_b32_e32 v4, v4, v23, vcc
.LBB40_61:                              ;   in Loop: Header=BB40_14 Depth=3
	s_or_b64 exec, exec, s[20:21]
.LBB40_62:                              ;   in Loop: Header=BB40_14 Depth=3
	s_or_b64 exec, exec, s[74:75]
.LBB40_63:                              ;   in Loop: Header=BB40_14 Depth=3
	s_or_b64 exec, exec, s[68:69]
.LBB40_64:                              ;   in Loop: Header=BB40_14 Depth=3
	s_or_b64 exec, exec, s[94:95]
                                        ; implicit-def: $vgpr24_vgpr25
.LBB40_65:                              ;   in Loop: Header=BB40_14 Depth=3
	s_andn2_saveexec_b64 s[92:93], s[92:93]
	s_cbranch_execz .LBB40_80
; %bb.66:                               ;   in Loop: Header=BB40_14 Depth=3
	v_cmp_lt_i32_e32 vcc, v6, v37
	s_and_saveexec_b64 s[94:95], vcc
	s_cbranch_execz .LBB40_79
; %bb.67:                               ;   in Loop: Header=BB40_14 Depth=3
	s_mov_b64 s[20:21], 0
	v_mov_b32_e32 v11, v6
                                        ; implicit-def: $sgpr68_sgpr69
                                        ; implicit-def: $sgpr54_sgpr55
                                        ; implicit-def: $sgpr52_sgpr53
	s_branch .LBB40_69
.LBB40_68:                              ;   in Loop: Header=BB40_69 Depth=4
	s_or_b64 exec, exec, s[74:75]
	s_and_b64 s[72:73], exec, s[54:55]
	s_or_b64 s[20:21], s[72:73], s[20:21]
	s_andn2_b64 s[68:69], s[68:69], exec
	s_and_b64 s[72:73], s[52:53], exec
	s_or_b64 s[68:69], s[68:69], s[72:73]
	s_andn2_b64 exec, exec, s[20:21]
	s_cbranch_execz .LBB40_71
.LBB40_69:                              ;   Parent Loop BB40_5 Depth=1
                                        ;     Parent Loop BB40_9 Depth=2
                                        ;       Parent Loop BB40_14 Depth=3
                                        ; =>      This Inner Loop Header: Depth=4
	v_add_u32_e32 v26, v12, v11
	v_ashrrev_i32_e32 v27, 31, v26
	v_lshlrev_b64 v[28:29], 2, v[26:27]
	v_mov_b32_e32 v21, s41
	v_add_co_u32_e32 v28, vcc, s40, v28
	v_addc_co_u32_e32 v29, vcc, v21, v29, vcc
	global_load_dword v21, v[28:29], off
	s_or_b64 s[52:53], s[52:53], exec
	s_or_b64 s[54:55], s[54:55], exec
	s_waitcnt vmcnt(0)
	v_subrev_u32_e32 v21, s64, v21
	v_cmp_ne_u32_e32 vcc, v21, v14
	s_and_saveexec_b64 s[74:75], vcc
	s_cbranch_execz .LBB40_68
; %bb.70:                               ;   in Loop: Header=BB40_69 Depth=4
	v_add_u32_e32 v11, 1, v11
	v_cmp_ge_i32_e32 vcc, v11, v37
	s_andn2_b64 s[54:55], s[54:55], exec
	s_and_b64 s[72:73], vcc, exec
	s_andn2_b64 s[52:53], s[52:53], exec
	s_or_b64 s[54:55], s[54:55], s[72:73]
	s_branch .LBB40_68
.LBB40_71:                              ;   in Loop: Header=BB40_14 Depth=3
	s_or_b64 exec, exec, s[20:21]
	s_and_saveexec_b64 s[20:21], s[68:69]
	s_xor_b64 s[68:69], exec, s[20:21]
	s_cbranch_execz .LBB40_78
; %bb.72:                               ;   in Loop: Header=BB40_14 Depth=3
	v_lshlrev_b64 v[26:27], 3, v[26:27]
	v_mov_b32_e32 v11, s77
	v_add_co_u32_e32 v28, vcc, s76, v26
	v_addc_co_u32_e32 v29, vcc, v11, v27, vcc
	s_andn2_b64 vcc, exec, s[60:61]
	global_store_dwordx2 v[28:29], v[24:25], off
	s_cbranch_vccnz .LBB40_78
; %bb.73:                               ;   in Loop: Header=BB40_14 Depth=3
	v_mov_b32_e32 v11, s43
	v_add_co_u32_e32 v26, vcc, s42, v26
	v_addc_co_u32_e32 v27, vcc, v11, v27, vcc
	global_load_dwordx2 v[26:27], v[26:27], off
                                        ; implicit-def: $vgpr23
	s_waitcnt vmcnt(0)
	v_sub_f32_e32 v11, v26, v24
	v_sub_f32_e32 v24, v27, v25
	v_cmp_gt_f32_e32 vcc, 0, v11
	v_cndmask_b32_e64 v11, v11, -v11, vcc
	v_cmp_gt_f32_e32 vcc, 0, v24
	v_cndmask_b32_e64 v21, v24, -v24, vcc
	v_cmp_ngt_f32_e32 vcc, v11, v21
	s_and_saveexec_b64 s[20:21], vcc
	s_xor_b64 s[52:53], exec, s[20:21]
	s_cbranch_execnz .LBB40_113
; %bb.74:                               ;   in Loop: Header=BB40_14 Depth=3
	s_andn2_saveexec_b64 s[52:53], s[52:53]
	s_cbranch_execnz .LBB40_116
.LBB40_75:                              ;   in Loop: Header=BB40_14 Depth=3
	s_or_b64 exec, exec, s[52:53]
	v_cmp_class_f32_e64 s[52:53], v23, s0
	s_and_saveexec_b64 s[20:21], s[52:53]
.LBB40_76:                              ;   in Loop: Header=BB40_14 Depth=3
	v_cmp_lt_f32_e32 vcc, v4, v23
	v_cndmask_b32_e32 v4, v4, v23, vcc
.LBB40_77:                              ;   in Loop: Header=BB40_14 Depth=3
	s_or_b64 exec, exec, s[20:21]
.LBB40_78:                              ;   in Loop: Header=BB40_14 Depth=3
	s_or_b64 exec, exec, s[68:69]
.LBB40_79:                              ;   in Loop: Header=BB40_14 Depth=3
	s_or_b64 exec, exec, s[94:95]
.LBB40_80:                              ;   in Loop: Header=BB40_14 Depth=3
	s_or_b64 exec, exec, s[92:93]
	s_or_b64 exec, exec, s[90:91]
	s_and_b64 s[20:21], s[22:23], s[34:35]
	s_and_saveexec_b64 s[22:23], s[20:21]
	s_cbranch_execz .LBB40_13
.LBB40_81:                              ;   in Loop: Header=BB40_14 Depth=3
	v_cmp_ge_i32_e32 vcc, v22, v41
	s_and_saveexec_b64 s[20:21], vcc
	s_xor_b64 s[20:21], exec, s[20:21]
	s_cbranch_execnz .LBB40_88
; %bb.82:                               ;   in Loop: Header=BB40_14 Depth=3
	s_andn2_saveexec_b64 s[20:21], s[20:21]
	s_cbranch_execnz .LBB40_102
.LBB40_83:                              ;   in Loop: Header=BB40_14 Depth=3
	s_or_b64 exec, exec, s[20:21]
	v_cmp_eq_u32_e32 vcc, v8, v14
	s_and_saveexec_b64 s[20:21], vcc
	s_cbranch_execz .LBB40_85
.LBB40_84:                              ;   in Loop: Header=BB40_14 Depth=3
	v_lshlrev_b64 v[14:15], 3, v[14:15]
	v_mov_b32_e32 v6, s57
	v_add_co_u32_e32 v14, vcc, s56, v14
	v_addc_co_u32_e32 v15, vcc, v6, v15, vcc
	global_load_dwordx2 v[14:15], v[14:15], off
	s_waitcnt vmcnt(0)
	v_pk_add_f32 v[16:17], v[16:17], v[14:15]
.LBB40_85:                              ;   in Loop: Header=BB40_14 Depth=3
	s_or_b64 exec, exec, s[20:21]
	v_pk_add_f32 v[14:15], v[18:19], v[16:17] neg_lo:[0,1] neg_hi:[0,1]
	v_cmp_gt_f32_e32 vcc, 0, v14
	v_cndmask_b32_e64 v6, v14, -v14, vcc
	v_cmp_gt_f32_e32 vcc, 0, v15
	v_cndmask_b32_e64 v11, v15, -v15, vcc
	v_cmp_ngt_f32_e32 vcc, v6, v11
                                        ; implicit-def: $vgpr14
	s_and_saveexec_b64 s[20:21], vcc
	s_xor_b64 s[52:53], exec, s[20:21]
	s_cbranch_execnz .LBB40_93
; %bb.86:                               ;   in Loop: Header=BB40_14 Depth=3
	s_andn2_saveexec_b64 s[52:53], s[52:53]
	s_cbranch_execnz .LBB40_96
.LBB40_87:                              ;   in Loop: Header=BB40_14 Depth=3
	s_or_b64 exec, exec, s[52:53]
	v_cmp_class_f32_e64 s[52:53], v14, s0
	s_and_saveexec_b64 s[20:21], s[52:53]
	s_cbranch_execz .LBB40_12
	s_branch .LBB40_97
.LBB40_88:                              ;   in Loop: Header=BB40_14 Depth=3
	v_cmp_lt_i32_e32 vcc, v6, v37
	s_and_saveexec_b64 s[68:69], vcc
	s_cbranch_execz .LBB40_101
; %bb.89:                               ;   in Loop: Header=BB40_14 Depth=3
	s_mov_b64 s[74:75], 0
                                        ; implicit-def: $sgpr90_sgpr91
                                        ; implicit-def: $sgpr54_sgpr55
                                        ; implicit-def: $sgpr52_sgpr53
	s_branch .LBB40_91
.LBB40_90:                              ;   in Loop: Header=BB40_91 Depth=4
	s_or_b64 exec, exec, s[72:73]
	s_and_b64 s[72:73], exec, s[54:55]
	s_or_b64 s[74:75], s[72:73], s[74:75]
	s_andn2_b64 s[72:73], s[90:91], exec
	s_and_b64 s[90:91], s[52:53], exec
	s_or_b64 s[90:91], s[72:73], s[90:91]
	s_andn2_b64 exec, exec, s[74:75]
	s_cbranch_execz .LBB40_98
.LBB40_91:                              ;   Parent Loop BB40_5 Depth=1
                                        ;     Parent Loop BB40_9 Depth=2
                                        ;       Parent Loop BB40_14 Depth=3
                                        ; =>      This Inner Loop Header: Depth=4
	v_add_u32_e32 v20, v12, v6
	v_ashrrev_i32_e32 v21, 31, v20
	v_lshlrev_b64 v[22:23], 2, v[20:21]
	v_mov_b32_e32 v11, s41
	v_add_co_u32_e32 v22, vcc, s40, v22
	v_addc_co_u32_e32 v23, vcc, v11, v23, vcc
	global_load_dword v11, v[22:23], off
	s_or_b64 s[52:53], s[52:53], exec
	s_or_b64 s[54:55], s[54:55], exec
	s_waitcnt vmcnt(0)
	v_subrev_u32_e32 v11, s64, v11
	v_cmp_ne_u32_e32 vcc, v11, v14
	s_and_saveexec_b64 s[72:73], vcc
	s_cbranch_execz .LBB40_90
; %bb.92:                               ;   in Loop: Header=BB40_91 Depth=4
	v_add_u32_e32 v6, 1, v6
	v_cmp_ge_i32_e32 vcc, v6, v37
	s_andn2_b64 s[54:55], s[54:55], exec
	s_and_b64 s[92:93], vcc, exec
	s_andn2_b64 s[52:53], s[52:53], exec
	s_or_b64 s[54:55], s[54:55], s[92:93]
	s_branch .LBB40_90
.LBB40_93:                              ;   in Loop: Header=BB40_14 Depth=3
	v_cmp_neq_f32_e32 vcc, 0, v15
	v_mov_b32_e32 v14, 0
	s_and_saveexec_b64 s[54:55], vcc
	s_cbranch_execz .LBB40_95
; %bb.94:                               ;   in Loop: Header=BB40_14 Depth=3
	v_div_scale_f32 v14, s[20:21], v11, v11, v6
	v_rcp_f32_e32 v15, v14
	v_div_scale_f32 v16, vcc, v6, v11, v6
	v_fma_f32 v17, -v14, v15, 1.0
	v_fmac_f32_e32 v15, v17, v15
	v_mul_f32_e32 v17, v16, v15
	v_fma_f32 v18, -v14, v17, v16
	v_fmac_f32_e32 v17, v18, v15
	v_fma_f32 v14, -v14, v17, v16
	v_div_fmas_f32 v14, v14, v15, v17
	v_div_fixup_f32 v6, v14, v11, v6
	v_fma_f32 v6, v6, v6, 1.0
	v_mul_f32_e32 v14, 0x4f800000, v6
	v_cmp_gt_f32_e32 vcc, s65, v6
	v_cndmask_b32_e32 v6, v6, v14, vcc
	v_sqrt_f32_e32 v14, v6
	v_add_u32_e32 v15, -1, v14
	v_fma_f32 v16, -v15, v14, v6
	v_cmp_ge_f32_e64 s[20:21], 0, v16
	v_add_u32_e32 v16, 1, v14
	v_cndmask_b32_e64 v15, v14, v15, s[20:21]
	v_fma_f32 v14, -v16, v14, v6
	v_cmp_lt_f32_e64 s[20:21], 0, v14
	v_cndmask_b32_e64 v14, v15, v16, s[20:21]
	v_mul_f32_e32 v15, 0x37800000, v14
	v_cndmask_b32_e32 v14, v14, v15, vcc
	v_cmp_class_f32_e32 vcc, v6, v35
	v_cndmask_b32_e32 v6, v14, v6, vcc
	v_mul_f32_e32 v14, v11, v6
.LBB40_95:                              ;   in Loop: Header=BB40_14 Depth=3
	s_or_b64 exec, exec, s[54:55]
                                        ; implicit-def: $vgpr6
                                        ; implicit-def: $vgpr11
	s_andn2_saveexec_b64 s[52:53], s[52:53]
	s_cbranch_execz .LBB40_87
.LBB40_96:                              ;   in Loop: Header=BB40_14 Depth=3
	v_div_scale_f32 v14, s[20:21], v6, v6, v11
	v_rcp_f32_e32 v15, v14
	v_div_scale_f32 v16, vcc, v11, v6, v11
	v_fma_f32 v17, -v14, v15, 1.0
	v_fmac_f32_e32 v15, v17, v15
	v_mul_f32_e32 v17, v16, v15
	v_fma_f32 v18, -v14, v17, v16
	v_fmac_f32_e32 v17, v18, v15
	v_fma_f32 v14, -v14, v17, v16
	v_div_fmas_f32 v14, v14, v15, v17
	v_div_fixup_f32 v11, v14, v6, v11
	v_fma_f32 v11, v11, v11, 1.0
	v_mul_f32_e32 v14, 0x4f800000, v11
	v_cmp_gt_f32_e32 vcc, s65, v11
	v_cndmask_b32_e32 v11, v11, v14, vcc
	v_sqrt_f32_e32 v14, v11
	v_add_u32_e32 v15, -1, v14
	v_fma_f32 v16, -v15, v14, v11
	v_cmp_ge_f32_e64 s[20:21], 0, v16
	v_add_u32_e32 v16, 1, v14
	v_cndmask_b32_e64 v15, v14, v15, s[20:21]
	v_fma_f32 v14, -v16, v14, v11
	v_cmp_lt_f32_e64 s[20:21], 0, v14
	v_cndmask_b32_e64 v14, v15, v16, s[20:21]
	v_mul_f32_e32 v15, 0x37800000, v14
	v_cndmask_b32_e32 v14, v14, v15, vcc
	v_cmp_class_f32_e32 vcc, v11, v35
	v_cndmask_b32_e32 v11, v14, v11, vcc
	v_mul_f32_e32 v14, v6, v11
	s_or_b64 exec, exec, s[52:53]
	v_cmp_class_f32_e64 s[52:53], v14, s0
	s_and_saveexec_b64 s[20:21], s[52:53]
	s_cbranch_execz .LBB40_12
.LBB40_97:                              ;   in Loop: Header=BB40_14 Depth=3
	v_cmp_lt_f32_e32 vcc, v2, v14
	v_cndmask_b32_e32 v2, v2, v14, vcc
	s_branch .LBB40_12
.LBB40_98:                              ;   in Loop: Header=BB40_14 Depth=3
	s_or_b64 exec, exec, s[74:75]
	s_and_saveexec_b64 s[52:53], s[90:91]
	s_xor_b64 s[52:53], exec, s[52:53]
	s_cbranch_execz .LBB40_100
; %bb.99:                               ;   in Loop: Header=BB40_14 Depth=3
	v_lshlrev_b64 v[20:21], 3, v[20:21]
	v_mov_b32_e32 v6, s43
	v_add_co_u32_e32 v20, vcc, s42, v20
	v_addc_co_u32_e32 v21, vcc, v6, v21, vcc
	v_lshlrev_b64 v[22:23], 3, v[14:15]
	v_mov_b32_e32 v6, s57
	v_add_co_u32_e32 v22, vcc, s56, v22
	v_addc_co_u32_e32 v23, vcc, v6, v23, vcc
	global_load_dwordx2 v[20:21], v[20:21], off
	s_nop 0
	global_load_dwordx2 v[22:23], v[22:23], off
	s_waitcnt vmcnt(0)
	v_pk_mul_f32 v[24:25], v[22:23], v[20:21] op_sel:[1,1] op_sel_hi:[1,0] neg_lo:[0,1]
	v_pk_fma_f32 v[20:21], v[20:21], v[22:23], v[24:25] op_sel_hi:[1,0,1]
	v_pk_add_f32 v[16:17], v[16:17], v[20:21]
.LBB40_100:                             ;   in Loop: Header=BB40_14 Depth=3
	s_or_b64 exec, exec, s[52:53]
.LBB40_101:                             ;   in Loop: Header=BB40_14 Depth=3
	s_or_b64 exec, exec, s[68:69]
                                        ; implicit-def: $vgpr22
                                        ; implicit-def: $vgpr20
                                        ; implicit-def: $vgpr41
	s_andn2_saveexec_b64 s[20:21], s[20:21]
	s_cbranch_execz .LBB40_83
.LBB40_102:                             ;   in Loop: Header=BB40_14 Depth=3
	s_mov_b64 s[68:69], 0
                                        ; implicit-def: $sgpr74_sgpr75
                                        ; implicit-def: $sgpr54_sgpr55
                                        ; implicit-def: $sgpr52_sgpr53
	s_branch .LBB40_104
.LBB40_103:                             ;   in Loop: Header=BB40_104 Depth=4
	s_or_b64 exec, exec, s[72:73]
	s_and_b64 s[72:73], exec, s[54:55]
	s_or_b64 s[68:69], s[72:73], s[68:69]
	s_andn2_b64 s[72:73], s[74:75], exec
	s_and_b64 s[74:75], s[52:53], exec
	s_or_b64 s[74:75], s[72:73], s[74:75]
	s_andn2_b64 exec, exec, s[68:69]
	s_cbranch_execz .LBB40_106
.LBB40_104:                             ;   Parent Loop BB40_5 Depth=1
                                        ;     Parent Loop BB40_9 Depth=2
                                        ;       Parent Loop BB40_14 Depth=3
                                        ; =>      This Inner Loop Header: Depth=4
	v_add_u32_e32 v24, v20, v22
	v_ashrrev_i32_e32 v25, 31, v24
	v_lshlrev_b64 v[26:27], 2, v[24:25]
	v_mov_b32_e32 v6, s29
	v_add_co_u32_e32 v26, vcc, s28, v26
	v_addc_co_u32_e32 v27, vcc, v6, v27, vcc
	global_load_dword v6, v[26:27], off
	s_or_b64 s[52:53], s[52:53], exec
	s_or_b64 s[54:55], s[54:55], exec
	s_waitcnt vmcnt(0)
	v_subrev_u32_e32 v6, s80, v6
	v_cmp_ne_u32_e32 vcc, v6, v8
	s_and_saveexec_b64 s[72:73], vcc
	s_cbranch_execz .LBB40_103
; %bb.105:                              ;   in Loop: Header=BB40_104 Depth=4
	v_add_u32_e32 v22, 1, v22
	v_cmp_ge_i32_e32 vcc, v22, v41
	s_andn2_b64 s[54:55], s[54:55], exec
	s_and_b64 s[90:91], vcc, exec
	s_andn2_b64 s[52:53], s[52:53], exec
	s_or_b64 s[54:55], s[54:55], s[90:91]
	s_branch .LBB40_103
.LBB40_106:                             ;   in Loop: Header=BB40_14 Depth=3
	s_or_b64 exec, exec, s[68:69]
	s_and_saveexec_b64 s[52:53], s[74:75]
	s_xor_b64 s[52:53], exec, s[52:53]
	s_cbranch_execz .LBB40_108
; %bb.107:                              ;   in Loop: Header=BB40_14 Depth=3
	v_lshlrev_b64 v[20:21], 3, v[24:25]
	v_mov_b32_e32 v6, s31
	v_add_co_u32_e32 v20, vcc, s30, v20
	v_addc_co_u32_e32 v21, vcc, v6, v21, vcc
	global_load_dwordx2 v[20:21], v[20:21], off
	s_waitcnt vmcnt(0)
	v_pk_add_f32 v[16:17], v[16:17], v[20:21]
.LBB40_108:                             ;   in Loop: Header=BB40_14 Depth=3
	s_or_b64 exec, exec, s[52:53]
	s_or_b64 exec, exec, s[20:21]
	v_cmp_eq_u32_e32 vcc, v8, v14
	s_and_saveexec_b64 s[20:21], vcc
	s_cbranch_execnz .LBB40_84
	s_branch .LBB40_85
.LBB40_109:                             ;   in Loop: Header=BB40_14 Depth=3
	v_cmp_neq_f32_e32 vcc, 0, v24
	v_mov_b32_e32 v23, 0
	s_and_saveexec_b64 s[54:55], vcc
	s_cbranch_execz .LBB40_111
; %bb.110:                              ;   in Loop: Header=BB40_14 Depth=3
	v_div_scale_f32 v23, s[20:21], v21, v21, v11
	v_rcp_f32_e32 v24, v23
	v_div_scale_f32 v25, vcc, v11, v21, v11
	v_fma_f32 v26, -v23, v24, 1.0
	v_fmac_f32_e32 v24, v26, v24
	v_mul_f32_e32 v26, v25, v24
	v_fma_f32 v27, -v23, v26, v25
	v_fmac_f32_e32 v26, v27, v24
	v_fma_f32 v23, -v23, v26, v25
	v_div_fmas_f32 v23, v23, v24, v26
	v_div_fixup_f32 v11, v23, v21, v11
	v_fma_f32 v11, v11, v11, 1.0
	v_mul_f32_e32 v23, 0x4f800000, v11
	v_cmp_gt_f32_e32 vcc, s65, v11
	v_cndmask_b32_e32 v11, v11, v23, vcc
	v_sqrt_f32_e32 v23, v11
	v_add_u32_e32 v24, -1, v23
	v_fma_f32 v26, -v24, v23, v11
	v_add_u32_e32 v25, 1, v23
	v_cmp_ge_f32_e64 s[20:21], 0, v26
	v_cndmask_b32_e64 v24, v23, v24, s[20:21]
	v_fma_f32 v23, -v25, v23, v11
	v_cmp_lt_f32_e64 s[20:21], 0, v23
	v_cndmask_b32_e64 v23, v24, v25, s[20:21]
	v_mul_f32_e32 v24, 0x37800000, v23
	v_cndmask_b32_e32 v23, v23, v24, vcc
	v_cmp_class_f32_e32 vcc, v11, v35
	v_cndmask_b32_e32 v11, v23, v11, vcc
	v_mul_f32_e32 v23, v21, v11
.LBB40_111:                             ;   in Loop: Header=BB40_14 Depth=3
	s_or_b64 exec, exec, s[54:55]
                                        ; implicit-def: $vgpr11
                                        ; implicit-def: $vgpr21
	s_andn2_saveexec_b64 s[52:53], s[52:53]
	s_cbranch_execz .LBB40_45
.LBB40_112:                             ;   in Loop: Header=BB40_14 Depth=3
	v_div_scale_f32 v23, s[20:21], v11, v11, v21
	v_rcp_f32_e32 v24, v23
	v_div_scale_f32 v25, vcc, v21, v11, v21
	v_fma_f32 v26, -v23, v24, 1.0
	v_fmac_f32_e32 v24, v26, v24
	v_mul_f32_e32 v26, v25, v24
	v_fma_f32 v27, -v23, v26, v25
	v_fmac_f32_e32 v26, v27, v24
	v_fma_f32 v23, -v23, v26, v25
	v_div_fmas_f32 v23, v23, v24, v26
	v_div_fixup_f32 v21, v23, v11, v21
	v_fma_f32 v21, v21, v21, 1.0
	v_mul_f32_e32 v23, 0x4f800000, v21
	v_cmp_gt_f32_e32 vcc, s65, v21
	v_cndmask_b32_e32 v21, v21, v23, vcc
	v_sqrt_f32_e32 v23, v21
	v_add_u32_e32 v24, -1, v23
	v_fma_f32 v26, -v24, v23, v21
	v_add_u32_e32 v25, 1, v23
	v_cmp_ge_f32_e64 s[20:21], 0, v26
	v_cndmask_b32_e64 v24, v23, v24, s[20:21]
	v_fma_f32 v23, -v25, v23, v21
	v_cmp_lt_f32_e64 s[20:21], 0, v23
	v_cndmask_b32_e64 v23, v24, v25, s[20:21]
	v_mul_f32_e32 v24, 0x37800000, v23
	v_cndmask_b32_e32 v23, v23, v24, vcc
	v_cmp_class_f32_e32 vcc, v21, v35
	v_cndmask_b32_e32 v21, v23, v21, vcc
	v_mul_f32_e32 v23, v11, v21
	s_or_b64 exec, exec, s[52:53]
	v_cmp_class_f32_e64 s[52:53], v23, s0
	s_and_saveexec_b64 s[20:21], s[52:53]
	s_cbranch_execnz .LBB40_46
	s_branch .LBB40_47
.LBB40_113:                             ;   in Loop: Header=BB40_14 Depth=3
	v_cmp_neq_f32_e32 vcc, 0, v24
	v_mov_b32_e32 v23, 0
	s_and_saveexec_b64 s[54:55], vcc
	s_cbranch_execz .LBB40_115
; %bb.114:                              ;   in Loop: Header=BB40_14 Depth=3
	v_div_scale_f32 v23, s[20:21], v21, v21, v11
	v_rcp_f32_e32 v24, v23
	v_div_scale_f32 v25, vcc, v11, v21, v11
	v_fma_f32 v26, -v23, v24, 1.0
	v_fmac_f32_e32 v24, v26, v24
	v_mul_f32_e32 v26, v25, v24
	v_fma_f32 v27, -v23, v26, v25
	v_fmac_f32_e32 v26, v27, v24
	v_fma_f32 v23, -v23, v26, v25
	v_div_fmas_f32 v23, v23, v24, v26
	v_div_fixup_f32 v11, v23, v21, v11
	v_fma_f32 v11, v11, v11, 1.0
	v_mul_f32_e32 v23, 0x4f800000, v11
	v_cmp_gt_f32_e32 vcc, s65, v11
	v_cndmask_b32_e32 v11, v11, v23, vcc
	v_sqrt_f32_e32 v23, v11
	v_add_u32_e32 v24, -1, v23
	v_fma_f32 v26, -v24, v23, v11
	v_add_u32_e32 v25, 1, v23
	v_cmp_ge_f32_e64 s[20:21], 0, v26
	v_cndmask_b32_e64 v24, v23, v24, s[20:21]
	v_fma_f32 v23, -v25, v23, v11
	v_cmp_lt_f32_e64 s[20:21], 0, v23
	v_cndmask_b32_e64 v23, v24, v25, s[20:21]
	v_mul_f32_e32 v24, 0x37800000, v23
	v_cndmask_b32_e32 v23, v23, v24, vcc
	v_cmp_class_f32_e32 vcc, v11, v35
	v_cndmask_b32_e32 v11, v23, v11, vcc
	v_mul_f32_e32 v23, v21, v11
.LBB40_115:                             ;   in Loop: Header=BB40_14 Depth=3
	s_or_b64 exec, exec, s[54:55]
                                        ; implicit-def: $vgpr11
                                        ; implicit-def: $vgpr21
	s_andn2_saveexec_b64 s[52:53], s[52:53]
	s_cbranch_execz .LBB40_75
.LBB40_116:                             ;   in Loop: Header=BB40_14 Depth=3
	v_div_scale_f32 v23, s[20:21], v11, v11, v21
	v_rcp_f32_e32 v24, v23
	v_div_scale_f32 v25, vcc, v21, v11, v21
	v_fma_f32 v26, -v23, v24, 1.0
	v_fmac_f32_e32 v24, v26, v24
	v_mul_f32_e32 v26, v25, v24
	v_fma_f32 v27, -v23, v26, v25
	v_fmac_f32_e32 v26, v27, v24
	v_fma_f32 v23, -v23, v26, v25
	v_div_fmas_f32 v23, v23, v24, v26
	v_div_fixup_f32 v21, v23, v11, v21
	v_fma_f32 v21, v21, v21, 1.0
	v_mul_f32_e32 v23, 0x4f800000, v21
	v_cmp_gt_f32_e32 vcc, s65, v21
	v_cndmask_b32_e32 v21, v21, v23, vcc
	v_sqrt_f32_e32 v23, v21
	v_add_u32_e32 v24, -1, v23
	v_fma_f32 v26, -v24, v23, v21
	v_add_u32_e32 v25, 1, v23
	v_cmp_ge_f32_e64 s[20:21], 0, v26
	v_cndmask_b32_e64 v24, v23, v24, s[20:21]
	v_fma_f32 v23, -v25, v23, v21
	v_cmp_lt_f32_e64 s[20:21], 0, v23
	v_cndmask_b32_e64 v23, v24, v25, s[20:21]
	v_mul_f32_e32 v24, 0x37800000, v23
	v_cndmask_b32_e32 v23, v23, v24, vcc
	v_cmp_class_f32_e32 vcc, v21, v35
	v_cndmask_b32_e32 v21, v23, v21, vcc
	v_mul_f32_e32 v23, v11, v21
	s_or_b64 exec, exec, s[52:53]
	v_cmp_class_f32_e64 s[52:53], v23, s0
	s_and_saveexec_b64 s[20:21], s[52:53]
	s_cbranch_execnz .LBB40_76
	s_branch .LBB40_77
.LBB40_117:                             ;   in Loop: Header=BB40_14 Depth=3
	v_cmp_neq_f32_e32 vcc, 0, v24
	v_mov_b32_e32 v23, 0
	s_and_saveexec_b64 s[54:55], vcc
	s_cbranch_execz .LBB40_119
; %bb.118:                              ;   in Loop: Header=BB40_14 Depth=3
	v_div_scale_f32 v23, s[20:21], v21, v21, v11
	v_rcp_f32_e32 v24, v23
	v_div_scale_f32 v25, vcc, v11, v21, v11
	v_fma_f32 v26, -v23, v24, 1.0
	v_fmac_f32_e32 v24, v26, v24
	v_mul_f32_e32 v26, v25, v24
	v_fma_f32 v27, -v23, v26, v25
	v_fmac_f32_e32 v26, v27, v24
	v_fma_f32 v23, -v23, v26, v25
	v_div_fmas_f32 v23, v23, v24, v26
	v_div_fixup_f32 v11, v23, v21, v11
	v_fma_f32 v11, v11, v11, 1.0
	v_mul_f32_e32 v23, 0x4f800000, v11
	v_cmp_gt_f32_e32 vcc, s65, v11
	v_cndmask_b32_e32 v11, v11, v23, vcc
	v_sqrt_f32_e32 v23, v11
	v_add_u32_e32 v24, -1, v23
	v_fma_f32 v26, -v24, v23, v11
	v_add_u32_e32 v25, 1, v23
	v_cmp_ge_f32_e64 s[20:21], 0, v26
	v_cndmask_b32_e64 v24, v23, v24, s[20:21]
	v_fma_f32 v23, -v25, v23, v11
	v_cmp_lt_f32_e64 s[20:21], 0, v23
	v_cndmask_b32_e64 v23, v24, v25, s[20:21]
	v_mul_f32_e32 v24, 0x37800000, v23
	v_cndmask_b32_e32 v23, v23, v24, vcc
	v_cmp_class_f32_e32 vcc, v11, v35
	v_cndmask_b32_e32 v11, v23, v11, vcc
	v_mul_f32_e32 v23, v21, v11
.LBB40_119:                             ;   in Loop: Header=BB40_14 Depth=3
	s_or_b64 exec, exec, s[54:55]
                                        ; implicit-def: $vgpr11
                                        ; implicit-def: $vgpr21
	s_andn2_saveexec_b64 s[52:53], s[52:53]
	s_cbranch_execz .LBB40_59
.LBB40_120:                             ;   in Loop: Header=BB40_14 Depth=3
	v_div_scale_f32 v23, s[20:21], v11, v11, v21
	v_rcp_f32_e32 v24, v23
	v_div_scale_f32 v25, vcc, v21, v11, v21
	v_fma_f32 v26, -v23, v24, 1.0
	v_fmac_f32_e32 v24, v26, v24
	v_mul_f32_e32 v26, v25, v24
	v_fma_f32 v27, -v23, v26, v25
	v_fmac_f32_e32 v26, v27, v24
	v_fma_f32 v23, -v23, v26, v25
	v_div_fmas_f32 v23, v23, v24, v26
	v_div_fixup_f32 v21, v23, v11, v21
	v_fma_f32 v21, v21, v21, 1.0
	v_mul_f32_e32 v23, 0x4f800000, v21
	v_cmp_gt_f32_e32 vcc, s65, v21
	v_cndmask_b32_e32 v21, v21, v23, vcc
	v_sqrt_f32_e32 v23, v21
	v_add_u32_e32 v24, -1, v23
	v_fma_f32 v26, -v24, v23, v21
	v_add_u32_e32 v25, 1, v23
	v_cmp_ge_f32_e64 s[20:21], 0, v26
	v_cndmask_b32_e64 v24, v23, v24, s[20:21]
	v_fma_f32 v23, -v25, v23, v21
	v_cmp_lt_f32_e64 s[20:21], 0, v23
	v_cndmask_b32_e64 v23, v24, v25, s[20:21]
	v_mul_f32_e32 v24, 0x37800000, v23
	v_cndmask_b32_e32 v23, v23, v24, vcc
	v_cmp_class_f32_e32 vcc, v21, v35
	v_cndmask_b32_e32 v21, v23, v21, vcc
	v_mul_f32_e32 v23, v11, v21
	s_or_b64 exec, exec, s[52:53]
	v_cmp_class_f32_e64 s[52:53], v23, s0
	s_and_saveexec_b64 s[20:21], s[52:53]
	s_cbranch_execnz .LBB40_60
	s_branch .LBB40_61
.LBB40_121:                             ;   in Loop: Header=BB40_5 Depth=1
	s_and_b64 vcc, exec, s[60:61]
	s_cbranch_vccz .LBB40_135
; %bb.122:                              ;   in Loop: Header=BB40_5 Depth=1
	v_mov_b32_dpp v6, v4 row_shr:1 row_mask:0xf bank_mask:0xf
	v_cmp_lt_f32_e32 vcc, v4, v6
	v_cndmask_b32_e32 v4, v4, v6, vcc
	s_nop 1
	v_mov_b32_dpp v6, v4 row_shr:2 row_mask:0xf bank_mask:0xf
	v_cmp_lt_f32_e32 vcc, v4, v6
	v_cndmask_b32_e32 v4, v4, v6, vcc
	s_nop 1
	;; [unrolled: 4-line block ×4, first 2 shown]
	v_mov_b32_dpp v6, v4 row_bcast:15 row_mask:0xa bank_mask:0xf
	s_and_saveexec_b64 s[18:19], s[2:3]
	s_cbranch_execz .LBB40_124
; %bb.123:                              ;   in Loop: Header=BB40_5 Depth=1
	v_cmp_lt_f32_e32 vcc, v4, v6
	v_cndmask_b32_e32 v4, v4, v6, vcc
	ds_write_b32 v32, v4
.LBB40_124:                             ;   in Loop: Header=BB40_5 Depth=1
	s_or_b64 exec, exec, s[18:19]
	s_waitcnt lgkmcnt(0)
	s_barrier
	s_and_saveexec_b64 s[18:19], s[6:7]
	s_cbranch_execz .LBB40_126
; %bb.125:                              ;   in Loop: Header=BB40_5 Depth=1
	ds_read2_b32 v[8:9], v1 offset1:16
	s_waitcnt lgkmcnt(0)
	v_cmp_lt_f32_e32 vcc, v8, v9
	v_cndmask_b32_e32 v4, v8, v9, vcc
	ds_write_b32 v1, v4
.LBB40_126:                             ;   in Loop: Header=BB40_5 Depth=1
	s_or_b64 exec, exec, s[18:19]
	s_waitcnt lgkmcnt(0)
	s_barrier
	s_and_saveexec_b64 s[18:19], s[8:9]
	s_cbranch_execz .LBB40_128
; %bb.127:                              ;   in Loop: Header=BB40_5 Depth=1
	ds_read2_b32 v[8:9], v1 offset1:8
	s_waitcnt lgkmcnt(0)
	v_cmp_lt_f32_e32 vcc, v8, v9
	v_cndmask_b32_e32 v4, v8, v9, vcc
	ds_write_b32 v1, v4
.LBB40_128:                             ;   in Loop: Header=BB40_5 Depth=1
	;; [unrolled: 12-line block ×4, first 2 shown]
	s_or_b64 exec, exec, s[18:19]
	s_waitcnt lgkmcnt(0)
	s_barrier
	s_and_saveexec_b64 s[18:19], s[14:15]
	s_cbranch_execz .LBB40_134
; %bb.133:                              ;   in Loop: Header=BB40_5 Depth=1
	ds_read_b64 v[8:9], v36
	s_waitcnt lgkmcnt(0)
	v_cmp_lt_f32_e32 vcc, v8, v9
	v_cndmask_b32_e32 v4, v8, v9, vcc
	ds_write_b32 v36, v4
.LBB40_134:                             ;   in Loop: Header=BB40_5 Depth=1
	s_or_b64 exec, exec, s[18:19]
	v_readlane_b32 s4, v44, 4
	v_readlane_b32 s5, v44, 5
	s_waitcnt lgkmcnt(0)
	s_barrier
	ds_read_b32 v4, v36
	s_load_dword s18, s[4:5], 0x0
	s_waitcnt lgkmcnt(0)
	v_div_scale_f32 v6, s[4:5], s18, s18, v4
	v_rcp_f32_e32 v8, v6
	v_div_scale_f32 v9, vcc, v4, s18, v4
	v_fma_f32 v10, -v6, v8, 1.0
	v_fmac_f32_e32 v8, v10, v8
	v_mul_f32_e32 v10, v9, v8
	v_fma_f32 v11, -v6, v10, v9
	v_fmac_f32_e32 v10, v11, v8
	v_fma_f32 v6, -v6, v10, v9
	v_div_fmas_f32 v6, v6, v8, v10
	v_div_fixup_f32 v4, v6, s18, v4
.LBB40_135:                             ;   in Loop: Header=BB40_5 Depth=1
	s_andn2_b64 vcc, exec, s[34:35]
	s_cbranch_vccnz .LBB40_149
; %bb.136:                              ;   in Loop: Header=BB40_5 Depth=1
	v_mov_b32_dpp v6, v2 row_shr:1 row_mask:0xf bank_mask:0xf
	v_cmp_lt_f32_e32 vcc, v2, v6
	v_cndmask_b32_e32 v2, v2, v6, vcc
	s_nop 1
	v_mov_b32_dpp v6, v2 row_shr:2 row_mask:0xf bank_mask:0xf
	v_cmp_lt_f32_e32 vcc, v2, v6
	v_cndmask_b32_e32 v2, v2, v6, vcc
	s_nop 1
	;; [unrolled: 4-line block ×4, first 2 shown]
	v_mov_b32_dpp v6, v2 row_bcast:15 row_mask:0xa bank_mask:0xf
	s_and_saveexec_b64 s[18:19], s[2:3]
	s_cbranch_execz .LBB40_138
; %bb.137:                              ;   in Loop: Header=BB40_5 Depth=1
	v_cmp_lt_f32_e32 vcc, v2, v6
	v_cndmask_b32_e32 v2, v2, v6, vcc
	ds_write_b32 v32, v2
.LBB40_138:                             ;   in Loop: Header=BB40_5 Depth=1
	s_or_b64 exec, exec, s[18:19]
	s_waitcnt lgkmcnt(0)
	s_barrier
	s_and_saveexec_b64 s[18:19], s[6:7]
	s_cbranch_execz .LBB40_140
; %bb.139:                              ;   in Loop: Header=BB40_5 Depth=1
	ds_read2_b32 v[8:9], v1 offset1:16
	s_waitcnt lgkmcnt(0)
	v_cmp_lt_f32_e32 vcc, v8, v9
	v_cndmask_b32_e32 v2, v8, v9, vcc
	ds_write_b32 v1, v2
.LBB40_140:                             ;   in Loop: Header=BB40_5 Depth=1
	s_or_b64 exec, exec, s[18:19]
	s_waitcnt lgkmcnt(0)
	s_barrier
	s_and_saveexec_b64 s[18:19], s[8:9]
	s_cbranch_execz .LBB40_142
; %bb.141:                              ;   in Loop: Header=BB40_5 Depth=1
	ds_read2_b32 v[8:9], v1 offset1:8
	s_waitcnt lgkmcnt(0)
	v_cmp_lt_f32_e32 vcc, v8, v9
	v_cndmask_b32_e32 v2, v8, v9, vcc
	ds_write_b32 v1, v2
.LBB40_142:                             ;   in Loop: Header=BB40_5 Depth=1
	;; [unrolled: 12-line block ×4, first 2 shown]
	s_or_b64 exec, exec, s[18:19]
	s_waitcnt lgkmcnt(0)
	s_barrier
	s_and_saveexec_b64 s[18:19], s[14:15]
	s_cbranch_execz .LBB40_148
; %bb.147:                              ;   in Loop: Header=BB40_5 Depth=1
	ds_read_b64 v[8:9], v36
	s_waitcnt lgkmcnt(0)
	v_cmp_lt_f32_e32 vcc, v8, v9
	v_cndmask_b32_e32 v2, v8, v9, vcc
	ds_write_b32 v36, v2
.LBB40_148:                             ;   in Loop: Header=BB40_5 Depth=1
	s_or_b64 exec, exec, s[18:19]
	v_readlane_b32 s4, v44, 4
	v_readlane_b32 s5, v44, 5
	s_waitcnt lgkmcnt(0)
	s_barrier
	ds_read_b32 v2, v36
	s_load_dword s18, s[4:5], 0x0
	s_waitcnt lgkmcnt(0)
	v_div_scale_f32 v6, s[4:5], s18, s18, v2
	v_rcp_f32_e32 v8, v6
	v_div_scale_f32 v9, vcc, v2, s18, v2
	v_fma_f32 v10, -v6, v8, 1.0
	v_fmac_f32_e32 v8, v10, v8
	v_mul_f32_e32 v10, v9, v8
	v_fma_f32 v11, -v6, v10, v9
	v_fmac_f32_e32 v10, v11, v8
	v_fma_f32 v6, -v6, v10, v9
	v_div_fmas_f32 v6, v6, v8, v10
	v_div_fixup_f32 v2, v6, s18, v2
.LBB40_149:                             ;   in Loop: Header=BB40_5 Depth=1
	s_mov_b64 s[18:19], exec
	v_readlane_b32 s4, v44, 10
	v_readlane_b32 s5, v44, 11
	s_and_b64 s[4:5], s[18:19], s[4:5]
	s_mov_b64 exec, s[4:5]
	s_cbranch_execz .LBB40_161
; %bb.150:                              ;   in Loop: Header=BB40_5 Depth=1
	s_mov_b64 s[20:21], 0
	v_mov_b32_e32 v8, v30
	s_branch .LBB40_152
.LBB40_151:                             ;   in Loop: Header=BB40_152 Depth=2
	s_or_b64 exec, exec, s[22:23]
	v_add_u32_e32 v8, 32, v8
	v_cmp_le_u32_e32 vcc, s81, v8
	s_or_b64 s[20:21], vcc, s[20:21]
	s_andn2_b64 exec, exec, s[20:21]
	s_cbranch_execz .LBB40_161
.LBB40_152:                             ;   Parent Loop BB40_5 Depth=1
                                        ; =>  This Loop Header: Depth=2
                                        ;       Child Loop BB40_155 Depth 3
                                        ;       Child Loop BB40_158 Depth 3
	v_cmp_gt_i32_e32 vcc, s67, v8
	s_and_saveexec_b64 s[22:23], vcc
	s_cbranch_execz .LBB40_151
; %bb.153:                              ;   in Loop: Header=BB40_152 Depth=2
	v_ashrrev_i32_e32 v9, 31, v8
	v_lshlrev_b64 v[10:11], 2, v[8:9]
	v_mov_b32_e32 v6, s37
	v_add_co_u32_e32 v12, vcc, s36, v10
	v_addc_co_u32_e32 v13, vcc, v6, v11, vcc
	global_load_dword v6, v[12:13], off
	v_mov_b32_e32 v13, s39
	v_add_co_u32_e32 v12, vcc, s38, v10
	v_addc_co_u32_e32 v13, vcc, v13, v11, vcc
	global_load_dword v13, v[12:13], off
	s_waitcnt vmcnt(1)
	v_add_u32_e32 v12, v33, v6
	s_waitcnt vmcnt(0)
	v_subrev_u32_e32 v6, s64, v13
	v_cmp_lt_i32_e32 vcc, v12, v6
	s_and_saveexec_b64 s[52:53], vcc
	s_cbranch_execz .LBB40_156
; %bb.154:                              ;   in Loop: Header=BB40_152 Depth=2
	v_ashrrev_i32_e32 v13, 31, v12
	v_lshlrev_b64 v[16:17], 3, v[12:13]
	v_mov_b32_e32 v13, s77
	v_add_co_u32_e32 v14, vcc, s76, v16
	v_addc_co_u32_e32 v15, vcc, v13, v17, vcc
	v_mov_b32_e32 v13, s43
	v_add_co_u32_e32 v16, vcc, s42, v16
	v_addc_co_u32_e32 v17, vcc, v13, v17, vcc
	s_mov_b64 s[54:55], 0
.LBB40_155:                             ;   Parent Loop BB40_5 Depth=1
                                        ;     Parent Loop BB40_152 Depth=2
                                        ; =>    This Inner Loop Header: Depth=3
	global_load_dwordx2 v[18:19], v[14:15], off
	v_add_co_u32_e32 v14, vcc, 0x100, v14
	v_add_u32_e32 v12, 32, v12
	v_addc_co_u32_e32 v15, vcc, 0, v15, vcc
	v_cmp_ge_i32_e32 vcc, v12, v6
	s_or_b64 s[54:55], vcc, s[54:55]
	s_waitcnt vmcnt(0)
	global_store_dwordx2 v[16:17], v[18:19], off
	v_add_co_u32_e32 v16, vcc, 0x100, v16
	v_addc_co_u32_e32 v17, vcc, 0, v17, vcc
	s_andn2_b64 exec, exec, s[54:55]
	s_cbranch_execnz .LBB40_155
.LBB40_156:                             ;   in Loop: Header=BB40_152 Depth=2
	s_or_b64 exec, exec, s[52:53]
	v_mov_b32_e32 v6, s25
	v_add_co_u32_e32 v12, vcc, s24, v10
	v_addc_co_u32_e32 v13, vcc, v6, v11, vcc
	global_load_dword v6, v[12:13], off
	v_mov_b32_e32 v12, s27
	v_add_co_u32_e32 v10, vcc, s26, v10
	v_addc_co_u32_e32 v11, vcc, v12, v11, vcc
	global_load_dword v11, v[10:11], off
	s_waitcnt vmcnt(1)
	v_add_u32_e32 v10, v34, v6
	s_waitcnt vmcnt(0)
	v_subrev_u32_e32 v6, s80, v11
	v_cmp_lt_i32_e32 vcc, v10, v6
	s_and_saveexec_b64 s[52:53], vcc
	s_cbranch_execz .LBB40_159
; %bb.157:                              ;   in Loop: Header=BB40_152 Depth=2
	v_ashrrev_i32_e32 v11, 31, v10
	v_lshlrev_b64 v[14:15], 3, v[10:11]
	v_mov_b32_e32 v11, s79
	v_add_co_u32_e32 v12, vcc, s78, v14
	v_addc_co_u32_e32 v13, vcc, v11, v15, vcc
	v_mov_b32_e32 v11, s31
	v_add_co_u32_e32 v14, vcc, s30, v14
	v_addc_co_u32_e32 v15, vcc, v11, v15, vcc
	s_mov_b64 s[54:55], 0
.LBB40_158:                             ;   Parent Loop BB40_5 Depth=1
                                        ;     Parent Loop BB40_152 Depth=2
                                        ; =>    This Inner Loop Header: Depth=3
	global_load_dwordx2 v[16:17], v[12:13], off
	v_add_co_u32_e32 v12, vcc, 0x100, v12
	v_add_u32_e32 v10, 32, v10
	v_addc_co_u32_e32 v13, vcc, 0, v13, vcc
	v_cmp_ge_i32_e32 vcc, v10, v6
	s_or_b64 s[54:55], vcc, s[54:55]
	s_waitcnt vmcnt(0)
	global_store_dwordx2 v[14:15], v[16:17], off
	v_add_co_u32_e32 v14, vcc, 0x100, v14
	v_addc_co_u32_e32 v15, vcc, 0, v15, vcc
	s_andn2_b64 exec, exec, s[54:55]
	s_cbranch_execnz .LBB40_158
.LBB40_159:                             ;   in Loop: Header=BB40_152 Depth=2
	s_or_b64 exec, exec, s[52:53]
	s_and_b64 exec, exec, s[16:17]
	s_cbranch_execz .LBB40_151
; %bb.160:                              ;   in Loop: Header=BB40_152 Depth=2
	v_lshlrev_b64 v[10:11], 3, v[8:9]
	v_mov_b32_e32 v6, s59
	v_add_co_u32_e32 v12, vcc, s58, v10
	v_addc_co_u32_e32 v13, vcc, v6, v11, vcc
	global_load_dwordx2 v[12:13], v[12:13], off
	v_mov_b32_e32 v6, s57
	v_add_co_u32_e32 v10, vcc, s56, v10
	v_addc_co_u32_e32 v11, vcc, v6, v11, vcc
	s_waitcnt vmcnt(0)
	global_store_dwordx2 v[10:11], v[12:13], off
	s_branch .LBB40_151
.LBB40_161:                             ;   in Loop: Header=BB40_5 Depth=1
	s_or_b64 exec, exec, s[18:19]
	s_mov_b64 s[20:21], -1
	s_mov_b64 s[18:19], -1
	s_and_b64 vcc, exec, s[62:63]
	s_cbranch_vccz .LBB40_171
; %bb.162:                              ;   in Loop: Header=BB40_5 Depth=1
	v_readlane_b32 s4, v44, 12
	v_readlane_b32 s5, v44, 13
	s_and_b64 vcc, exec, s[4:5]
                                        ; implicit-def: $sgpr22_sgpr23
	s_cbranch_vccz .LBB40_168
; %bb.163:                              ;   in Loop: Header=BB40_5 Depth=1
	v_readlane_b32 s4, v44, 6
	v_readlane_b32 s5, v44, 7
	s_and_b64 vcc, exec, s[4:5]
                                        ; implicit-def: $sgpr22_sgpr23
	s_cbranch_vccz .LBB40_165
; %bb.164:                              ;   in Loop: Header=BB40_5 Depth=1
	v_cmp_ge_f32_e32 vcc, s66, v2
	s_mov_b64 s[18:19], 0
	s_and_b64 s[22:23], vcc, exec
.LBB40_165:                             ;   in Loop: Header=BB40_5 Depth=1
	s_andn2_b64 vcc, exec, s[18:19]
	s_cbranch_vccnz .LBB40_167
; %bb.166:                              ;   in Loop: Header=BB40_5 Depth=1
	v_cmp_ge_f32_e32 vcc, s66, v4
	s_andn2_b64 s[4:5], s[22:23], exec
	s_and_b64 s[18:19], vcc, exec
	s_or_b64 s[22:23], s[4:5], s[18:19]
.LBB40_167:                             ;   in Loop: Header=BB40_5 Depth=1
	s_mov_b64 s[18:19], 0
.LBB40_168:                             ;   in Loop: Header=BB40_5 Depth=1
	s_andn2_b64 vcc, exec, s[18:19]
	s_cbranch_vccnz .LBB40_170
; %bb.169:                              ;   in Loop: Header=BB40_5 Depth=1
	v_cmp_ge_f32_e32 vcc, s66, v4
	v_cmp_ge_f32_e64 s[18:19], s66, v2
	s_and_b64 s[4:5], vcc, s[18:19]
	s_andn2_b64 s[18:19], s[22:23], exec
	s_and_b64 s[4:5], s[4:5], exec
	s_or_b64 s[22:23], s[18:19], s[4:5]
.LBB40_170:                             ;   in Loop: Header=BB40_5 Depth=1
	s_xor_b64 s[18:19], s[22:23], -1
.LBB40_171:                             ;   in Loop: Header=BB40_5 Depth=1
	v_mov_b32_e32 v6, s1
	s_and_saveexec_b64 s[22:23], s[18:19]
	s_cbranch_execz .LBB40_4
; %bb.172:                              ;   in Loop: Header=BB40_5 Depth=1
	v_readlane_b32 s4, v44, 0
	s_add_i32 s1, s1, 1
	v_readlane_b32 s5, v44, 1
	s_cmp_eq_u32 s1, s5
	s_mov_b32 s19, s5
	s_cselect_b64 s[4:5], -1, 0
	v_mov_b32_e32 v6, s19
	s_orn2_b64 s[20:21], s[4:5], exec
	s_branch .LBB40_4
.LBB40_173:
	s_or_b64 exec, exec, s[82:83]
	v_readlane_b32 s4, v44, 8
	v_readlane_b32 s5, v44, 9
	s_load_dwordx4 s[20:23], s[4:5], 0xb8
	v_readlane_b32 s2, v44, 2
	v_readlane_b32 s3, v44, 3
	s_or_b64 exec, exec, s[2:3]
	s_andn2_b64 vcc, exec, s[62:63]
	s_cbranch_vccnz .LBB40_2
.LBB40_174:
	v_mov_b32_dpp v7, v6 row_shr:1 row_mask:0xf bank_mask:0xf
	v_max_i32_e32 v6, v6, v7
	v_cmp_eq_u32_e32 vcc, 31, v5
	s_nop 0
	v_mov_b32_dpp v7, v6 row_shr:2 row_mask:0xf bank_mask:0xf
	v_max_i32_e32 v6, v6, v7
	s_nop 1
	v_mov_b32_dpp v7, v6 row_shr:4 row_mask:0xf bank_mask:0xe
	v_max_i32_e32 v6, v6, v7
	s_nop 1
	v_mov_b32_dpp v7, v6 row_shr:8 row_mask:0xf bank_mask:0xc
	v_max_i32_e32 v6, v6, v7
	s_nop 1
	v_mov_b32_dpp v7, v6 row_bcast:15 row_mask:0xa bank_mask:0xf
	s_and_saveexec_b64 s[0:1], vcc
	s_cbranch_execz .LBB40_176
; %bb.175:
	v_lshlrev_b32_e32 v3, 2, v3
	v_max_i32_e32 v5, v6, v7
	ds_write_b32 v3, v5 offset:128
.LBB40_176:
	s_or_b64 exec, exec, s[0:1]
	v_cmp_gt_u32_e32 vcc, 16, v0
	s_waitcnt lgkmcnt(0)
	s_barrier
	s_and_saveexec_b64 s[0:1], vcc
	s_cbranch_execz .LBB40_178
; %bb.177:
	ds_read2_b32 v[6:7], v1 offset0:32 offset1:48
	s_waitcnt lgkmcnt(0)
	v_max_i32_e32 v3, v6, v7
	ds_write_b32 v1, v3 offset:128
.LBB40_178:
	s_or_b64 exec, exec, s[0:1]
	v_cmp_gt_u32_e32 vcc, 8, v0
	s_waitcnt lgkmcnt(0)
	s_barrier
	s_and_saveexec_b64 s[0:1], vcc
	s_cbranch_execz .LBB40_180
; %bb.179:
	ds_read2_b32 v[6:7], v1 offset0:32 offset1:40
	s_waitcnt lgkmcnt(0)
	v_max_i32_e32 v3, v6, v7
	ds_write_b32 v1, v3 offset:128
.LBB40_180:
	;; [unrolled: 12-line block ×4, first 2 shown]
	s_or_b64 exec, exec, s[0:1]
	v_cmp_eq_u32_e32 vcc, 0, v0
	s_waitcnt lgkmcnt(0)
	s_barrier
	s_and_saveexec_b64 s[0:1], vcc
	s_cbranch_execz .LBB40_186
; %bb.185:
	v_mov_b32_e32 v1, 0
	ds_read_b64 v[6:7], v1 offset:128
	s_waitcnt lgkmcnt(0)
	v_max_i32_e32 v3, v6, v7
	ds_write_b32 v1, v3 offset:128
.LBB40_186:
	s_or_b64 exec, exec, s[0:1]
	s_waitcnt lgkmcnt(0)
	s_barrier
	s_and_saveexec_b64 s[0:1], vcc
	s_cbranch_execz .LBB40_189
; %bb.187:
	v_mbcnt_lo_u32_b32 v1, exec_lo, 0
	v_mbcnt_hi_u32_b32 v1, exec_hi, v1
	v_cmp_eq_u32_e32 vcc, 0, v1
	s_and_b64 exec, exec, vcc
	s_cbranch_execz .LBB40_189
; %bb.188:
	v_mov_b32_e32 v1, 0
	ds_read_b32 v3, v1 offset:128
	s_load_dwordx2 s[2:3], s[4:5], 0x8
	s_waitcnt lgkmcnt(0)
	v_add_u32_e32 v3, 1, v3
	global_atomic_smax v1, v3, s[2:3]
.LBB40_189:
	s_or_b64 exec, exec, s[0:1]
	v_cmp_eq_u32_e32 vcc, 0, v0
	s_and_b64 s[0:1], vcc, s[60:61]
	s_and_saveexec_b64 s[4:5], s[0:1]
	s_cbranch_execz .LBB40_194
.LBB40_190:
	v_mov_b32_e32 v0, 0
	s_waitcnt lgkmcnt(0)
	global_load_dword v5, v0, s[20:21] glc
	s_brev_b32 s2, 1
	v_cmp_eq_f32_e64 s[0:1], 0, v4
	s_mov_b64 s[6:7], 0
                                        ; implicit-def: $sgpr8_sgpr9
                                        ; implicit-def: $sgpr12_sgpr13
	s_waitcnt vmcnt(0)
	v_cmp_eq_u32_e64 s[10:11], s2, v5
	s_branch .LBB40_192
.LBB40_191:                             ;   in Loop: Header=BB40_192 Depth=1
	s_or_b64 exec, exec, s[14:15]
	s_and_b64 s[2:3], exec, s[8:9]
	s_or_b64 s[6:7], s[2:3], s[6:7]
	s_andn2_b64 s[2:3], s[10:11], exec
	s_and_b64 s[10:11], s[12:13], exec
	s_or_b64 s[10:11], s[2:3], s[10:11]
	s_andn2_b64 exec, exec, s[6:7]
	s_cbranch_execz .LBB40_194
.LBB40_192:                             ; =>This Inner Loop Header: Depth=1
	v_cmp_lt_f32_e64 s[2:3], v5, v4
	s_and_b64 s[14:15], s[0:1], s[10:11]
	s_or_b64 s[2:3], s[2:3], s[14:15]
	s_andn2_b64 s[12:13], s[12:13], exec
	s_or_b64 s[8:9], s[8:9], exec
	s_and_saveexec_b64 s[14:15], s[2:3]
	s_cbranch_execz .LBB40_191
; %bb.193:                              ;   in Loop: Header=BB40_192 Depth=1
	global_atomic_cmpswap v1, v0, v[4:5], s[20:21] glc
	s_andn2_b64 s[12:13], s[12:13], exec
	s_andn2_b64 s[8:9], s[8:9], exec
                                        ; implicit-def: $sgpr10_sgpr11
	s_waitcnt vmcnt(0)
	v_cmp_eq_u32_e64 s[2:3], v1, v5
	v_cndmask_b32_e64 v3, v1, v5, s[2:3]
	v_cmp_class_f32_e64 s[16:17], v3, 32
	s_and_b64 s[2:3], s[2:3], exec
	s_and_b64 s[16:17], s[16:17], exec
	s_or_b64 s[8:9], s[8:9], s[2:3]
	s_or_b64 s[12:13], s[12:13], s[16:17]
	v_mov_b32_e32 v5, v1
	s_branch .LBB40_191
.LBB40_194:
	s_or_b64 exec, exec, s[4:5]
	s_and_b64 s[0:1], vcc, s[34:35]
	s_and_saveexec_b64 s[2:3], s[0:1]
	s_cbranch_execz .LBB40_199
; %bb.195:
	v_mov_b32_e32 v0, 0
	s_waitcnt lgkmcnt(0)
	global_load_dword v3, v0, s[22:23] glc
	s_brev_b32 s0, 1
	v_cmp_eq_f32_e32 vcc, 0, v2
	s_mov_b64 s[2:3], 0
                                        ; implicit-def: $sgpr4_sgpr5
                                        ; implicit-def: $sgpr8_sgpr9
	s_waitcnt vmcnt(0)
	v_cmp_eq_u32_e64 s[6:7], s0, v3
	s_branch .LBB40_197
.LBB40_196:                             ;   in Loop: Header=BB40_197 Depth=1
	s_or_b64 exec, exec, s[10:11]
	s_and_b64 s[0:1], exec, s[4:5]
	s_or_b64 s[2:3], s[0:1], s[2:3]
	s_andn2_b64 s[0:1], s[6:7], exec
	s_and_b64 s[6:7], s[8:9], exec
	s_or_b64 s[6:7], s[0:1], s[6:7]
	s_andn2_b64 exec, exec, s[2:3]
	s_cbranch_execz .LBB40_199
.LBB40_197:                             ; =>This Inner Loop Header: Depth=1
	v_cmp_lt_f32_e64 s[0:1], v3, v2
	s_and_b64 s[10:11], vcc, s[6:7]
	s_or_b64 s[0:1], s[0:1], s[10:11]
	s_andn2_b64 s[8:9], s[8:9], exec
	s_or_b64 s[4:5], s[4:5], exec
	s_and_saveexec_b64 s[10:11], s[0:1]
	s_cbranch_execz .LBB40_196
; %bb.198:                              ;   in Loop: Header=BB40_197 Depth=1
	global_atomic_cmpswap v1, v0, v[2:3], s[22:23] glc
	s_andn2_b64 s[8:9], s[8:9], exec
	s_andn2_b64 s[4:5], s[4:5], exec
                                        ; implicit-def: $sgpr6_sgpr7
	s_waitcnt vmcnt(0)
	v_cmp_eq_u32_e64 s[0:1], v1, v3
	v_cndmask_b32_e64 v3, v1, v3, s[0:1]
	v_cmp_class_f32_e64 s[12:13], v3, 32
	s_and_b64 s[0:1], s[0:1], exec
	s_and_b64 s[12:13], s[12:13], exec
	s_or_b64 s[4:5], s[4:5], s[0:1]
	s_or_b64 s[8:9], s[8:9], s[12:13]
	v_mov_b32_e32 v3, v1
	s_branch .LBB40_196
.LBB40_199:
	s_endpgm
	.section	.rodata,"a",@progbits
	.p2align	6, 0x0
	.amdhsa_kernel _ZN9rocsparseL6kernelILi1024ELi32E21rocsparse_complex_numIfEiiEEvbbbT3_PS3_NS_15floating_traitsIT1_E6data_tES3_T2_PKS9_SB_PKS3_PKS6_21rocsparse_index_base_SB_SB_SD_PS6_SH_SG_SB_SB_SD_SH_SH_SG_SH_SH_PS8_SI_PKS8_
		.amdhsa_group_segment_fixed_size 256
		.amdhsa_private_segment_fixed_size 0
		.amdhsa_kernarg_size 208
		.amdhsa_user_sgpr_count 6
		.amdhsa_user_sgpr_private_segment_buffer 1
		.amdhsa_user_sgpr_dispatch_ptr 0
		.amdhsa_user_sgpr_queue_ptr 0
		.amdhsa_user_sgpr_kernarg_segment_ptr 1
		.amdhsa_user_sgpr_dispatch_id 0
		.amdhsa_user_sgpr_flat_scratch_init 0
		.amdhsa_user_sgpr_kernarg_preload_length 0
		.amdhsa_user_sgpr_kernarg_preload_offset 0
		.amdhsa_user_sgpr_private_segment_size 0
		.amdhsa_uses_dynamic_stack 0
		.amdhsa_system_sgpr_private_segment_wavefront_offset 0
		.amdhsa_system_sgpr_workgroup_id_x 1
		.amdhsa_system_sgpr_workgroup_id_y 0
		.amdhsa_system_sgpr_workgroup_id_z 0
		.amdhsa_system_sgpr_workgroup_info 0
		.amdhsa_system_vgpr_workitem_id 0
		.amdhsa_next_free_vgpr 45
		.amdhsa_next_free_sgpr 96
		.amdhsa_accum_offset 48
		.amdhsa_reserve_vcc 1
		.amdhsa_reserve_flat_scratch 0
		.amdhsa_float_round_mode_32 0
		.amdhsa_float_round_mode_16_64 0
		.amdhsa_float_denorm_mode_32 3
		.amdhsa_float_denorm_mode_16_64 3
		.amdhsa_dx10_clamp 1
		.amdhsa_ieee_mode 1
		.amdhsa_fp16_overflow 0
		.amdhsa_tg_split 0
		.amdhsa_exception_fp_ieee_invalid_op 0
		.amdhsa_exception_fp_denorm_src 0
		.amdhsa_exception_fp_ieee_div_zero 0
		.amdhsa_exception_fp_ieee_overflow 0
		.amdhsa_exception_fp_ieee_underflow 0
		.amdhsa_exception_fp_ieee_inexact 0
		.amdhsa_exception_int_div_zero 0
	.end_amdhsa_kernel
	.section	.text._ZN9rocsparseL6kernelILi1024ELi32E21rocsparse_complex_numIfEiiEEvbbbT3_PS3_NS_15floating_traitsIT1_E6data_tES3_T2_PKS9_SB_PKS3_PKS6_21rocsparse_index_base_SB_SB_SD_PS6_SH_SG_SB_SB_SD_SH_SH_SG_SH_SH_PS8_SI_PKS8_,"axG",@progbits,_ZN9rocsparseL6kernelILi1024ELi32E21rocsparse_complex_numIfEiiEEvbbbT3_PS3_NS_15floating_traitsIT1_E6data_tES3_T2_PKS9_SB_PKS3_PKS6_21rocsparse_index_base_SB_SB_SD_PS6_SH_SG_SB_SB_SD_SH_SH_SG_SH_SH_PS8_SI_PKS8_,comdat
.Lfunc_end40:
	.size	_ZN9rocsparseL6kernelILi1024ELi32E21rocsparse_complex_numIfEiiEEvbbbT3_PS3_NS_15floating_traitsIT1_E6data_tES3_T2_PKS9_SB_PKS3_PKS6_21rocsparse_index_base_SB_SB_SD_PS6_SH_SG_SB_SB_SD_SH_SH_SG_SH_SH_PS8_SI_PKS8_, .Lfunc_end40-_ZN9rocsparseL6kernelILi1024ELi32E21rocsparse_complex_numIfEiiEEvbbbT3_PS3_NS_15floating_traitsIT1_E6data_tES3_T2_PKS9_SB_PKS3_PKS6_21rocsparse_index_base_SB_SB_SD_PS6_SH_SG_SB_SB_SD_SH_SH_SG_SH_SH_PS8_SI_PKS8_
                                        ; -- End function
	.section	.AMDGPU.csdata,"",@progbits
; Kernel info:
; codeLenInByte = 8136
; NumSgprs: 100
; NumVgprs: 45
; NumAgprs: 0
; TotalNumVgprs: 45
; ScratchSize: 0
; MemoryBound: 0
; FloatMode: 240
; IeeeMode: 1
; LDSByteSize: 256 bytes/workgroup (compile time only)
; SGPRBlocks: 12
; VGPRBlocks: 5
; NumSGPRsForWavesPerEU: 100
; NumVGPRsForWavesPerEU: 45
; AccumOffset: 48
; Occupancy: 8
; WaveLimiterHint : 1
; COMPUTE_PGM_RSRC2:SCRATCH_EN: 0
; COMPUTE_PGM_RSRC2:USER_SGPR: 6
; COMPUTE_PGM_RSRC2:TRAP_HANDLER: 0
; COMPUTE_PGM_RSRC2:TGID_X_EN: 1
; COMPUTE_PGM_RSRC2:TGID_Y_EN: 0
; COMPUTE_PGM_RSRC2:TGID_Z_EN: 0
; COMPUTE_PGM_RSRC2:TIDIG_COMP_CNT: 0
; COMPUTE_PGM_RSRC3_GFX90A:ACCUM_OFFSET: 11
; COMPUTE_PGM_RSRC3_GFX90A:TG_SPLIT: 0
	.section	.text._ZN9rocsparseL6kernelILi1024ELi64E21rocsparse_complex_numIfEiiEEvbbbT3_PS3_NS_15floating_traitsIT1_E6data_tES3_T2_PKS9_SB_PKS3_PKS6_21rocsparse_index_base_SB_SB_SD_PS6_SH_SG_SB_SB_SD_SH_SH_SG_SH_SH_PS8_SI_PKS8_,"axG",@progbits,_ZN9rocsparseL6kernelILi1024ELi64E21rocsparse_complex_numIfEiiEEvbbbT3_PS3_NS_15floating_traitsIT1_E6data_tES3_T2_PKS9_SB_PKS3_PKS6_21rocsparse_index_base_SB_SB_SD_PS6_SH_SG_SB_SB_SD_SH_SH_SG_SH_SH_PS8_SI_PKS8_,comdat
	.globl	_ZN9rocsparseL6kernelILi1024ELi64E21rocsparse_complex_numIfEiiEEvbbbT3_PS3_NS_15floating_traitsIT1_E6data_tES3_T2_PKS9_SB_PKS3_PKS6_21rocsparse_index_base_SB_SB_SD_PS6_SH_SG_SB_SB_SD_SH_SH_SG_SH_SH_PS8_SI_PKS8_ ; -- Begin function _ZN9rocsparseL6kernelILi1024ELi64E21rocsparse_complex_numIfEiiEEvbbbT3_PS3_NS_15floating_traitsIT1_E6data_tES3_T2_PKS9_SB_PKS3_PKS6_21rocsparse_index_base_SB_SB_SD_PS6_SH_SG_SB_SB_SD_SH_SH_SG_SH_SH_PS8_SI_PKS8_
	.p2align	8
	.type	_ZN9rocsparseL6kernelILi1024ELi64E21rocsparse_complex_numIfEiiEEvbbbT3_PS3_NS_15floating_traitsIT1_E6data_tES3_T2_PKS9_SB_PKS3_PKS6_21rocsparse_index_base_SB_SB_SD_PS6_SH_SG_SB_SB_SD_SH_SH_SG_SH_SH_PS8_SI_PKS8_,@function
_ZN9rocsparseL6kernelILi1024ELi64E21rocsparse_complex_numIfEiiEEvbbbT3_PS3_NS_15floating_traitsIT1_E6data_tES3_T2_PKS9_SB_PKS3_PKS6_21rocsparse_index_base_SB_SB_SD_PS6_SH_SG_SB_SB_SD_SH_SH_SG_SH_SH_PS8_SI_PKS8_: ; @_ZN9rocsparseL6kernelILi1024ELi64E21rocsparse_complex_numIfEiiEEvbbbT3_PS3_NS_15floating_traitsIT1_E6data_tES3_T2_PKS9_SB_PKS3_PKS6_21rocsparse_index_base_SB_SB_SD_PS6_SH_SG_SB_SB_SD_SH_SH_SG_SH_SH_PS8_SI_PKS8_
; %bb.0:
	s_load_dword s0, s[4:5], 0x0
	s_load_dwordx2 s[2:3], s[4:5], 0x0
	s_load_dwordx2 s[64:65], s[4:5], 0x10
	s_load_dwordx4 s[24:27], s[4:5], 0xb8
	v_lshrrev_b32_e32 v3, 6, v0
	s_waitcnt lgkmcnt(0)
	s_bitcmp1_b32 s0, 0
	s_cselect_b64 s[60:61], -1, 0
	s_bitcmp1_b32 s0, 8
	s_cselect_b64 s[34:35], -1, 0
	;; [unrolled: 2-line block ×3, first 2 shown]
	s_lshl_b32 s71, s6, 10
	s_mov_b32 s1, s3
                                        ; implicit-def: $vgpr44 : SGPR spill to VGPR lane
	v_or_b32_e32 v30, s71, v3
	v_writelane_b32 v44, s0, 0
	s_cmp_gt_i32 s3, 0
	v_cmp_gt_i32_e32 vcc, s65, v30
	v_writelane_b32 v44, s1, 1
	s_cselect_b64 s[0:1], -1, 0
	v_and_b32_e32 v5, 63, v0
	v_lshlrev_b32_e32 v1, 2, v0
	v_mov_b32_e32 v6, 0
	s_and_b64 s[0:1], s[0:1], vcc
	s_mov_b32 s68, 0
	v_mov_b32_e32 v4, 0
	v_mov_b32_e32 v2, 0
	ds_write_b32 v1, v6
	s_waitcnt lgkmcnt(0)
	s_barrier
	s_and_saveexec_b64 s[2:3], s[0:1]
	s_cbranch_execnz .LBB41_3
; %bb.1:
	s_or_b64 exec, exec, s[2:3]
	s_andn2_b64 vcc, exec, s[60:61]
	s_cbranch_vccz .LBB41_170
.LBB41_2:
	v_cmp_eq_u32_e32 vcc, 0, v0
	s_and_b64 s[0:1], vcc, s[34:35]
	s_and_saveexec_b64 s[4:5], s[0:1]
	s_cbranch_execnz .LBB41_184
	s_branch .LBB41_188
.LBB41_3:
	s_load_dwordx2 s[0:1], s[4:5], 0xc8
	v_writelane_b32 v44, s2, 2
	v_writelane_b32 v44, s3, 3
	s_load_dwordx4 s[56:59], s[4:5], 0xa8
	s_load_dwordx8 s[24:31], s[4:5], 0x78
	s_load_dwordx8 s[36:43], s[4:5], 0x48
	;; [unrolled: 1-line block ×3, first 2 shown]
	s_load_dword s33, s[4:5], 0x40
	s_load_dwordx2 s[74:75], s[4:5], 0x68
	s_load_dword s62, s[4:5], 0x70
	s_load_dwordx2 s[76:77], s[4:5], 0x98
	s_waitcnt lgkmcnt(0)
	v_writelane_b32 v44, s0, 4
	v_writelane_b32 v44, s1, 5
	s_xor_b64 s[0:1], s[34:35], -1
	v_writelane_b32 v44, s0, 6
	v_writelane_b32 v44, s1, 7
	;; [unrolled: 1-line block ×3, first 2 shown]
	s_load_dword s70, s[4:5], 0xa0
	s_and_b64 s[0:1], s[34:35], s[22:23]
	v_writelane_b32 v44, s5, 9
	s_addk_i32 s71, 0x400
	s_xor_b64 s[0:1], s[0:1], -1
	v_subrev_u32_e32 v31, s33, v5
	v_cmp_gt_u32_e64 s[4:5], s71, v30
	v_cmp_eq_u32_e64 s[2:3], 63, v5
	v_lshlrev_b32_e32 v32, 2, v3
	v_cmp_gt_u32_e64 s[6:7], 8, v0
	v_cmp_gt_u32_e64 s[8:9], 4, v0
	;; [unrolled: 1-line block ×3, first 2 shown]
	v_cmp_eq_u32_e64 s[12:13], 0, v0
	v_subrev_u32_e32 v33, s62, v5
	s_waitcnt lgkmcnt(0)
	v_subrev_u32_e32 v34, s70, v5
	v_cmp_eq_u32_e64 s[14:15], 0, v5
	v_writelane_b32 v44, s0, 10
	s_mov_b64 s[80:81], 0
	v_mov_b32_e32 v7, 0
	s_mov_b32 s78, 0xf800000
	v_mov_b32_e32 v35, 0x260
	s_movk_i32 s79, 0x1f8
	v_mov_b32_e32 v36, 0
	v_mov_b32_e32 v2, 0
	;; [unrolled: 1-line block ×3, first 2 shown]
	s_mov_b32 s63, 0
	v_writelane_b32 v44, s1, 11
	s_branch .LBB41_5
.LBB41_4:                               ;   in Loop: Header=BB41_5 Depth=1
	s_or_b64 exec, exec, s[20:21]
	s_and_b64 s[0:1], exec, s[18:19]
	s_or_b64 s[80:81], s[0:1], s[80:81]
	s_andn2_b64 exec, exec, s[80:81]
	s_cbranch_execz .LBB41_169
.LBB41_5:                               ; =>This Loop Header: Depth=1
                                        ;     Child Loop BB41_9 Depth 2
                                        ;       Child Loop BB41_14 Depth 3
                                        ;         Child Loop BB41_18 Depth 4
                                        ;         Child Loop BB41_53 Depth 4
	;; [unrolled: 1-line block ×5, first 2 shown]
                                        ;     Child Loop BB41_148 Depth 2
                                        ;       Child Loop BB41_151 Depth 3
                                        ;       Child Loop BB41_154 Depth 3
	v_cndmask_b32_e64 v4, v4, 0, s[34:35]
	v_cndmask_b32_e64 v2, v2, 0, s[22:23]
	s_mov_b32 s0, 0
	s_branch .LBB41_9
.LBB41_6:                               ;   in Loop: Header=BB41_9 Depth=2
	s_or_b64 exec, exec, s[86:87]
.LBB41_7:                               ;   in Loop: Header=BB41_9 Depth=2
	s_or_b64 exec, exec, s[84:85]
.LBB41_8:                               ;   in Loop: Header=BB41_9 Depth=2
	s_or_b64 exec, exec, s[82:83]
	s_add_i32 s0, s0, 1
	s_cmp_eq_u32 s0, 64
	s_cbranch_scc1 .LBB41_121
.LBB41_9:                               ;   Parent Loop BB41_5 Depth=1
                                        ; =>  This Loop Header: Depth=2
                                        ;       Child Loop BB41_14 Depth 3
                                        ;         Child Loop BB41_18 Depth 4
                                        ;         Child Loop BB41_53 Depth 4
	;; [unrolled: 1-line block ×5, first 2 shown]
	v_lshl_add_u32 v8, s0, 4, v30
	v_cmp_gt_i32_e32 vcc, s65, v8
	s_and_saveexec_b64 s[82:83], vcc
	s_cbranch_execz .LBB41_8
; %bb.10:                               ;   in Loop: Header=BB41_9 Depth=2
	v_ashrrev_i32_e32 v9, 31, v8
	v_lshlrev_b64 v[12:13], 2, v[8:9]
	v_mov_b32_e32 v6, s45
	v_add_co_u32_e32 v10, vcc, s44, v12
	v_addc_co_u32_e32 v11, vcc, v6, v13, vcc
	global_load_dword v6, v[10:11], off
	v_mov_b32_e32 v9, s47
	v_add_co_u32_e32 v10, vcc, s46, v12
	v_addc_co_u32_e32 v11, vcc, v9, v13, vcc
	global_load_dword v9, v[10:11], off
	s_waitcnt vmcnt(1)
	v_add_u32_e32 v10, v31, v6
	s_waitcnt vmcnt(0)
	v_subrev_u32_e32 v9, s33, v9
	v_cmp_lt_i32_e32 vcc, v10, v9
	s_and_saveexec_b64 s[84:85], vcc
	s_cbranch_execz .LBB41_7
; %bb.11:                               ;   in Loop: Header=BB41_9 Depth=2
	v_mov_b32_e32 v6, s39
	v_add_co_u32_e32 v14, vcc, s38, v12
	v_addc_co_u32_e32 v15, vcc, v6, v13, vcc
	v_mov_b32_e32 v6, s37
	v_add_co_u32_e32 v12, vcc, s36, v12
	v_addc_co_u32_e32 v13, vcc, v6, v13, vcc
	global_load_dword v6, v[12:13], off
	global_load_dword v11, v[14:15], off
	v_mov_b32_e32 v18, s41
	v_mov_b32_e32 v19, s43
	s_mov_b64 s[86:87], 0
	s_waitcnt vmcnt(1)
	v_subrev_u32_e32 v12, s62, v6
	v_ashrrev_i32_e32 v13, 31, v12
	v_lshlrev_b64 v[14:15], 2, v[12:13]
	v_lshlrev_b64 v[16:17], 3, v[12:13]
	v_add_co_u32_e32 v13, vcc, s40, v14
	v_addc_co_u32_e32 v38, vcc, v18, v15, vcc
	s_waitcnt vmcnt(0)
	v_sub_u32_e32 v37, v11, v6
	v_add_co_u32_e32 v39, vcc, s42, v16
	v_cmp_lt_i32_e64 s[16:17], 0, v37
	v_addc_co_u32_e32 v40, vcc, v19, v17, vcc
	s_branch .LBB41_14
.LBB41_12:                              ;   in Loop: Header=BB41_14 Depth=3
	s_or_b64 exec, exec, s[18:19]
.LBB41_13:                              ;   in Loop: Header=BB41_14 Depth=3
	s_or_b64 exec, exec, s[20:21]
	v_add_u32_e32 v10, 64, v10
	v_cmp_ge_i32_e32 vcc, v10, v9
	s_or_b64 s[86:87], vcc, s[86:87]
	s_andn2_b64 exec, exec, s[86:87]
	s_cbranch_execz .LBB41_6
.LBB41_14:                              ;   Parent Loop BB41_5 Depth=1
                                        ;     Parent Loop BB41_9 Depth=2
                                        ; =>    This Loop Header: Depth=3
                                        ;         Child Loop BB41_18 Depth 4
                                        ;         Child Loop BB41_53 Depth 4
	;; [unrolled: 1-line block ×5, first 2 shown]
	v_ashrrev_i32_e32 v11, 31, v10
	v_lshlrev_b64 v[14:15], 2, v[10:11]
	v_mov_b32_e32 v6, s49
	v_add_co_u32_e32 v14, vcc, s48, v14
	v_addc_co_u32_e32 v15, vcc, v6, v15, vcc
	global_load_dword v6, v[14:15], off
	v_mov_b32_e32 v19, s25
	v_mov_b32_e32 v20, s27
	s_mov_b32 s69, s68
	v_mov_b32_e32 v22, 0
	s_waitcnt vmcnt(0)
	v_subrev_u32_e32 v14, s33, v6
	v_ashrrev_i32_e32 v15, 31, v14
	v_lshlrev_b64 v[16:17], 2, v[14:15]
	v_add_co_u32_e32 v18, vcc, s24, v16
	v_addc_co_u32_e32 v19, vcc, v19, v17, vcc
	v_add_co_u32_e32 v16, vcc, s26, v16
	v_addc_co_u32_e32 v17, vcc, v20, v17, vcc
	global_load_dword v18, v[18:19], off
	s_nop 0
	global_load_dword v19, v[16:17], off
	v_mov_b32_e32 v6, 0
	v_pk_mov_b32 v[16:17], s[68:69], s[68:69] op_sel:[0,1]
	s_waitcnt vmcnt(1)
	v_subrev_u32_e32 v20, s70, v18
	s_waitcnt vmcnt(0)
	v_sub_u32_e32 v41, v19, v18
	s_and_saveexec_b64 s[18:19], s[16:17]
	s_cbranch_execz .LBB41_22
; %bb.15:                               ;   in Loop: Header=BB41_14 Depth=3
	v_ashrrev_i32_e32 v21, 31, v20
	v_lshlrev_b64 v[16:17], 2, v[20:21]
	v_mov_b32_e32 v6, s29
	v_add_co_u32_e32 v18, vcc, s28, v16
	v_addc_co_u32_e32 v19, vcc, v6, v17, vcc
	v_lshlrev_b64 v[16:17], 3, v[20:21]
	v_mov_b32_e32 v6, s31
	v_add_co_u32_e32 v21, vcc, s30, v16
	v_mov_b32_e32 v22, 0
	v_addc_co_u32_e32 v24, vcc, v6, v17, vcc
	s_mov_b64 s[20:21], 0
	v_pk_mov_b32 v[16:17], s[68:69], s[68:69] op_sel:[0,1]
	v_mov_b32_e32 v6, v22
                                        ; implicit-def: $sgpr66_sgpr67
	s_branch .LBB41_18
.LBB41_16:                              ;   in Loop: Header=BB41_18 Depth=4
	s_or_b64 exec, exec, s[52:53]
	v_cmp_le_i32_e32 vcc, v25, v26
	v_addc_co_u32_e32 v6, vcc, 0, v6, vcc
	v_cmp_ge_i32_e32 vcc, v25, v26
	v_addc_co_u32_e32 v22, vcc, 0, v22, vcc
	v_cmp_ge_i32_e32 vcc, v6, v37
	s_andn2_b64 s[52:53], s[66:67], exec
	s_and_b64 s[54:55], vcc, exec
	s_or_b64 s[66:67], s[52:53], s[54:55]
.LBB41_17:                              ;   in Loop: Header=BB41_18 Depth=4
	s_or_b64 exec, exec, s[88:89]
	s_and_b64 s[52:53], exec, s[66:67]
	s_or_b64 s[20:21], s[52:53], s[20:21]
	s_andn2_b64 exec, exec, s[20:21]
	s_cbranch_execz .LBB41_21
.LBB41_18:                              ;   Parent Loop BB41_5 Depth=1
                                        ;     Parent Loop BB41_9 Depth=2
                                        ;       Parent Loop BB41_14 Depth=3
                                        ; =>      This Inner Loop Header: Depth=4
	v_cmp_lt_i32_e32 vcc, v22, v41
	s_or_b64 s[66:67], s[66:67], exec
	s_and_saveexec_b64 s[88:89], vcc
	s_cbranch_execz .LBB41_17
; %bb.19:                               ;   in Loop: Header=BB41_18 Depth=4
	v_lshlrev_b64 v[26:27], 2, v[6:7]
	v_add_co_u32_e32 v26, vcc, v13, v26
	v_addc_co_u32_e32 v27, vcc, v38, v27, vcc
	v_mov_b32_e32 v23, v7
	global_load_dword v25, v[26:27], off
	v_lshlrev_b64 v[26:27], 2, v[22:23]
	v_add_co_u32_e32 v26, vcc, v18, v26
	v_addc_co_u32_e32 v27, vcc, v19, v27, vcc
	global_load_dword v26, v[26:27], off
	s_waitcnt vmcnt(1)
	v_subrev_u32_e32 v25, s62, v25
	s_waitcnt vmcnt(0)
	v_subrev_u32_e32 v26, s70, v26
	v_cmp_eq_u32_e32 vcc, v25, v26
	s_and_saveexec_b64 s[52:53], vcc
	s_cbranch_execz .LBB41_16
; %bb.20:                               ;   in Loop: Header=BB41_18 Depth=4
	v_lshlrev_b64 v[28:29], 3, v[6:7]
	v_add_co_u32_e32 v28, vcc, v39, v28
	v_addc_co_u32_e32 v29, vcc, v40, v29, vcc
	v_lshlrev_b64 v[42:43], 3, v[22:23]
	v_add_co_u32_e32 v42, vcc, v21, v42
	v_addc_co_u32_e32 v43, vcc, v24, v43, vcc
	global_load_dwordx2 v[42:43], v[42:43], off
	s_nop 0
	global_load_dwordx2 v[28:29], v[28:29], off
	s_waitcnt vmcnt(0)
	v_pk_fma_f32 v[16:17], v[28:29], v[42:43], v[16:17] op_sel_hi:[1,0,1]
	v_pk_fma_f32 v[16:17], v[28:29], v[42:43], v[16:17] op_sel:[1,1,0] op_sel_hi:[0,1,1] neg_lo:[1,0,0]
	s_branch .LBB41_16
.LBB41_21:                              ;   in Loop: Header=BB41_14 Depth=3
	s_or_b64 exec, exec, s[20:21]
.LBB41_22:                              ;   in Loop: Header=BB41_14 Depth=3
	s_or_b64 exec, exec, s[18:19]
	v_lshlrev_b64 v[18:19], 3, v[10:11]
	v_mov_b32_e32 v11, s51
	v_add_co_u32_e32 v18, vcc, s50, v18
	v_addc_co_u32_e32 v19, vcc, v11, v19, vcc
	global_load_dwordx2 v[18:19], v[18:19], off
	v_cmp_le_i32_e64 s[18:19], v8, v14
	v_cmp_gt_i32_e32 vcc, v8, v14
	s_waitcnt vmcnt(0)
	v_pk_add_f32 v[24:25], v[18:19], v[16:17] neg_lo:[0,1] neg_hi:[0,1]
	s_and_saveexec_b64 s[88:89], vcc
	s_cbranch_execz .LBB41_32
; %bb.23:                               ;   in Loop: Header=BB41_14 Depth=3
	v_lshlrev_b64 v[26:27], 3, v[14:15]
	v_mov_b32_e32 v11, s57
	v_add_co_u32_e32 v26, vcc, s56, v26
	v_addc_co_u32_e32 v27, vcc, v11, v27, vcc
	global_load_dwordx2 v[26:27], v[26:27], off
                                        ; implicit-def: $vgpr23
	s_waitcnt vmcnt(0)
	v_cmp_gt_f32_e32 vcc, 0, v26
	v_cndmask_b32_e64 v11, v26, -v26, vcc
	v_cmp_gt_f32_e32 vcc, 0, v27
	v_cndmask_b32_e64 v21, v27, -v27, vcc
	v_cmp_ngt_f32_e32 vcc, v11, v21
	s_and_saveexec_b64 s[20:21], vcc
	s_xor_b64 s[52:53], exec, s[20:21]
	s_cbranch_execz .LBB41_27
; %bb.24:                               ;   in Loop: Header=BB41_14 Depth=3
	v_cmp_neq_f32_e32 vcc, 0, v27
	v_mov_b32_e32 v23, 0
	s_and_saveexec_b64 s[54:55], vcc
	s_cbranch_execz .LBB41_26
; %bb.25:                               ;   in Loop: Header=BB41_14 Depth=3
	v_div_scale_f32 v23, s[20:21], v21, v21, v11
	v_rcp_f32_e32 v28, v23
	v_div_scale_f32 v29, vcc, v11, v21, v11
	v_fma_f32 v42, -v23, v28, 1.0
	v_fmac_f32_e32 v28, v42, v28
	v_mul_f32_e32 v42, v29, v28
	v_fma_f32 v43, -v23, v42, v29
	v_fmac_f32_e32 v42, v43, v28
	v_fma_f32 v23, -v23, v42, v29
	v_div_fmas_f32 v23, v23, v28, v42
	v_div_fixup_f32 v11, v23, v21, v11
	v_fma_f32 v11, v11, v11, 1.0
	v_mul_f32_e32 v23, 0x4f800000, v11
	v_cmp_gt_f32_e32 vcc, s78, v11
	v_cndmask_b32_e32 v11, v11, v23, vcc
	v_sqrt_f32_e32 v23, v11
	v_add_u32_e32 v28, -1, v23
	v_fma_f32 v29, -v28, v23, v11
	v_cmp_ge_f32_e64 s[20:21], 0, v29
	v_add_u32_e32 v29, 1, v23
	v_cndmask_b32_e64 v28, v23, v28, s[20:21]
	v_fma_f32 v23, -v29, v23, v11
	v_cmp_lt_f32_e64 s[20:21], 0, v23
	v_cndmask_b32_e64 v23, v28, v29, s[20:21]
	v_mul_f32_e32 v28, 0x37800000, v23
	v_cndmask_b32_e32 v23, v23, v28, vcc
	v_cmp_class_f32_e32 vcc, v11, v35
	v_cndmask_b32_e32 v11, v23, v11, vcc
	v_mul_f32_e32 v23, v21, v11
.LBB41_26:                              ;   in Loop: Header=BB41_14 Depth=3
	s_or_b64 exec, exec, s[54:55]
                                        ; implicit-def: $vgpr11
                                        ; implicit-def: $vgpr21
.LBB41_27:                              ;   in Loop: Header=BB41_14 Depth=3
	s_andn2_saveexec_b64 s[52:53], s[52:53]
	s_cbranch_execz .LBB41_29
; %bb.28:                               ;   in Loop: Header=BB41_14 Depth=3
	v_div_scale_f32 v23, s[20:21], v11, v11, v21
	v_rcp_f32_e32 v28, v23
	v_div_scale_f32 v29, vcc, v21, v11, v21
	v_fma_f32 v42, -v23, v28, 1.0
	v_fmac_f32_e32 v28, v42, v28
	v_mul_f32_e32 v42, v29, v28
	v_fma_f32 v43, -v23, v42, v29
	v_fmac_f32_e32 v42, v43, v28
	v_fma_f32 v23, -v23, v42, v29
	v_div_fmas_f32 v23, v23, v28, v42
	v_div_fixup_f32 v21, v23, v11, v21
	v_fma_f32 v21, v21, v21, 1.0
	v_mul_f32_e32 v23, 0x4f800000, v21
	v_cmp_gt_f32_e32 vcc, s78, v21
	v_cndmask_b32_e32 v21, v21, v23, vcc
	v_sqrt_f32_e32 v23, v21
	v_add_u32_e32 v28, -1, v23
	v_fma_f32 v29, -v28, v23, v21
	v_cmp_ge_f32_e64 s[20:21], 0, v29
	v_add_u32_e32 v29, 1, v23
	v_cndmask_b32_e64 v28, v23, v28, s[20:21]
	v_fma_f32 v23, -v29, v23, v21
	v_cmp_lt_f32_e64 s[20:21], 0, v23
	v_cndmask_b32_e64 v23, v28, v29, s[20:21]
	v_mul_f32_e32 v28, 0x37800000, v23
	v_cndmask_b32_e32 v23, v23, v28, vcc
	v_cmp_class_f32_e32 vcc, v21, v35
	v_cndmask_b32_e32 v21, v23, v21, vcc
	v_mul_f32_e32 v23, v11, v21
.LBB41_29:                              ;   in Loop: Header=BB41_14 Depth=3
	s_or_b64 exec, exec, s[52:53]
	v_cmp_lt_f32_e32 vcc, 0, v23
	v_mov_b32_e32 v29, 0
	v_mov_b32_e32 v28, 0
	s_and_saveexec_b64 s[20:21], vcc
	s_cbranch_execz .LBB41_31
; %bb.30:                               ;   in Loop: Header=BB41_14 Depth=3
	v_mul_f32_e32 v11, v27, v27
	v_fmac_f32_e32 v11, v26, v26
	v_div_scale_f32 v21, s[52:53], v11, v11, 1.0
	v_rcp_f32_e32 v23, v21
	v_div_scale_f32 v28, vcc, 1.0, v11, 1.0
	v_xor_b32_e32 v43, 0x80000000, v24
	v_fma_f32 v29, -v21, v23, 1.0
	v_fmac_f32_e32 v23, v29, v23
	v_mul_f32_e32 v29, v28, v23
	v_fma_f32 v42, -v21, v29, v28
	v_fmac_f32_e32 v29, v42, v23
	v_fma_f32 v21, -v21, v29, v28
	v_mov_b32_e32 v42, v25
	v_div_fmas_f32 v21, v21, v23, v29
	v_pk_mul_f32 v[42:43], v[42:43], v[26:27] op_sel:[0,1]
	v_div_fixup_f32 v28, v21, v11, 1.0
	v_pk_fma_f32 v[24:25], v[24:25], v[26:27], v[42:43] op_sel_hi:[1,0,1]
	v_pk_mul_f32 v[28:29], v[24:25], v[28:29] op_sel_hi:[1,0]
.LBB41_31:                              ;   in Loop: Header=BB41_14 Depth=3
	s_or_b64 exec, exec, s[20:21]
	v_mov_b32_e32 v25, v29
	v_mov_b32_e32 v24, v28
.LBB41_32:                              ;   in Loop: Header=BB41_14 Depth=3
	s_or_b64 exec, exec, s[88:89]
	v_cmp_gt_f32_e32 vcc, 0, v24
	v_cndmask_b32_e64 v11, v24, -v24, vcc
	v_cmp_gt_f32_e32 vcc, 0, v25
	v_cndmask_b32_e64 v21, v25, -v25, vcc
	v_cmp_ngt_f32_e32 vcc, v11, v21
                                        ; implicit-def: $vgpr23
	s_and_saveexec_b64 s[20:21], vcc
	s_xor_b64 s[52:53], exec, s[20:21]
	s_cbranch_execnz .LBB41_36
; %bb.33:                               ;   in Loop: Header=BB41_14 Depth=3
	s_andn2_saveexec_b64 s[52:53], s[52:53]
	s_cbranch_execnz .LBB41_39
.LBB41_34:                              ;   in Loop: Header=BB41_14 Depth=3
	s_or_b64 exec, exec, s[52:53]
	v_cmp_class_f32_e64 s[20:21], v23, s79
	s_and_saveexec_b64 s[88:89], s[20:21]
	s_cbranch_execnz .LBB41_40
.LBB41_35:                              ;   in Loop: Header=BB41_14 Depth=3
	s_or_b64 exec, exec, s[88:89]
	s_and_b64 s[18:19], s[20:21], s[22:23]
	s_and_saveexec_b64 s[20:21], s[18:19]
	s_cbranch_execz .LBB41_13
	s_branch .LBB41_81
.LBB41_36:                              ;   in Loop: Header=BB41_14 Depth=3
	v_cmp_neq_f32_e32 vcc, 0, v25
	v_mov_b32_e32 v23, 0
	s_and_saveexec_b64 s[54:55], vcc
	s_cbranch_execz .LBB41_38
; %bb.37:                               ;   in Loop: Header=BB41_14 Depth=3
	v_div_scale_f32 v23, s[20:21], v21, v21, v11
	v_rcp_f32_e32 v26, v23
	v_div_scale_f32 v27, vcc, v11, v21, v11
	v_fma_f32 v28, -v23, v26, 1.0
	v_fmac_f32_e32 v26, v28, v26
	v_mul_f32_e32 v28, v27, v26
	v_fma_f32 v29, -v23, v28, v27
	v_fmac_f32_e32 v28, v29, v26
	v_fma_f32 v23, -v23, v28, v27
	v_div_fmas_f32 v23, v23, v26, v28
	v_div_fixup_f32 v11, v23, v21, v11
	v_fma_f32 v11, v11, v11, 1.0
	v_mul_f32_e32 v23, 0x4f800000, v11
	v_cmp_gt_f32_e32 vcc, s78, v11
	v_cndmask_b32_e32 v11, v11, v23, vcc
	v_sqrt_f32_e32 v23, v11
	v_add_u32_e32 v26, -1, v23
	v_fma_f32 v27, -v26, v23, v11
	v_cmp_ge_f32_e64 s[20:21], 0, v27
	v_add_u32_e32 v27, 1, v23
	v_cndmask_b32_e64 v26, v23, v26, s[20:21]
	v_fma_f32 v23, -v27, v23, v11
	v_cmp_lt_f32_e64 s[20:21], 0, v23
	v_cndmask_b32_e64 v23, v26, v27, s[20:21]
	v_mul_f32_e32 v26, 0x37800000, v23
	v_cndmask_b32_e32 v23, v23, v26, vcc
	v_cmp_class_f32_e32 vcc, v11, v35
	v_cndmask_b32_e32 v11, v23, v11, vcc
	v_mul_f32_e32 v23, v21, v11
.LBB41_38:                              ;   in Loop: Header=BB41_14 Depth=3
	s_or_b64 exec, exec, s[54:55]
                                        ; implicit-def: $vgpr11
                                        ; implicit-def: $vgpr21
	s_andn2_saveexec_b64 s[52:53], s[52:53]
	s_cbranch_execz .LBB41_34
.LBB41_39:                              ;   in Loop: Header=BB41_14 Depth=3
	v_div_scale_f32 v23, s[20:21], v11, v11, v21
	v_rcp_f32_e32 v26, v23
	v_div_scale_f32 v27, vcc, v21, v11, v21
	v_fma_f32 v28, -v23, v26, 1.0
	v_fmac_f32_e32 v26, v28, v26
	v_mul_f32_e32 v28, v27, v26
	v_fma_f32 v29, -v23, v28, v27
	v_fmac_f32_e32 v28, v29, v26
	v_fma_f32 v23, -v23, v28, v27
	v_div_fmas_f32 v23, v23, v26, v28
	v_div_fixup_f32 v21, v23, v11, v21
	v_fma_f32 v21, v21, v21, 1.0
	v_mul_f32_e32 v23, 0x4f800000, v21
	v_cmp_gt_f32_e32 vcc, s78, v21
	v_cndmask_b32_e32 v21, v21, v23, vcc
	v_sqrt_f32_e32 v23, v21
	v_add_u32_e32 v26, -1, v23
	v_fma_f32 v27, -v26, v23, v21
	v_cmp_ge_f32_e64 s[20:21], 0, v27
	v_add_u32_e32 v27, 1, v23
	v_cndmask_b32_e64 v26, v23, v26, s[20:21]
	v_fma_f32 v23, -v27, v23, v21
	v_cmp_lt_f32_e64 s[20:21], 0, v23
	v_cndmask_b32_e64 v23, v26, v27, s[20:21]
	v_mul_f32_e32 v26, 0x37800000, v23
	v_cndmask_b32_e32 v23, v23, v26, vcc
	v_cmp_class_f32_e32 vcc, v21, v35
	v_cndmask_b32_e32 v21, v23, v21, vcc
	v_mul_f32_e32 v23, v11, v21
	s_or_b64 exec, exec, s[52:53]
	v_cmp_class_f32_e64 s[20:21], v23, s79
	s_and_saveexec_b64 s[88:89], s[20:21]
	s_cbranch_execz .LBB41_35
.LBB41_40:                              ;   in Loop: Header=BB41_14 Depth=3
	s_and_saveexec_b64 s[52:53], s[18:19]
	s_xor_b64 s[90:91], exec, s[52:53]
	s_cbranch_execz .LBB41_65
; %bb.41:                               ;   in Loop: Header=BB41_14 Depth=3
	v_cmp_ge_i32_e32 vcc, v8, v14
	s_and_saveexec_b64 s[18:19], vcc
	s_xor_b64 s[66:67], exec, s[18:19]
	s_cbranch_execz .LBB41_49
; %bb.42:                               ;   in Loop: Header=BB41_14 Depth=3
	v_lshlrev_b64 v[26:27], 3, v[14:15]
	v_mov_b32_e32 v11, s59
	v_add_co_u32_e32 v28, vcc, s58, v26
	v_addc_co_u32_e32 v29, vcc, v11, v27, vcc
	s_andn2_b64 vcc, exec, s[34:35]
	global_store_dwordx2 v[28:29], v[24:25], off
	s_cbranch_vccnz .LBB41_48
; %bb.43:                               ;   in Loop: Header=BB41_14 Depth=3
	v_mov_b32_e32 v11, s57
	v_add_co_u32_e32 v26, vcc, s56, v26
	v_addc_co_u32_e32 v27, vcc, v11, v27, vcc
	global_load_dwordx2 v[26:27], v[26:27], off
                                        ; implicit-def: $vgpr23
	s_waitcnt vmcnt(0)
	v_sub_f32_e32 v11, v26, v24
	v_sub_f32_e32 v24, v27, v25
	v_cmp_gt_f32_e32 vcc, 0, v11
	v_cndmask_b32_e64 v11, v11, -v11, vcc
	v_cmp_gt_f32_e32 vcc, 0, v24
	v_cndmask_b32_e64 v21, v24, -v24, vcc
	v_cmp_ngt_f32_e32 vcc, v11, v21
	s_and_saveexec_b64 s[18:19], vcc
	s_xor_b64 s[52:53], exec, s[18:19]
	s_cbranch_execnz .LBB41_109
; %bb.44:                               ;   in Loop: Header=BB41_14 Depth=3
	s_andn2_saveexec_b64 s[52:53], s[52:53]
	s_cbranch_execnz .LBB41_112
.LBB41_45:                              ;   in Loop: Header=BB41_14 Depth=3
	s_or_b64 exec, exec, s[52:53]
	v_cmp_class_f32_e64 s[52:53], v23, s79
	s_and_saveexec_b64 s[18:19], s[52:53]
.LBB41_46:                              ;   in Loop: Header=BB41_14 Depth=3
	v_cmp_lt_f32_e32 vcc, v4, v23
	v_cndmask_b32_e32 v4, v4, v23, vcc
.LBB41_47:                              ;   in Loop: Header=BB41_14 Depth=3
	s_or_b64 exec, exec, s[18:19]
.LBB41_48:                              ;   in Loop: Header=BB41_14 Depth=3
                                        ; implicit-def: $vgpr24_vgpr25
.LBB41_49:                              ;   in Loop: Header=BB41_14 Depth=3
	s_andn2_saveexec_b64 s[92:93], s[66:67]
	s_cbranch_execz .LBB41_64
; %bb.50:                               ;   in Loop: Header=BB41_14 Depth=3
	v_cmp_lt_i32_e32 vcc, v22, v41
	s_and_saveexec_b64 s[94:95], vcc
	s_cbranch_execz .LBB41_63
; %bb.51:                               ;   in Loop: Header=BB41_14 Depth=3
	s_mov_b64 s[18:19], 0
	v_mov_b32_e32 v11, v22
                                        ; implicit-def: $sgpr66_sgpr67
                                        ; implicit-def: $sgpr52_sgpr53
                                        ; implicit-def: $sgpr72_sgpr73
	s_branch .LBB41_53
.LBB41_52:                              ;   in Loop: Header=BB41_53 Depth=4
	s_or_b64 exec, exec, s[54:55]
	s_and_b64 s[54:55], exec, s[52:53]
	s_or_b64 s[18:19], s[54:55], s[18:19]
	s_andn2_b64 s[54:55], s[66:67], exec
	s_and_b64 s[66:67], s[72:73], exec
	s_or_b64 s[66:67], s[54:55], s[66:67]
	s_andn2_b64 exec, exec, s[18:19]
	s_cbranch_execz .LBB41_55
.LBB41_53:                              ;   Parent Loop BB41_5 Depth=1
                                        ;     Parent Loop BB41_9 Depth=2
                                        ;       Parent Loop BB41_14 Depth=3
                                        ; =>      This Inner Loop Header: Depth=4
	v_add_u32_e32 v26, v20, v11
	v_ashrrev_i32_e32 v27, 31, v26
	v_lshlrev_b64 v[28:29], 2, v[26:27]
	v_mov_b32_e32 v21, s29
	v_add_co_u32_e32 v28, vcc, s28, v28
	v_addc_co_u32_e32 v29, vcc, v21, v29, vcc
	global_load_dword v21, v[28:29], off
	s_or_b64 s[72:73], s[72:73], exec
	s_or_b64 s[52:53], s[52:53], exec
	s_waitcnt vmcnt(0)
	v_subrev_u32_e32 v21, s70, v21
	v_cmp_ne_u32_e32 vcc, v21, v8
	s_and_saveexec_b64 s[54:55], vcc
	s_cbranch_execz .LBB41_52
; %bb.54:                               ;   in Loop: Header=BB41_53 Depth=4
	v_add_u32_e32 v11, 1, v11
	v_cmp_ge_i32_e32 vcc, v11, v41
	s_andn2_b64 s[52:53], s[52:53], exec
	s_and_b64 vcc, vcc, exec
	s_andn2_b64 s[72:73], s[72:73], exec
	s_or_b64 s[52:53], s[52:53], vcc
	s_branch .LBB41_52
.LBB41_55:                              ;   in Loop: Header=BB41_14 Depth=3
	s_or_b64 exec, exec, s[18:19]
	s_and_saveexec_b64 s[18:19], s[66:67]
	s_xor_b64 s[66:67], exec, s[18:19]
	s_cbranch_execz .LBB41_62
; %bb.56:                               ;   in Loop: Header=BB41_14 Depth=3
	v_lshlrev_b64 v[26:27], 3, v[26:27]
	v_mov_b32_e32 v11, s77
	v_add_co_u32_e32 v28, vcc, s76, v26
	v_addc_co_u32_e32 v29, vcc, v11, v27, vcc
	s_andn2_b64 vcc, exec, s[34:35]
	global_store_dwordx2 v[28:29], v[24:25], off
	s_cbranch_vccnz .LBB41_62
; %bb.57:                               ;   in Loop: Header=BB41_14 Depth=3
	v_mov_b32_e32 v11, s31
	v_add_co_u32_e32 v26, vcc, s30, v26
	v_addc_co_u32_e32 v27, vcc, v11, v27, vcc
	global_load_dwordx2 v[26:27], v[26:27], off
                                        ; implicit-def: $vgpr23
	s_waitcnt vmcnt(0)
	v_sub_f32_e32 v11, v26, v24
	v_sub_f32_e32 v24, v27, v25
	v_cmp_gt_f32_e32 vcc, 0, v11
	v_cndmask_b32_e64 v11, v11, -v11, vcc
	v_cmp_gt_f32_e32 vcc, 0, v24
	v_cndmask_b32_e64 v21, v24, -v24, vcc
	v_cmp_ngt_f32_e32 vcc, v11, v21
	s_and_saveexec_b64 s[18:19], vcc
	s_xor_b64 s[52:53], exec, s[18:19]
	s_cbranch_execnz .LBB41_117
; %bb.58:                               ;   in Loop: Header=BB41_14 Depth=3
	s_andn2_saveexec_b64 s[52:53], s[52:53]
	s_cbranch_execnz .LBB41_120
.LBB41_59:                              ;   in Loop: Header=BB41_14 Depth=3
	s_or_b64 exec, exec, s[52:53]
	v_cmp_class_f32_e64 s[52:53], v23, s79
	s_and_saveexec_b64 s[18:19], s[52:53]
.LBB41_60:                              ;   in Loop: Header=BB41_14 Depth=3
	v_cmp_lt_f32_e32 vcc, v4, v23
	v_cndmask_b32_e32 v4, v4, v23, vcc
.LBB41_61:                              ;   in Loop: Header=BB41_14 Depth=3
	s_or_b64 exec, exec, s[18:19]
.LBB41_62:                              ;   in Loop: Header=BB41_14 Depth=3
	s_or_b64 exec, exec, s[66:67]
.LBB41_63:                              ;   in Loop: Header=BB41_14 Depth=3
	s_or_b64 exec, exec, s[94:95]
.LBB41_64:                              ;   in Loop: Header=BB41_14 Depth=3
	s_or_b64 exec, exec, s[92:93]
                                        ; implicit-def: $vgpr24_vgpr25
.LBB41_65:                              ;   in Loop: Header=BB41_14 Depth=3
	s_andn2_saveexec_b64 s[90:91], s[90:91]
	s_cbranch_execz .LBB41_80
; %bb.66:                               ;   in Loop: Header=BB41_14 Depth=3
	v_cmp_lt_i32_e32 vcc, v6, v37
	s_and_saveexec_b64 s[92:93], vcc
	s_cbranch_execz .LBB41_79
; %bb.67:                               ;   in Loop: Header=BB41_14 Depth=3
	s_mov_b64 s[18:19], 0
	v_mov_b32_e32 v11, v6
                                        ; implicit-def: $sgpr66_sgpr67
                                        ; implicit-def: $sgpr52_sgpr53
                                        ; implicit-def: $sgpr72_sgpr73
	s_branch .LBB41_69
.LBB41_68:                              ;   in Loop: Header=BB41_69 Depth=4
	s_or_b64 exec, exec, s[54:55]
	s_and_b64 s[54:55], exec, s[52:53]
	s_or_b64 s[18:19], s[54:55], s[18:19]
	s_andn2_b64 s[54:55], s[66:67], exec
	s_and_b64 s[66:67], s[72:73], exec
	s_or_b64 s[66:67], s[54:55], s[66:67]
	s_andn2_b64 exec, exec, s[18:19]
	s_cbranch_execz .LBB41_71
.LBB41_69:                              ;   Parent Loop BB41_5 Depth=1
                                        ;     Parent Loop BB41_9 Depth=2
                                        ;       Parent Loop BB41_14 Depth=3
                                        ; =>      This Inner Loop Header: Depth=4
	v_add_u32_e32 v26, v12, v11
	v_ashrrev_i32_e32 v27, 31, v26
	v_lshlrev_b64 v[28:29], 2, v[26:27]
	v_mov_b32_e32 v21, s41
	v_add_co_u32_e32 v28, vcc, s40, v28
	v_addc_co_u32_e32 v29, vcc, v21, v29, vcc
	global_load_dword v21, v[28:29], off
	s_or_b64 s[72:73], s[72:73], exec
	s_or_b64 s[52:53], s[52:53], exec
	s_waitcnt vmcnt(0)
	v_subrev_u32_e32 v21, s62, v21
	v_cmp_ne_u32_e32 vcc, v21, v14
	s_and_saveexec_b64 s[54:55], vcc
	s_cbranch_execz .LBB41_68
; %bb.70:                               ;   in Loop: Header=BB41_69 Depth=4
	v_add_u32_e32 v11, 1, v11
	v_cmp_ge_i32_e32 vcc, v11, v37
	s_andn2_b64 s[52:53], s[52:53], exec
	s_and_b64 s[94:95], vcc, exec
	s_andn2_b64 s[72:73], s[72:73], exec
	s_or_b64 s[52:53], s[52:53], s[94:95]
	s_branch .LBB41_68
.LBB41_71:                              ;   in Loop: Header=BB41_14 Depth=3
	s_or_b64 exec, exec, s[18:19]
	s_and_saveexec_b64 s[18:19], s[66:67]
	s_xor_b64 s[66:67], exec, s[18:19]
	s_cbranch_execz .LBB41_78
; %bb.72:                               ;   in Loop: Header=BB41_14 Depth=3
	v_lshlrev_b64 v[26:27], 3, v[26:27]
	v_mov_b32_e32 v11, s75
	v_add_co_u32_e32 v28, vcc, s74, v26
	v_addc_co_u32_e32 v29, vcc, v11, v27, vcc
	s_andn2_b64 vcc, exec, s[34:35]
	global_store_dwordx2 v[28:29], v[24:25], off
	s_cbranch_vccnz .LBB41_78
; %bb.73:                               ;   in Loop: Header=BB41_14 Depth=3
	v_mov_b32_e32 v11, s43
	v_add_co_u32_e32 v26, vcc, s42, v26
	v_addc_co_u32_e32 v27, vcc, v11, v27, vcc
	global_load_dwordx2 v[26:27], v[26:27], off
                                        ; implicit-def: $vgpr23
	s_waitcnt vmcnt(0)
	v_sub_f32_e32 v11, v26, v24
	v_sub_f32_e32 v24, v27, v25
	v_cmp_gt_f32_e32 vcc, 0, v11
	v_cndmask_b32_e64 v11, v11, -v11, vcc
	v_cmp_gt_f32_e32 vcc, 0, v24
	v_cndmask_b32_e64 v21, v24, -v24, vcc
	v_cmp_ngt_f32_e32 vcc, v11, v21
	s_and_saveexec_b64 s[18:19], vcc
	s_xor_b64 s[52:53], exec, s[18:19]
	s_cbranch_execnz .LBB41_113
; %bb.74:                               ;   in Loop: Header=BB41_14 Depth=3
	s_andn2_saveexec_b64 s[52:53], s[52:53]
	s_cbranch_execnz .LBB41_116
.LBB41_75:                              ;   in Loop: Header=BB41_14 Depth=3
	s_or_b64 exec, exec, s[52:53]
	v_cmp_class_f32_e64 s[52:53], v23, s79
	s_and_saveexec_b64 s[18:19], s[52:53]
.LBB41_76:                              ;   in Loop: Header=BB41_14 Depth=3
	v_cmp_lt_f32_e32 vcc, v4, v23
	v_cndmask_b32_e32 v4, v4, v23, vcc
.LBB41_77:                              ;   in Loop: Header=BB41_14 Depth=3
	s_or_b64 exec, exec, s[18:19]
.LBB41_78:                              ;   in Loop: Header=BB41_14 Depth=3
	s_or_b64 exec, exec, s[66:67]
.LBB41_79:                              ;   in Loop: Header=BB41_14 Depth=3
	s_or_b64 exec, exec, s[92:93]
.LBB41_80:                              ;   in Loop: Header=BB41_14 Depth=3
	s_or_b64 exec, exec, s[90:91]
	s_or_b64 exec, exec, s[88:89]
	s_and_b64 s[18:19], s[20:21], s[22:23]
	s_and_saveexec_b64 s[20:21], s[18:19]
	s_cbranch_execz .LBB41_13
.LBB41_81:                              ;   in Loop: Header=BB41_14 Depth=3
	v_cmp_ge_i32_e32 vcc, v22, v41
	s_and_saveexec_b64 s[18:19], vcc
	s_xor_b64 s[18:19], exec, s[18:19]
	s_cbranch_execnz .LBB41_88
; %bb.82:                               ;   in Loop: Header=BB41_14 Depth=3
	s_andn2_saveexec_b64 s[18:19], s[18:19]
	s_cbranch_execnz .LBB41_102
.LBB41_83:                              ;   in Loop: Header=BB41_14 Depth=3
	s_or_b64 exec, exec, s[18:19]
	v_cmp_eq_u32_e32 vcc, v8, v14
	s_and_saveexec_b64 s[18:19], vcc
	s_cbranch_execz .LBB41_85
.LBB41_84:                              ;   in Loop: Header=BB41_14 Depth=3
	v_lshlrev_b64 v[14:15], 3, v[14:15]
	v_mov_b32_e32 v6, s57
	v_add_co_u32_e32 v14, vcc, s56, v14
	v_addc_co_u32_e32 v15, vcc, v6, v15, vcc
	global_load_dwordx2 v[14:15], v[14:15], off
	s_waitcnt vmcnt(0)
	v_pk_add_f32 v[16:17], v[16:17], v[14:15]
.LBB41_85:                              ;   in Loop: Header=BB41_14 Depth=3
	s_or_b64 exec, exec, s[18:19]
	v_pk_add_f32 v[14:15], v[18:19], v[16:17] neg_lo:[0,1] neg_hi:[0,1]
	v_cmp_gt_f32_e32 vcc, 0, v14
	v_cndmask_b32_e64 v6, v14, -v14, vcc
	v_cmp_gt_f32_e32 vcc, 0, v15
	v_cndmask_b32_e64 v11, v15, -v15, vcc
	v_cmp_ngt_f32_e32 vcc, v6, v11
                                        ; implicit-def: $vgpr14
	s_and_saveexec_b64 s[18:19], vcc
	s_xor_b64 s[52:53], exec, s[18:19]
	s_cbranch_execnz .LBB41_93
; %bb.86:                               ;   in Loop: Header=BB41_14 Depth=3
	s_andn2_saveexec_b64 s[52:53], s[52:53]
	s_cbranch_execnz .LBB41_96
.LBB41_87:                              ;   in Loop: Header=BB41_14 Depth=3
	s_or_b64 exec, exec, s[52:53]
	v_cmp_class_f32_e64 s[52:53], v14, s79
	s_and_saveexec_b64 s[18:19], s[52:53]
	s_cbranch_execz .LBB41_12
	s_branch .LBB41_97
.LBB41_88:                              ;   in Loop: Header=BB41_14 Depth=3
	v_cmp_lt_i32_e32 vcc, v6, v37
	s_and_saveexec_b64 s[66:67], vcc
	s_cbranch_execz .LBB41_101
; %bb.89:                               ;   in Loop: Header=BB41_14 Depth=3
	s_mov_b64 s[88:89], 0
                                        ; implicit-def: $sgpr90_sgpr91
                                        ; implicit-def: $sgpr52_sgpr53
                                        ; implicit-def: $sgpr72_sgpr73
	s_branch .LBB41_91
.LBB41_90:                              ;   in Loop: Header=BB41_91 Depth=4
	s_or_b64 exec, exec, s[54:55]
	s_and_b64 s[54:55], exec, s[52:53]
	s_or_b64 s[88:89], s[54:55], s[88:89]
	s_andn2_b64 s[54:55], s[90:91], exec
	s_and_b64 s[90:91], s[72:73], exec
	s_or_b64 s[90:91], s[54:55], s[90:91]
	s_andn2_b64 exec, exec, s[88:89]
	s_cbranch_execz .LBB41_98
.LBB41_91:                              ;   Parent Loop BB41_5 Depth=1
                                        ;     Parent Loop BB41_9 Depth=2
                                        ;       Parent Loop BB41_14 Depth=3
                                        ; =>      This Inner Loop Header: Depth=4
	v_add_u32_e32 v20, v12, v6
	v_ashrrev_i32_e32 v21, 31, v20
	v_lshlrev_b64 v[22:23], 2, v[20:21]
	v_mov_b32_e32 v11, s41
	v_add_co_u32_e32 v22, vcc, s40, v22
	v_addc_co_u32_e32 v23, vcc, v11, v23, vcc
	global_load_dword v11, v[22:23], off
	s_or_b64 s[72:73], s[72:73], exec
	s_or_b64 s[52:53], s[52:53], exec
	s_waitcnt vmcnt(0)
	v_subrev_u32_e32 v11, s62, v11
	v_cmp_ne_u32_e32 vcc, v11, v14
	s_and_saveexec_b64 s[54:55], vcc
	s_cbranch_execz .LBB41_90
; %bb.92:                               ;   in Loop: Header=BB41_91 Depth=4
	v_add_u32_e32 v6, 1, v6
	v_cmp_ge_i32_e32 vcc, v6, v37
	s_andn2_b64 s[52:53], s[52:53], exec
	s_and_b64 s[92:93], vcc, exec
	s_andn2_b64 s[72:73], s[72:73], exec
	s_or_b64 s[52:53], s[52:53], s[92:93]
	s_branch .LBB41_90
.LBB41_93:                              ;   in Loop: Header=BB41_14 Depth=3
	v_cmp_neq_f32_e32 vcc, 0, v15
	v_mov_b32_e32 v14, 0
	s_and_saveexec_b64 s[54:55], vcc
	s_cbranch_execz .LBB41_95
; %bb.94:                               ;   in Loop: Header=BB41_14 Depth=3
	v_div_scale_f32 v14, s[18:19], v11, v11, v6
	v_rcp_f32_e32 v15, v14
	v_div_scale_f32 v16, vcc, v6, v11, v6
	v_fma_f32 v17, -v14, v15, 1.0
	v_fmac_f32_e32 v15, v17, v15
	v_mul_f32_e32 v17, v16, v15
	v_fma_f32 v18, -v14, v17, v16
	v_fmac_f32_e32 v17, v18, v15
	v_fma_f32 v14, -v14, v17, v16
	v_div_fmas_f32 v14, v14, v15, v17
	v_div_fixup_f32 v6, v14, v11, v6
	v_fma_f32 v6, v6, v6, 1.0
	v_mul_f32_e32 v14, 0x4f800000, v6
	v_cmp_gt_f32_e32 vcc, s78, v6
	v_cndmask_b32_e32 v6, v6, v14, vcc
	v_sqrt_f32_e32 v14, v6
	v_add_u32_e32 v15, -1, v14
	v_fma_f32 v16, -v15, v14, v6
	v_cmp_ge_f32_e64 s[18:19], 0, v16
	v_add_u32_e32 v16, 1, v14
	v_cndmask_b32_e64 v15, v14, v15, s[18:19]
	v_fma_f32 v14, -v16, v14, v6
	v_cmp_lt_f32_e64 s[18:19], 0, v14
	v_cndmask_b32_e64 v14, v15, v16, s[18:19]
	v_mul_f32_e32 v15, 0x37800000, v14
	v_cndmask_b32_e32 v14, v14, v15, vcc
	v_cmp_class_f32_e32 vcc, v6, v35
	v_cndmask_b32_e32 v6, v14, v6, vcc
	v_mul_f32_e32 v14, v11, v6
.LBB41_95:                              ;   in Loop: Header=BB41_14 Depth=3
	s_or_b64 exec, exec, s[54:55]
                                        ; implicit-def: $vgpr6
                                        ; implicit-def: $vgpr11
	s_andn2_saveexec_b64 s[52:53], s[52:53]
	s_cbranch_execz .LBB41_87
.LBB41_96:                              ;   in Loop: Header=BB41_14 Depth=3
	v_div_scale_f32 v14, s[18:19], v6, v6, v11
	v_rcp_f32_e32 v15, v14
	v_div_scale_f32 v16, vcc, v11, v6, v11
	v_fma_f32 v17, -v14, v15, 1.0
	v_fmac_f32_e32 v15, v17, v15
	v_mul_f32_e32 v17, v16, v15
	v_fma_f32 v18, -v14, v17, v16
	v_fmac_f32_e32 v17, v18, v15
	v_fma_f32 v14, -v14, v17, v16
	v_div_fmas_f32 v14, v14, v15, v17
	v_div_fixup_f32 v11, v14, v6, v11
	v_fma_f32 v11, v11, v11, 1.0
	v_mul_f32_e32 v14, 0x4f800000, v11
	v_cmp_gt_f32_e32 vcc, s78, v11
	v_cndmask_b32_e32 v11, v11, v14, vcc
	v_sqrt_f32_e32 v14, v11
	v_add_u32_e32 v15, -1, v14
	v_fma_f32 v16, -v15, v14, v11
	v_cmp_ge_f32_e64 s[18:19], 0, v16
	v_add_u32_e32 v16, 1, v14
	v_cndmask_b32_e64 v15, v14, v15, s[18:19]
	v_fma_f32 v14, -v16, v14, v11
	v_cmp_lt_f32_e64 s[18:19], 0, v14
	v_cndmask_b32_e64 v14, v15, v16, s[18:19]
	v_mul_f32_e32 v15, 0x37800000, v14
	v_cndmask_b32_e32 v14, v14, v15, vcc
	v_cmp_class_f32_e32 vcc, v11, v35
	v_cndmask_b32_e32 v11, v14, v11, vcc
	v_mul_f32_e32 v14, v6, v11
	s_or_b64 exec, exec, s[52:53]
	v_cmp_class_f32_e64 s[52:53], v14, s79
	s_and_saveexec_b64 s[18:19], s[52:53]
	s_cbranch_execz .LBB41_12
.LBB41_97:                              ;   in Loop: Header=BB41_14 Depth=3
	v_cmp_lt_f32_e32 vcc, v2, v14
	v_cndmask_b32_e32 v2, v2, v14, vcc
	s_branch .LBB41_12
.LBB41_98:                              ;   in Loop: Header=BB41_14 Depth=3
	s_or_b64 exec, exec, s[88:89]
	s_and_saveexec_b64 s[52:53], s[90:91]
	s_xor_b64 s[52:53], exec, s[52:53]
	s_cbranch_execz .LBB41_100
; %bb.99:                               ;   in Loop: Header=BB41_14 Depth=3
	v_lshlrev_b64 v[20:21], 3, v[20:21]
	v_mov_b32_e32 v6, s43
	v_add_co_u32_e32 v20, vcc, s42, v20
	v_addc_co_u32_e32 v21, vcc, v6, v21, vcc
	v_lshlrev_b64 v[22:23], 3, v[14:15]
	v_mov_b32_e32 v6, s57
	v_add_co_u32_e32 v22, vcc, s56, v22
	v_addc_co_u32_e32 v23, vcc, v6, v23, vcc
	global_load_dwordx2 v[20:21], v[20:21], off
	s_nop 0
	global_load_dwordx2 v[22:23], v[22:23], off
	s_waitcnt vmcnt(0)
	v_pk_mul_f32 v[24:25], v[22:23], v[20:21] op_sel:[1,1] op_sel_hi:[1,0] neg_lo:[0,1]
	v_pk_fma_f32 v[20:21], v[20:21], v[22:23], v[24:25] op_sel_hi:[1,0,1]
	v_pk_add_f32 v[16:17], v[16:17], v[20:21]
.LBB41_100:                             ;   in Loop: Header=BB41_14 Depth=3
	s_or_b64 exec, exec, s[52:53]
.LBB41_101:                             ;   in Loop: Header=BB41_14 Depth=3
	s_or_b64 exec, exec, s[66:67]
                                        ; implicit-def: $vgpr22
                                        ; implicit-def: $vgpr20
                                        ; implicit-def: $vgpr41
	s_andn2_saveexec_b64 s[18:19], s[18:19]
	s_cbranch_execz .LBB41_83
.LBB41_102:                             ;   in Loop: Header=BB41_14 Depth=3
	s_mov_b64 s[66:67], 0
                                        ; implicit-def: $sgpr88_sgpr89
                                        ; implicit-def: $sgpr52_sgpr53
                                        ; implicit-def: $sgpr72_sgpr73
	s_branch .LBB41_104
.LBB41_103:                             ;   in Loop: Header=BB41_104 Depth=4
	s_or_b64 exec, exec, s[54:55]
	s_and_b64 s[54:55], exec, s[52:53]
	s_or_b64 s[66:67], s[54:55], s[66:67]
	s_andn2_b64 s[54:55], s[88:89], exec
	s_and_b64 s[88:89], s[72:73], exec
	s_or_b64 s[88:89], s[54:55], s[88:89]
	s_andn2_b64 exec, exec, s[66:67]
	s_cbranch_execz .LBB41_106
.LBB41_104:                             ;   Parent Loop BB41_5 Depth=1
                                        ;     Parent Loop BB41_9 Depth=2
                                        ;       Parent Loop BB41_14 Depth=3
                                        ; =>      This Inner Loop Header: Depth=4
	v_add_u32_e32 v24, v20, v22
	v_ashrrev_i32_e32 v25, 31, v24
	v_lshlrev_b64 v[26:27], 2, v[24:25]
	v_mov_b32_e32 v6, s29
	v_add_co_u32_e32 v26, vcc, s28, v26
	v_addc_co_u32_e32 v27, vcc, v6, v27, vcc
	global_load_dword v6, v[26:27], off
	s_or_b64 s[72:73], s[72:73], exec
	s_or_b64 s[52:53], s[52:53], exec
	s_waitcnt vmcnt(0)
	v_subrev_u32_e32 v6, s70, v6
	v_cmp_ne_u32_e32 vcc, v6, v8
	s_and_saveexec_b64 s[54:55], vcc
	s_cbranch_execz .LBB41_103
; %bb.105:                              ;   in Loop: Header=BB41_104 Depth=4
	v_add_u32_e32 v22, 1, v22
	v_cmp_ge_i32_e32 vcc, v22, v41
	s_andn2_b64 s[52:53], s[52:53], exec
	s_and_b64 s[90:91], vcc, exec
	s_andn2_b64 s[72:73], s[72:73], exec
	s_or_b64 s[52:53], s[52:53], s[90:91]
	s_branch .LBB41_103
.LBB41_106:                             ;   in Loop: Header=BB41_14 Depth=3
	s_or_b64 exec, exec, s[66:67]
	s_and_saveexec_b64 s[52:53], s[88:89]
	s_xor_b64 s[52:53], exec, s[52:53]
	s_cbranch_execz .LBB41_108
; %bb.107:                              ;   in Loop: Header=BB41_14 Depth=3
	v_lshlrev_b64 v[20:21], 3, v[24:25]
	v_mov_b32_e32 v6, s31
	v_add_co_u32_e32 v20, vcc, s30, v20
	v_addc_co_u32_e32 v21, vcc, v6, v21, vcc
	global_load_dwordx2 v[20:21], v[20:21], off
	s_waitcnt vmcnt(0)
	v_pk_add_f32 v[16:17], v[16:17], v[20:21]
.LBB41_108:                             ;   in Loop: Header=BB41_14 Depth=3
	s_or_b64 exec, exec, s[52:53]
	s_or_b64 exec, exec, s[18:19]
	v_cmp_eq_u32_e32 vcc, v8, v14
	s_and_saveexec_b64 s[18:19], vcc
	s_cbranch_execnz .LBB41_84
	s_branch .LBB41_85
.LBB41_109:                             ;   in Loop: Header=BB41_14 Depth=3
	v_cmp_neq_f32_e32 vcc, 0, v24
	v_mov_b32_e32 v23, 0
	s_and_saveexec_b64 s[54:55], vcc
	s_cbranch_execz .LBB41_111
; %bb.110:                              ;   in Loop: Header=BB41_14 Depth=3
	v_div_scale_f32 v23, s[18:19], v21, v21, v11
	v_rcp_f32_e32 v24, v23
	v_div_scale_f32 v25, vcc, v11, v21, v11
	v_fma_f32 v26, -v23, v24, 1.0
	v_fmac_f32_e32 v24, v26, v24
	v_mul_f32_e32 v26, v25, v24
	v_fma_f32 v27, -v23, v26, v25
	v_fmac_f32_e32 v26, v27, v24
	v_fma_f32 v23, -v23, v26, v25
	v_div_fmas_f32 v23, v23, v24, v26
	v_div_fixup_f32 v11, v23, v21, v11
	v_fma_f32 v11, v11, v11, 1.0
	v_mul_f32_e32 v23, 0x4f800000, v11
	v_cmp_gt_f32_e32 vcc, s78, v11
	v_cndmask_b32_e32 v11, v11, v23, vcc
	v_sqrt_f32_e32 v23, v11
	v_add_u32_e32 v24, -1, v23
	v_fma_f32 v26, -v24, v23, v11
	v_add_u32_e32 v25, 1, v23
	v_cmp_ge_f32_e64 s[18:19], 0, v26
	v_cndmask_b32_e64 v24, v23, v24, s[18:19]
	v_fma_f32 v23, -v25, v23, v11
	v_cmp_lt_f32_e64 s[18:19], 0, v23
	v_cndmask_b32_e64 v23, v24, v25, s[18:19]
	v_mul_f32_e32 v24, 0x37800000, v23
	v_cndmask_b32_e32 v23, v23, v24, vcc
	v_cmp_class_f32_e32 vcc, v11, v35
	v_cndmask_b32_e32 v11, v23, v11, vcc
	v_mul_f32_e32 v23, v21, v11
.LBB41_111:                             ;   in Loop: Header=BB41_14 Depth=3
	s_or_b64 exec, exec, s[54:55]
                                        ; implicit-def: $vgpr11
                                        ; implicit-def: $vgpr21
	s_andn2_saveexec_b64 s[52:53], s[52:53]
	s_cbranch_execz .LBB41_45
.LBB41_112:                             ;   in Loop: Header=BB41_14 Depth=3
	v_div_scale_f32 v23, s[18:19], v11, v11, v21
	v_rcp_f32_e32 v24, v23
	v_div_scale_f32 v25, vcc, v21, v11, v21
	v_fma_f32 v26, -v23, v24, 1.0
	v_fmac_f32_e32 v24, v26, v24
	v_mul_f32_e32 v26, v25, v24
	v_fma_f32 v27, -v23, v26, v25
	v_fmac_f32_e32 v26, v27, v24
	v_fma_f32 v23, -v23, v26, v25
	v_div_fmas_f32 v23, v23, v24, v26
	v_div_fixup_f32 v21, v23, v11, v21
	v_fma_f32 v21, v21, v21, 1.0
	v_mul_f32_e32 v23, 0x4f800000, v21
	v_cmp_gt_f32_e32 vcc, s78, v21
	v_cndmask_b32_e32 v21, v21, v23, vcc
	v_sqrt_f32_e32 v23, v21
	v_add_u32_e32 v24, -1, v23
	v_fma_f32 v25, -v24, v23, v21
	v_cmp_ge_f32_e64 s[18:19], 0, v25
	v_add_u32_e32 v25, 1, v23
	v_cndmask_b32_e64 v24, v23, v24, s[18:19]
	v_fma_f32 v23, -v25, v23, v21
	v_cmp_lt_f32_e64 s[18:19], 0, v23
	v_cndmask_b32_e64 v23, v24, v25, s[18:19]
	v_mul_f32_e32 v24, 0x37800000, v23
	v_cndmask_b32_e32 v23, v23, v24, vcc
	v_cmp_class_f32_e32 vcc, v21, v35
	v_cndmask_b32_e32 v21, v23, v21, vcc
	v_mul_f32_e32 v23, v11, v21
	s_or_b64 exec, exec, s[52:53]
	v_cmp_class_f32_e64 s[52:53], v23, s79
	s_and_saveexec_b64 s[18:19], s[52:53]
	s_cbranch_execnz .LBB41_46
	s_branch .LBB41_47
.LBB41_113:                             ;   in Loop: Header=BB41_14 Depth=3
	v_cmp_neq_f32_e32 vcc, 0, v24
	v_mov_b32_e32 v23, 0
	s_and_saveexec_b64 s[54:55], vcc
	s_cbranch_execz .LBB41_115
; %bb.114:                              ;   in Loop: Header=BB41_14 Depth=3
	v_div_scale_f32 v23, s[18:19], v21, v21, v11
	v_rcp_f32_e32 v24, v23
	v_div_scale_f32 v25, vcc, v11, v21, v11
	v_fma_f32 v26, -v23, v24, 1.0
	v_fmac_f32_e32 v24, v26, v24
	v_mul_f32_e32 v26, v25, v24
	v_fma_f32 v27, -v23, v26, v25
	v_fmac_f32_e32 v26, v27, v24
	v_fma_f32 v23, -v23, v26, v25
	v_div_fmas_f32 v23, v23, v24, v26
	v_div_fixup_f32 v11, v23, v21, v11
	v_fma_f32 v11, v11, v11, 1.0
	v_mul_f32_e32 v23, 0x4f800000, v11
	v_cmp_gt_f32_e32 vcc, s78, v11
	v_cndmask_b32_e32 v11, v11, v23, vcc
	v_sqrt_f32_e32 v23, v11
	v_add_u32_e32 v24, -1, v23
	v_fma_f32 v26, -v24, v23, v11
	v_add_u32_e32 v25, 1, v23
	v_cmp_ge_f32_e64 s[18:19], 0, v26
	v_cndmask_b32_e64 v24, v23, v24, s[18:19]
	v_fma_f32 v23, -v25, v23, v11
	v_cmp_lt_f32_e64 s[18:19], 0, v23
	v_cndmask_b32_e64 v23, v24, v25, s[18:19]
	v_mul_f32_e32 v24, 0x37800000, v23
	v_cndmask_b32_e32 v23, v23, v24, vcc
	v_cmp_class_f32_e32 vcc, v11, v35
	v_cndmask_b32_e32 v11, v23, v11, vcc
	v_mul_f32_e32 v23, v21, v11
.LBB41_115:                             ;   in Loop: Header=BB41_14 Depth=3
	s_or_b64 exec, exec, s[54:55]
                                        ; implicit-def: $vgpr11
                                        ; implicit-def: $vgpr21
	s_andn2_saveexec_b64 s[52:53], s[52:53]
	s_cbranch_execz .LBB41_75
.LBB41_116:                             ;   in Loop: Header=BB41_14 Depth=3
	v_div_scale_f32 v23, s[18:19], v11, v11, v21
	v_rcp_f32_e32 v24, v23
	v_div_scale_f32 v25, vcc, v21, v11, v21
	v_fma_f32 v26, -v23, v24, 1.0
	v_fmac_f32_e32 v24, v26, v24
	v_mul_f32_e32 v26, v25, v24
	v_fma_f32 v27, -v23, v26, v25
	v_fmac_f32_e32 v26, v27, v24
	v_fma_f32 v23, -v23, v26, v25
	v_div_fmas_f32 v23, v23, v24, v26
	v_div_fixup_f32 v21, v23, v11, v21
	v_fma_f32 v21, v21, v21, 1.0
	v_mul_f32_e32 v23, 0x4f800000, v21
	v_cmp_gt_f32_e32 vcc, s78, v21
	v_cndmask_b32_e32 v21, v21, v23, vcc
	v_sqrt_f32_e32 v23, v21
	v_add_u32_e32 v24, -1, v23
	v_fma_f32 v26, -v24, v23, v21
	v_add_u32_e32 v25, 1, v23
	v_cmp_ge_f32_e64 s[18:19], 0, v26
	v_cndmask_b32_e64 v24, v23, v24, s[18:19]
	v_fma_f32 v23, -v25, v23, v21
	v_cmp_lt_f32_e64 s[18:19], 0, v23
	v_cndmask_b32_e64 v23, v24, v25, s[18:19]
	v_mul_f32_e32 v24, 0x37800000, v23
	v_cndmask_b32_e32 v23, v23, v24, vcc
	v_cmp_class_f32_e32 vcc, v21, v35
	v_cndmask_b32_e32 v21, v23, v21, vcc
	v_mul_f32_e32 v23, v11, v21
	s_or_b64 exec, exec, s[52:53]
	v_cmp_class_f32_e64 s[52:53], v23, s79
	s_and_saveexec_b64 s[18:19], s[52:53]
	s_cbranch_execnz .LBB41_76
	s_branch .LBB41_77
.LBB41_117:                             ;   in Loop: Header=BB41_14 Depth=3
	v_cmp_neq_f32_e32 vcc, 0, v24
	v_mov_b32_e32 v23, 0
	s_and_saveexec_b64 s[54:55], vcc
	s_cbranch_execz .LBB41_119
; %bb.118:                              ;   in Loop: Header=BB41_14 Depth=3
	v_div_scale_f32 v23, s[18:19], v21, v21, v11
	v_rcp_f32_e32 v24, v23
	v_div_scale_f32 v25, vcc, v11, v21, v11
	v_fma_f32 v26, -v23, v24, 1.0
	v_fmac_f32_e32 v24, v26, v24
	v_mul_f32_e32 v26, v25, v24
	v_fma_f32 v27, -v23, v26, v25
	v_fmac_f32_e32 v26, v27, v24
	v_fma_f32 v23, -v23, v26, v25
	v_div_fmas_f32 v23, v23, v24, v26
	v_div_fixup_f32 v11, v23, v21, v11
	v_fma_f32 v11, v11, v11, 1.0
	v_mul_f32_e32 v23, 0x4f800000, v11
	v_cmp_gt_f32_e32 vcc, s78, v11
	v_cndmask_b32_e32 v11, v11, v23, vcc
	v_sqrt_f32_e32 v23, v11
	v_add_u32_e32 v24, -1, v23
	v_fma_f32 v26, -v24, v23, v11
	v_add_u32_e32 v25, 1, v23
	v_cmp_ge_f32_e64 s[18:19], 0, v26
	v_cndmask_b32_e64 v24, v23, v24, s[18:19]
	v_fma_f32 v23, -v25, v23, v11
	v_cmp_lt_f32_e64 s[18:19], 0, v23
	v_cndmask_b32_e64 v23, v24, v25, s[18:19]
	v_mul_f32_e32 v24, 0x37800000, v23
	v_cndmask_b32_e32 v23, v23, v24, vcc
	v_cmp_class_f32_e32 vcc, v11, v35
	v_cndmask_b32_e32 v11, v23, v11, vcc
	v_mul_f32_e32 v23, v21, v11
.LBB41_119:                             ;   in Loop: Header=BB41_14 Depth=3
	s_or_b64 exec, exec, s[54:55]
                                        ; implicit-def: $vgpr11
                                        ; implicit-def: $vgpr21
	s_andn2_saveexec_b64 s[52:53], s[52:53]
	s_cbranch_execz .LBB41_59
.LBB41_120:                             ;   in Loop: Header=BB41_14 Depth=3
	v_div_scale_f32 v23, s[18:19], v11, v11, v21
	v_rcp_f32_e32 v24, v23
	v_div_scale_f32 v25, vcc, v21, v11, v21
	v_fma_f32 v26, -v23, v24, 1.0
	v_fmac_f32_e32 v24, v26, v24
	v_mul_f32_e32 v26, v25, v24
	v_fma_f32 v27, -v23, v26, v25
	v_fmac_f32_e32 v26, v27, v24
	v_fma_f32 v23, -v23, v26, v25
	v_div_fmas_f32 v23, v23, v24, v26
	v_div_fixup_f32 v21, v23, v11, v21
	v_fma_f32 v21, v21, v21, 1.0
	v_mul_f32_e32 v23, 0x4f800000, v21
	v_cmp_gt_f32_e32 vcc, s78, v21
	v_cndmask_b32_e32 v21, v21, v23, vcc
	v_sqrt_f32_e32 v23, v21
	v_add_u32_e32 v24, -1, v23
	v_fma_f32 v26, -v24, v23, v21
	v_add_u32_e32 v25, 1, v23
	v_cmp_ge_f32_e64 s[18:19], 0, v26
	v_cndmask_b32_e64 v24, v23, v24, s[18:19]
	v_fma_f32 v23, -v25, v23, v21
	v_cmp_lt_f32_e64 s[18:19], 0, v23
	v_cndmask_b32_e64 v23, v24, v25, s[18:19]
	v_mul_f32_e32 v24, 0x37800000, v23
	v_cndmask_b32_e32 v23, v23, v24, vcc
	v_cmp_class_f32_e32 vcc, v21, v35
	v_cndmask_b32_e32 v21, v23, v21, vcc
	v_mul_f32_e32 v23, v11, v21
	s_or_b64 exec, exec, s[52:53]
	v_cmp_class_f32_e64 s[52:53], v23, s79
	s_and_saveexec_b64 s[18:19], s[52:53]
	s_cbranch_execnz .LBB41_60
	s_branch .LBB41_61
.LBB41_121:                             ;   in Loop: Header=BB41_5 Depth=1
	s_and_b64 vcc, exec, s[34:35]
	s_cbranch_vccnz .LBB41_124
; %bb.122:                              ;   in Loop: Header=BB41_5 Depth=1
	s_andn2_b64 vcc, exec, s[22:23]
	s_cbranch_vccz .LBB41_135
.LBB41_123:                             ;   in Loop: Header=BB41_5 Depth=1
	s_and_saveexec_b64 s[16:17], s[4:5]
	s_cbranch_execnz .LBB41_146
	s_branch .LBB41_157
.LBB41_124:                             ;   in Loop: Header=BB41_5 Depth=1
	v_mov_b32_dpp v6, v4 row_shr:1 row_mask:0xf bank_mask:0xf
	v_cmp_lt_f32_e32 vcc, v4, v6
	v_cndmask_b32_e32 v4, v4, v6, vcc
	s_nop 1
	v_mov_b32_dpp v6, v4 row_shr:2 row_mask:0xf bank_mask:0xf
	v_cmp_lt_f32_e32 vcc, v4, v6
	v_cndmask_b32_e32 v4, v4, v6, vcc
	s_nop 1
	;; [unrolled: 4-line block ×4, first 2 shown]
	v_mov_b32_dpp v6, v4 row_bcast:15 row_mask:0xa bank_mask:0xf
	v_cmp_lt_f32_e32 vcc, v4, v6
	v_cndmask_b32_e32 v4, v4, v6, vcc
	s_nop 1
	v_mov_b32_dpp v6, v4 row_bcast:31 row_mask:0xc bank_mask:0xf
	s_and_saveexec_b64 s[16:17], s[2:3]
	s_cbranch_execz .LBB41_126
; %bb.125:                              ;   in Loop: Header=BB41_5 Depth=1
	v_cmp_lt_f32_e32 vcc, v4, v6
	v_cndmask_b32_e32 v4, v4, v6, vcc
	ds_write_b32 v32, v4
.LBB41_126:                             ;   in Loop: Header=BB41_5 Depth=1
	s_or_b64 exec, exec, s[16:17]
	s_waitcnt lgkmcnt(0)
	s_barrier
	s_and_saveexec_b64 s[16:17], s[6:7]
	s_cbranch_execz .LBB41_128
; %bb.127:                              ;   in Loop: Header=BB41_5 Depth=1
	ds_read2_b32 v[8:9], v1 offset1:8
	s_waitcnt lgkmcnt(0)
	v_cmp_lt_f32_e32 vcc, v8, v9
	v_cndmask_b32_e32 v4, v8, v9, vcc
	ds_write_b32 v1, v4
.LBB41_128:                             ;   in Loop: Header=BB41_5 Depth=1
	s_or_b64 exec, exec, s[16:17]
	s_waitcnt lgkmcnt(0)
	s_barrier
	s_and_saveexec_b64 s[16:17], s[8:9]
	s_cbranch_execz .LBB41_130
; %bb.129:                              ;   in Loop: Header=BB41_5 Depth=1
	ds_read2_b32 v[8:9], v1 offset1:4
	s_waitcnt lgkmcnt(0)
	v_cmp_lt_f32_e32 vcc, v8, v9
	v_cndmask_b32_e32 v4, v8, v9, vcc
	ds_write_b32 v1, v4
.LBB41_130:                             ;   in Loop: Header=BB41_5 Depth=1
	s_or_b64 exec, exec, s[16:17]
	s_waitcnt lgkmcnt(0)
	s_barrier
	s_and_saveexec_b64 s[16:17], s[10:11]
	s_cbranch_execz .LBB41_132
; %bb.131:                              ;   in Loop: Header=BB41_5 Depth=1
	ds_read2_b32 v[8:9], v1 offset1:2
	s_waitcnt lgkmcnt(0)
	v_cmp_lt_f32_e32 vcc, v8, v9
	v_cndmask_b32_e32 v4, v8, v9, vcc
	ds_write_b32 v1, v4
.LBB41_132:                             ;   in Loop: Header=BB41_5 Depth=1
	s_or_b64 exec, exec, s[16:17]
	s_waitcnt lgkmcnt(0)
	s_barrier
	s_and_saveexec_b64 s[16:17], s[12:13]
	s_cbranch_execz .LBB41_134
; %bb.133:                              ;   in Loop: Header=BB41_5 Depth=1
	ds_read_b64 v[8:9], v36
	s_waitcnt lgkmcnt(0)
	v_cmp_lt_f32_e32 vcc, v8, v9
	v_cndmask_b32_e32 v4, v8, v9, vcc
	ds_write_b32 v36, v4
.LBB41_134:                             ;   in Loop: Header=BB41_5 Depth=1
	s_or_b64 exec, exec, s[16:17]
	v_readlane_b32 s0, v44, 4
	v_readlane_b32 s1, v44, 5
	s_waitcnt lgkmcnt(0)
	s_barrier
	ds_read_b32 v4, v36
	s_load_dword s16, s[0:1], 0x0
	s_waitcnt lgkmcnt(0)
	v_div_scale_f32 v6, s[0:1], s16, s16, v4
	v_rcp_f32_e32 v8, v6
	v_div_scale_f32 v9, vcc, v4, s16, v4
	v_fma_f32 v10, -v6, v8, 1.0
	v_fmac_f32_e32 v8, v10, v8
	v_mul_f32_e32 v10, v9, v8
	v_fma_f32 v11, -v6, v10, v9
	v_fmac_f32_e32 v10, v11, v8
	v_fma_f32 v6, -v6, v10, v9
	v_div_fmas_f32 v6, v6, v8, v10
	v_div_fixup_f32 v4, v6, s16, v4
	s_andn2_b64 vcc, exec, s[22:23]
	s_cbranch_vccnz .LBB41_123
.LBB41_135:                             ;   in Loop: Header=BB41_5 Depth=1
	v_mov_b32_dpp v6, v2 row_shr:1 row_mask:0xf bank_mask:0xf
	v_cmp_lt_f32_e32 vcc, v2, v6
	v_cndmask_b32_e32 v2, v2, v6, vcc
	s_nop 1
	v_mov_b32_dpp v6, v2 row_shr:2 row_mask:0xf bank_mask:0xf
	v_cmp_lt_f32_e32 vcc, v2, v6
	v_cndmask_b32_e32 v2, v2, v6, vcc
	s_nop 1
	;; [unrolled: 4-line block ×4, first 2 shown]
	v_mov_b32_dpp v6, v2 row_bcast:15 row_mask:0xa bank_mask:0xf
	v_cmp_lt_f32_e32 vcc, v2, v6
	v_cndmask_b32_e32 v2, v2, v6, vcc
	s_nop 1
	v_mov_b32_dpp v6, v2 row_bcast:31 row_mask:0xc bank_mask:0xf
	s_and_saveexec_b64 s[16:17], s[2:3]
	s_cbranch_execz .LBB41_137
; %bb.136:                              ;   in Loop: Header=BB41_5 Depth=1
	v_cmp_lt_f32_e32 vcc, v2, v6
	v_cndmask_b32_e32 v2, v2, v6, vcc
	ds_write_b32 v32, v2
.LBB41_137:                             ;   in Loop: Header=BB41_5 Depth=1
	s_or_b64 exec, exec, s[16:17]
	s_waitcnt lgkmcnt(0)
	s_barrier
	s_and_saveexec_b64 s[16:17], s[6:7]
	s_cbranch_execz .LBB41_139
; %bb.138:                              ;   in Loop: Header=BB41_5 Depth=1
	ds_read2_b32 v[8:9], v1 offset1:8
	s_waitcnt lgkmcnt(0)
	v_cmp_lt_f32_e32 vcc, v8, v9
	v_cndmask_b32_e32 v2, v8, v9, vcc
	ds_write_b32 v1, v2
.LBB41_139:                             ;   in Loop: Header=BB41_5 Depth=1
	s_or_b64 exec, exec, s[16:17]
	s_waitcnt lgkmcnt(0)
	s_barrier
	s_and_saveexec_b64 s[16:17], s[8:9]
	s_cbranch_execz .LBB41_141
; %bb.140:                              ;   in Loop: Header=BB41_5 Depth=1
	ds_read2_b32 v[8:9], v1 offset1:4
	s_waitcnt lgkmcnt(0)
	v_cmp_lt_f32_e32 vcc, v8, v9
	v_cndmask_b32_e32 v2, v8, v9, vcc
	ds_write_b32 v1, v2
.LBB41_141:                             ;   in Loop: Header=BB41_5 Depth=1
	;; [unrolled: 12-line block ×3, first 2 shown]
	s_or_b64 exec, exec, s[16:17]
	s_waitcnt lgkmcnt(0)
	s_barrier
	s_and_saveexec_b64 s[16:17], s[12:13]
	s_cbranch_execz .LBB41_145
; %bb.144:                              ;   in Loop: Header=BB41_5 Depth=1
	ds_read_b64 v[8:9], v36
	s_waitcnt lgkmcnt(0)
	v_cmp_lt_f32_e32 vcc, v8, v9
	v_cndmask_b32_e32 v2, v8, v9, vcc
	ds_write_b32 v36, v2
.LBB41_145:                             ;   in Loop: Header=BB41_5 Depth=1
	s_or_b64 exec, exec, s[16:17]
	v_readlane_b32 s0, v44, 4
	v_readlane_b32 s1, v44, 5
	s_waitcnt lgkmcnt(0)
	s_barrier
	ds_read_b32 v2, v36
	s_load_dword s16, s[0:1], 0x0
	s_waitcnt lgkmcnt(0)
	v_div_scale_f32 v6, s[0:1], s16, s16, v2
	v_rcp_f32_e32 v8, v6
	v_div_scale_f32 v9, vcc, v2, s16, v2
	v_fma_f32 v10, -v6, v8, 1.0
	v_fmac_f32_e32 v8, v10, v8
	v_mul_f32_e32 v10, v9, v8
	v_fma_f32 v11, -v6, v10, v9
	v_fmac_f32_e32 v10, v11, v8
	v_fma_f32 v6, -v6, v10, v9
	v_div_fmas_f32 v6, v6, v8, v10
	v_div_fixup_f32 v2, v6, s16, v2
	s_and_saveexec_b64 s[16:17], s[4:5]
	s_cbranch_execz .LBB41_157
.LBB41_146:                             ;   in Loop: Header=BB41_5 Depth=1
	s_mov_b64 s[18:19], 0
	v_mov_b32_e32 v8, v30
	s_branch .LBB41_148
.LBB41_147:                             ;   in Loop: Header=BB41_148 Depth=2
	s_or_b64 exec, exec, s[20:21]
	v_add_u32_e32 v8, 16, v8
	v_cmp_le_u32_e32 vcc, s71, v8
	s_or_b64 s[18:19], vcc, s[18:19]
	s_andn2_b64 exec, exec, s[18:19]
	s_cbranch_execz .LBB41_157
.LBB41_148:                             ;   Parent Loop BB41_5 Depth=1
                                        ; =>  This Loop Header: Depth=2
                                        ;       Child Loop BB41_151 Depth 3
                                        ;       Child Loop BB41_154 Depth 3
	v_cmp_gt_i32_e32 vcc, s65, v8
	s_and_saveexec_b64 s[20:21], vcc
	s_cbranch_execz .LBB41_147
; %bb.149:                              ;   in Loop: Header=BB41_148 Depth=2
	v_ashrrev_i32_e32 v9, 31, v8
	v_lshlrev_b64 v[10:11], 2, v[8:9]
	v_mov_b32_e32 v6, s37
	v_add_co_u32_e32 v12, vcc, s36, v10
	v_addc_co_u32_e32 v13, vcc, v6, v11, vcc
	global_load_dword v6, v[12:13], off
	v_mov_b32_e32 v13, s39
	v_add_co_u32_e32 v12, vcc, s38, v10
	v_addc_co_u32_e32 v13, vcc, v13, v11, vcc
	global_load_dword v13, v[12:13], off
	s_waitcnt vmcnt(1)
	v_add_u32_e32 v12, v33, v6
	s_waitcnt vmcnt(0)
	v_subrev_u32_e32 v6, s62, v13
	v_cmp_lt_i32_e32 vcc, v12, v6
	s_and_saveexec_b64 s[52:53], vcc
	s_cbranch_execz .LBB41_152
; %bb.150:                              ;   in Loop: Header=BB41_148 Depth=2
	v_ashrrev_i32_e32 v13, 31, v12
	v_lshlrev_b64 v[16:17], 3, v[12:13]
	v_mov_b32_e32 v13, s75
	v_add_co_u32_e32 v14, vcc, s74, v16
	v_addc_co_u32_e32 v15, vcc, v13, v17, vcc
	v_mov_b32_e32 v13, s43
	v_add_co_u32_e32 v16, vcc, s42, v16
	v_addc_co_u32_e32 v17, vcc, v13, v17, vcc
	s_mov_b64 s[54:55], 0
.LBB41_151:                             ;   Parent Loop BB41_5 Depth=1
                                        ;     Parent Loop BB41_148 Depth=2
                                        ; =>    This Inner Loop Header: Depth=3
	global_load_dwordx2 v[18:19], v[14:15], off
	v_add_co_u32_e32 v14, vcc, 0x200, v14
	v_add_u32_e32 v12, 64, v12
	v_addc_co_u32_e32 v15, vcc, 0, v15, vcc
	v_cmp_ge_i32_e32 vcc, v12, v6
	s_or_b64 s[54:55], vcc, s[54:55]
	s_waitcnt vmcnt(0)
	global_store_dwordx2 v[16:17], v[18:19], off
	v_add_co_u32_e32 v16, vcc, 0x200, v16
	v_addc_co_u32_e32 v17, vcc, 0, v17, vcc
	s_andn2_b64 exec, exec, s[54:55]
	s_cbranch_execnz .LBB41_151
.LBB41_152:                             ;   in Loop: Header=BB41_148 Depth=2
	s_or_b64 exec, exec, s[52:53]
	v_mov_b32_e32 v6, s25
	v_add_co_u32_e32 v12, vcc, s24, v10
	v_addc_co_u32_e32 v13, vcc, v6, v11, vcc
	global_load_dword v6, v[12:13], off
	v_mov_b32_e32 v12, s27
	v_add_co_u32_e32 v10, vcc, s26, v10
	v_addc_co_u32_e32 v11, vcc, v12, v11, vcc
	global_load_dword v11, v[10:11], off
	s_waitcnt vmcnt(1)
	v_add_u32_e32 v10, v34, v6
	s_waitcnt vmcnt(0)
	v_subrev_u32_e32 v6, s70, v11
	v_cmp_lt_i32_e32 vcc, v10, v6
	s_and_saveexec_b64 s[52:53], vcc
	s_cbranch_execz .LBB41_155
; %bb.153:                              ;   in Loop: Header=BB41_148 Depth=2
	v_ashrrev_i32_e32 v11, 31, v10
	v_lshlrev_b64 v[14:15], 3, v[10:11]
	v_mov_b32_e32 v11, s77
	v_add_co_u32_e32 v12, vcc, s76, v14
	v_addc_co_u32_e32 v13, vcc, v11, v15, vcc
	v_mov_b32_e32 v11, s31
	v_add_co_u32_e32 v14, vcc, s30, v14
	v_addc_co_u32_e32 v15, vcc, v11, v15, vcc
	s_mov_b64 s[54:55], 0
.LBB41_154:                             ;   Parent Loop BB41_5 Depth=1
                                        ;     Parent Loop BB41_148 Depth=2
                                        ; =>    This Inner Loop Header: Depth=3
	global_load_dwordx2 v[16:17], v[12:13], off
	v_add_co_u32_e32 v12, vcc, 0x200, v12
	v_add_u32_e32 v10, 64, v10
	v_addc_co_u32_e32 v13, vcc, 0, v13, vcc
	v_cmp_ge_i32_e32 vcc, v10, v6
	s_or_b64 s[54:55], vcc, s[54:55]
	s_waitcnt vmcnt(0)
	global_store_dwordx2 v[14:15], v[16:17], off
	v_add_co_u32_e32 v14, vcc, 0x200, v14
	v_addc_co_u32_e32 v15, vcc, 0, v15, vcc
	s_andn2_b64 exec, exec, s[54:55]
	s_cbranch_execnz .LBB41_154
.LBB41_155:                             ;   in Loop: Header=BB41_148 Depth=2
	s_or_b64 exec, exec, s[52:53]
	s_and_b64 exec, exec, s[14:15]
	s_cbranch_execz .LBB41_147
; %bb.156:                              ;   in Loop: Header=BB41_148 Depth=2
	v_lshlrev_b64 v[10:11], 3, v[8:9]
	v_mov_b32_e32 v6, s59
	v_add_co_u32_e32 v12, vcc, s58, v10
	v_addc_co_u32_e32 v13, vcc, v6, v11, vcc
	global_load_dwordx2 v[12:13], v[12:13], off
	v_mov_b32_e32 v6, s57
	v_add_co_u32_e32 v10, vcc, s56, v10
	v_addc_co_u32_e32 v11, vcc, v6, v11, vcc
	s_waitcnt vmcnt(0)
	global_store_dwordx2 v[10:11], v[12:13], off
	s_branch .LBB41_147
.LBB41_157:                             ;   in Loop: Header=BB41_5 Depth=1
	s_or_b64 exec, exec, s[16:17]
	s_mov_b64 s[18:19], -1
	s_mov_b64 s[16:17], -1
	s_and_b64 vcc, exec, s[60:61]
	s_cbranch_vccz .LBB41_167
; %bb.158:                              ;   in Loop: Header=BB41_5 Depth=1
	v_readlane_b32 s0, v44, 10
	v_readlane_b32 s1, v44, 11
	s_and_b64 vcc, exec, s[0:1]
                                        ; implicit-def: $sgpr20_sgpr21
	s_cbranch_vccz .LBB41_164
; %bb.159:                              ;   in Loop: Header=BB41_5 Depth=1
	v_readlane_b32 s0, v44, 6
	v_readlane_b32 s1, v44, 7
	s_and_b64 vcc, exec, s[0:1]
                                        ; implicit-def: $sgpr20_sgpr21
	s_cbranch_vccz .LBB41_161
; %bb.160:                              ;   in Loop: Header=BB41_5 Depth=1
	v_cmp_ge_f32_e32 vcc, s64, v2
	s_mov_b64 s[16:17], 0
	s_and_b64 s[20:21], vcc, exec
.LBB41_161:                             ;   in Loop: Header=BB41_5 Depth=1
	s_andn2_b64 vcc, exec, s[16:17]
	s_cbranch_vccnz .LBB41_163
; %bb.162:                              ;   in Loop: Header=BB41_5 Depth=1
	v_cmp_ge_f32_e32 vcc, s64, v4
	s_andn2_b64 s[0:1], s[20:21], exec
	s_and_b64 s[16:17], vcc, exec
	s_or_b64 s[20:21], s[0:1], s[16:17]
.LBB41_163:                             ;   in Loop: Header=BB41_5 Depth=1
	s_mov_b64 s[16:17], 0
.LBB41_164:                             ;   in Loop: Header=BB41_5 Depth=1
	s_andn2_b64 vcc, exec, s[16:17]
	s_cbranch_vccnz .LBB41_166
; %bb.165:                              ;   in Loop: Header=BB41_5 Depth=1
	v_cmp_ge_f32_e32 vcc, s64, v4
	v_cmp_ge_f32_e64 s[16:17], s64, v2
	s_and_b64 s[0:1], vcc, s[16:17]
	s_andn2_b64 s[16:17], s[20:21], exec
	s_and_b64 s[0:1], s[0:1], exec
	s_or_b64 s[20:21], s[16:17], s[0:1]
.LBB41_166:                             ;   in Loop: Header=BB41_5 Depth=1
	s_xor_b64 s[16:17], s[20:21], -1
.LBB41_167:                             ;   in Loop: Header=BB41_5 Depth=1
	v_mov_b32_e32 v6, s63
	s_and_saveexec_b64 s[20:21], s[16:17]
	s_cbranch_execz .LBB41_4
; %bb.168:                              ;   in Loop: Header=BB41_5 Depth=1
	v_readlane_b32 s0, v44, 0
	s_add_i32 s63, s63, 1
	v_readlane_b32 s1, v44, 1
	s_cmp_eq_u32 s63, s1
	s_mov_b32 s17, s1
	s_cselect_b64 s[0:1], -1, 0
	v_mov_b32_e32 v6, s17
	s_orn2_b64 s[18:19], s[0:1], exec
	s_branch .LBB41_4
.LBB41_169:
	s_or_b64 exec, exec, s[80:81]
	v_readlane_b32 s4, v44, 8
	v_readlane_b32 s5, v44, 9
	s_load_dwordx4 s[24:27], s[4:5], 0xb8
	v_readlane_b32 s2, v44, 2
	v_readlane_b32 s3, v44, 3
	s_or_b64 exec, exec, s[2:3]
	s_andn2_b64 vcc, exec, s[60:61]
	s_cbranch_vccnz .LBB41_2
.LBB41_170:
	v_mov_b32_dpp v7, v6 row_shr:1 row_mask:0xf bank_mask:0xf
	v_max_i32_e32 v6, v6, v7
	v_cmp_eq_u32_e32 vcc, 63, v5
	s_nop 0
	v_mov_b32_dpp v7, v6 row_shr:2 row_mask:0xf bank_mask:0xf
	v_max_i32_e32 v6, v6, v7
	s_nop 1
	v_mov_b32_dpp v7, v6 row_shr:4 row_mask:0xf bank_mask:0xe
	v_max_i32_e32 v6, v6, v7
	;; [unrolled: 3-line block ×3, first 2 shown]
	s_nop 1
	v_mov_b32_dpp v7, v6 row_bcast:15 row_mask:0xa bank_mask:0xf
	v_max_i32_e32 v6, v6, v7
	s_nop 1
	v_mov_b32_dpp v7, v6 row_bcast:31 row_mask:0xc bank_mask:0xf
	s_and_saveexec_b64 s[0:1], vcc
	s_cbranch_execz .LBB41_172
; %bb.171:
	v_lshlrev_b32_e32 v3, 2, v3
	v_max_i32_e32 v5, v6, v7
	ds_write_b32 v3, v5 offset:64
.LBB41_172:
	s_or_b64 exec, exec, s[0:1]
	v_cmp_gt_u32_e32 vcc, 8, v0
	s_waitcnt lgkmcnt(0)
	s_barrier
	s_and_saveexec_b64 s[0:1], vcc
	s_cbranch_execz .LBB41_174
; %bb.173:
	ds_read2_b32 v[6:7], v1 offset0:16 offset1:24
	s_waitcnt lgkmcnt(0)
	v_max_i32_e32 v3, v6, v7
	ds_write_b32 v1, v3 offset:64
.LBB41_174:
	s_or_b64 exec, exec, s[0:1]
	v_cmp_gt_u32_e32 vcc, 4, v0
	s_waitcnt lgkmcnt(0)
	s_barrier
	s_and_saveexec_b64 s[0:1], vcc
	s_cbranch_execz .LBB41_176
; %bb.175:
	ds_read2_b32 v[6:7], v1 offset0:16 offset1:20
	s_waitcnt lgkmcnt(0)
	v_max_i32_e32 v3, v6, v7
	ds_write_b32 v1, v3 offset:64
.LBB41_176:
	;; [unrolled: 12-line block ×3, first 2 shown]
	s_or_b64 exec, exec, s[0:1]
	v_cmp_eq_u32_e32 vcc, 0, v0
	s_waitcnt lgkmcnt(0)
	s_barrier
	s_and_saveexec_b64 s[0:1], vcc
	s_cbranch_execz .LBB41_180
; %bb.179:
	v_mov_b32_e32 v1, 0
	ds_read_b64 v[6:7], v1 offset:64
	s_waitcnt lgkmcnt(0)
	v_max_i32_e32 v3, v6, v7
	ds_write_b32 v1, v3 offset:64
.LBB41_180:
	s_or_b64 exec, exec, s[0:1]
	s_waitcnt lgkmcnt(0)
	s_barrier
	s_and_saveexec_b64 s[0:1], vcc
	s_cbranch_execz .LBB41_183
; %bb.181:
	v_mbcnt_lo_u32_b32 v1, exec_lo, 0
	v_mbcnt_hi_u32_b32 v1, exec_hi, v1
	v_cmp_eq_u32_e32 vcc, 0, v1
	s_and_b64 exec, exec, vcc
	s_cbranch_execz .LBB41_183
; %bb.182:
	v_mov_b32_e32 v1, 0
	ds_read_b32 v3, v1 offset:64
	s_load_dwordx2 s[2:3], s[4:5], 0x8
	s_waitcnt lgkmcnt(0)
	v_add_u32_e32 v3, 1, v3
	global_atomic_smax v1, v3, s[2:3]
.LBB41_183:
	s_or_b64 exec, exec, s[0:1]
	v_cmp_eq_u32_e32 vcc, 0, v0
	s_and_b64 s[0:1], vcc, s[34:35]
	s_and_saveexec_b64 s[4:5], s[0:1]
	s_cbranch_execz .LBB41_188
.LBB41_184:
	v_mov_b32_e32 v0, 0
	s_waitcnt lgkmcnt(0)
	global_load_dword v5, v0, s[24:25] glc
	s_brev_b32 s2, 1
	v_cmp_eq_f32_e64 s[0:1], 0, v4
	s_mov_b64 s[6:7], 0
                                        ; implicit-def: $sgpr8_sgpr9
                                        ; implicit-def: $sgpr12_sgpr13
	s_waitcnt vmcnt(0)
	v_cmp_eq_u32_e64 s[10:11], s2, v5
	s_branch .LBB41_186
.LBB41_185:                             ;   in Loop: Header=BB41_186 Depth=1
	s_or_b64 exec, exec, s[14:15]
	s_and_b64 s[2:3], exec, s[8:9]
	s_or_b64 s[6:7], s[2:3], s[6:7]
	s_andn2_b64 s[2:3], s[10:11], exec
	s_and_b64 s[10:11], s[12:13], exec
	s_or_b64 s[10:11], s[2:3], s[10:11]
	s_andn2_b64 exec, exec, s[6:7]
	s_cbranch_execz .LBB41_188
.LBB41_186:                             ; =>This Inner Loop Header: Depth=1
	v_cmp_lt_f32_e64 s[2:3], v5, v4
	s_and_b64 s[14:15], s[0:1], s[10:11]
	s_or_b64 s[2:3], s[2:3], s[14:15]
	s_andn2_b64 s[12:13], s[12:13], exec
	s_or_b64 s[8:9], s[8:9], exec
	s_and_saveexec_b64 s[14:15], s[2:3]
	s_cbranch_execz .LBB41_185
; %bb.187:                              ;   in Loop: Header=BB41_186 Depth=1
	global_atomic_cmpswap v1, v0, v[4:5], s[24:25] glc
	s_andn2_b64 s[12:13], s[12:13], exec
	s_andn2_b64 s[8:9], s[8:9], exec
                                        ; implicit-def: $sgpr10_sgpr11
	s_waitcnt vmcnt(0)
	v_cmp_eq_u32_e64 s[2:3], v1, v5
	v_cndmask_b32_e64 v3, v1, v5, s[2:3]
	v_cmp_class_f32_e64 s[16:17], v3, 32
	s_and_b64 s[2:3], s[2:3], exec
	s_and_b64 s[16:17], s[16:17], exec
	s_or_b64 s[8:9], s[8:9], s[2:3]
	s_or_b64 s[12:13], s[12:13], s[16:17]
	v_mov_b32_e32 v5, v1
	s_branch .LBB41_185
.LBB41_188:
	s_or_b64 exec, exec, s[4:5]
	s_and_b64 s[0:1], vcc, s[22:23]
	s_and_saveexec_b64 s[2:3], s[0:1]
	s_cbranch_execz .LBB41_193
; %bb.189:
	v_mov_b32_e32 v0, 0
	s_waitcnt lgkmcnt(0)
	global_load_dword v3, v0, s[26:27] glc
	s_brev_b32 s0, 1
	v_cmp_eq_f32_e32 vcc, 0, v2
	s_mov_b64 s[2:3], 0
                                        ; implicit-def: $sgpr4_sgpr5
                                        ; implicit-def: $sgpr8_sgpr9
	s_waitcnt vmcnt(0)
	v_cmp_eq_u32_e64 s[6:7], s0, v3
	s_branch .LBB41_191
.LBB41_190:                             ;   in Loop: Header=BB41_191 Depth=1
	s_or_b64 exec, exec, s[10:11]
	s_and_b64 s[0:1], exec, s[4:5]
	s_or_b64 s[2:3], s[0:1], s[2:3]
	s_andn2_b64 s[0:1], s[6:7], exec
	s_and_b64 s[6:7], s[8:9], exec
	s_or_b64 s[6:7], s[0:1], s[6:7]
	s_andn2_b64 exec, exec, s[2:3]
	s_cbranch_execz .LBB41_193
.LBB41_191:                             ; =>This Inner Loop Header: Depth=1
	v_cmp_lt_f32_e64 s[0:1], v3, v2
	s_and_b64 s[10:11], vcc, s[6:7]
	s_or_b64 s[0:1], s[0:1], s[10:11]
	s_andn2_b64 s[8:9], s[8:9], exec
	s_or_b64 s[4:5], s[4:5], exec
	s_and_saveexec_b64 s[10:11], s[0:1]
	s_cbranch_execz .LBB41_190
; %bb.192:                              ;   in Loop: Header=BB41_191 Depth=1
	global_atomic_cmpswap v1, v0, v[2:3], s[26:27] glc
	s_andn2_b64 s[8:9], s[8:9], exec
	s_andn2_b64 s[4:5], s[4:5], exec
                                        ; implicit-def: $sgpr6_sgpr7
	s_waitcnt vmcnt(0)
	v_cmp_eq_u32_e64 s[0:1], v1, v3
	v_cndmask_b32_e64 v3, v1, v3, s[0:1]
	v_cmp_class_f32_e64 s[12:13], v3, 32
	s_and_b64 s[0:1], s[0:1], exec
	s_and_b64 s[12:13], s[12:13], exec
	s_or_b64 s[4:5], s[4:5], s[0:1]
	s_or_b64 s[8:9], s[8:9], s[12:13]
	v_mov_b32_e32 v3, v1
	s_branch .LBB41_190
.LBB41_193:
	s_endpgm
	.section	.rodata,"a",@progbits
	.p2align	6, 0x0
	.amdhsa_kernel _ZN9rocsparseL6kernelILi1024ELi64E21rocsparse_complex_numIfEiiEEvbbbT3_PS3_NS_15floating_traitsIT1_E6data_tES3_T2_PKS9_SB_PKS3_PKS6_21rocsparse_index_base_SB_SB_SD_PS6_SH_SG_SB_SB_SD_SH_SH_SG_SH_SH_PS8_SI_PKS8_
		.amdhsa_group_segment_fixed_size 128
		.amdhsa_private_segment_fixed_size 0
		.amdhsa_kernarg_size 208
		.amdhsa_user_sgpr_count 6
		.amdhsa_user_sgpr_private_segment_buffer 1
		.amdhsa_user_sgpr_dispatch_ptr 0
		.amdhsa_user_sgpr_queue_ptr 0
		.amdhsa_user_sgpr_kernarg_segment_ptr 1
		.amdhsa_user_sgpr_dispatch_id 0
		.amdhsa_user_sgpr_flat_scratch_init 0
		.amdhsa_user_sgpr_kernarg_preload_length 0
		.amdhsa_user_sgpr_kernarg_preload_offset 0
		.amdhsa_user_sgpr_private_segment_size 0
		.amdhsa_uses_dynamic_stack 0
		.amdhsa_system_sgpr_private_segment_wavefront_offset 0
		.amdhsa_system_sgpr_workgroup_id_x 1
		.amdhsa_system_sgpr_workgroup_id_y 0
		.amdhsa_system_sgpr_workgroup_id_z 0
		.amdhsa_system_sgpr_workgroup_info 0
		.amdhsa_system_vgpr_workitem_id 0
		.amdhsa_next_free_vgpr 45
		.amdhsa_next_free_sgpr 96
		.amdhsa_accum_offset 48
		.amdhsa_reserve_vcc 1
		.amdhsa_reserve_flat_scratch 0
		.amdhsa_float_round_mode_32 0
		.amdhsa_float_round_mode_16_64 0
		.amdhsa_float_denorm_mode_32 3
		.amdhsa_float_denorm_mode_16_64 3
		.amdhsa_dx10_clamp 1
		.amdhsa_ieee_mode 1
		.amdhsa_fp16_overflow 0
		.amdhsa_tg_split 0
		.amdhsa_exception_fp_ieee_invalid_op 0
		.amdhsa_exception_fp_denorm_src 0
		.amdhsa_exception_fp_ieee_div_zero 0
		.amdhsa_exception_fp_ieee_overflow 0
		.amdhsa_exception_fp_ieee_underflow 0
		.amdhsa_exception_fp_ieee_inexact 0
		.amdhsa_exception_int_div_zero 0
	.end_amdhsa_kernel
	.section	.text._ZN9rocsparseL6kernelILi1024ELi64E21rocsparse_complex_numIfEiiEEvbbbT3_PS3_NS_15floating_traitsIT1_E6data_tES3_T2_PKS9_SB_PKS3_PKS6_21rocsparse_index_base_SB_SB_SD_PS6_SH_SG_SB_SB_SD_SH_SH_SG_SH_SH_PS8_SI_PKS8_,"axG",@progbits,_ZN9rocsparseL6kernelILi1024ELi64E21rocsparse_complex_numIfEiiEEvbbbT3_PS3_NS_15floating_traitsIT1_E6data_tES3_T2_PKS9_SB_PKS3_PKS6_21rocsparse_index_base_SB_SB_SD_PS6_SH_SG_SB_SB_SD_SH_SH_SG_SH_SH_PS8_SI_PKS8_,comdat
.Lfunc_end41:
	.size	_ZN9rocsparseL6kernelILi1024ELi64E21rocsparse_complex_numIfEiiEEvbbbT3_PS3_NS_15floating_traitsIT1_E6data_tES3_T2_PKS9_SB_PKS3_PKS6_21rocsparse_index_base_SB_SB_SD_PS6_SH_SG_SB_SB_SD_SH_SH_SG_SH_SH_PS8_SI_PKS8_, .Lfunc_end41-_ZN9rocsparseL6kernelILi1024ELi64E21rocsparse_complex_numIfEiiEEvbbbT3_PS3_NS_15floating_traitsIT1_E6data_tES3_T2_PKS9_SB_PKS3_PKS6_21rocsparse_index_base_SB_SB_SD_PS6_SH_SG_SB_SB_SD_SH_SH_SG_SH_SH_PS8_SI_PKS8_
                                        ; -- End function
	.section	.AMDGPU.csdata,"",@progbits
; Kernel info:
; codeLenInByte = 8020
; NumSgprs: 100
; NumVgprs: 45
; NumAgprs: 0
; TotalNumVgprs: 45
; ScratchSize: 0
; MemoryBound: 0
; FloatMode: 240
; IeeeMode: 1
; LDSByteSize: 128 bytes/workgroup (compile time only)
; SGPRBlocks: 12
; VGPRBlocks: 5
; NumSGPRsForWavesPerEU: 100
; NumVGPRsForWavesPerEU: 45
; AccumOffset: 48
; Occupancy: 8
; WaveLimiterHint : 1
; COMPUTE_PGM_RSRC2:SCRATCH_EN: 0
; COMPUTE_PGM_RSRC2:USER_SGPR: 6
; COMPUTE_PGM_RSRC2:TRAP_HANDLER: 0
; COMPUTE_PGM_RSRC2:TGID_X_EN: 1
; COMPUTE_PGM_RSRC2:TGID_Y_EN: 0
; COMPUTE_PGM_RSRC2:TGID_Z_EN: 0
; COMPUTE_PGM_RSRC2:TIDIG_COMP_CNT: 0
; COMPUTE_PGM_RSRC3_GFX90A:ACCUM_OFFSET: 11
; COMPUTE_PGM_RSRC3_GFX90A:TG_SPLIT: 0
	.section	.text._ZN9rocsparseL14kernel_freerunILi1024ELi1E21rocsparse_complex_numIdEiiEEvT3_S3_T2_PKS4_S6_PKS3_PKT1_21rocsparse_index_base_S6_S6_S8_PS9_SD_SC_S6_S6_S8_SD_SD_SC_SD_SD_,"axG",@progbits,_ZN9rocsparseL14kernel_freerunILi1024ELi1E21rocsparse_complex_numIdEiiEEvT3_S3_T2_PKS4_S6_PKS3_PKT1_21rocsparse_index_base_S6_S6_S8_PS9_SD_SC_S6_S6_S8_SD_SD_SC_SD_SD_,comdat
	.globl	_ZN9rocsparseL14kernel_freerunILi1024ELi1E21rocsparse_complex_numIdEiiEEvT3_S3_T2_PKS4_S6_PKS3_PKT1_21rocsparse_index_base_S6_S6_S8_PS9_SD_SC_S6_S6_S8_SD_SD_SC_SD_SD_ ; -- Begin function _ZN9rocsparseL14kernel_freerunILi1024ELi1E21rocsparse_complex_numIdEiiEEvT3_S3_T2_PKS4_S6_PKS3_PKT1_21rocsparse_index_base_S6_S6_S8_PS9_SD_SC_S6_S6_S8_SD_SD_SC_SD_SD_
	.p2align	8
	.type	_ZN9rocsparseL14kernel_freerunILi1024ELi1E21rocsparse_complex_numIdEiiEEvT3_S3_T2_PKS4_S6_PKS3_PKT1_21rocsparse_index_base_S6_S6_S8_PS9_SD_SC_S6_S6_S8_SD_SD_SC_SD_SD_,@function
_ZN9rocsparseL14kernel_freerunILi1024ELi1E21rocsparse_complex_numIdEiiEEvT3_S3_T2_PKS4_S6_PKS3_PKT1_21rocsparse_index_base_S6_S6_S8_PS9_SD_SC_S6_S6_S8_SD_SD_SC_SD_SD_: ; @_ZN9rocsparseL14kernel_freerunILi1024ELi1E21rocsparse_complex_numIdEiiEEvT3_S3_T2_PKS4_S6_PKS3_PKT1_21rocsparse_index_base_S6_S6_S8_PS9_SD_SC_S6_S6_S8_SD_SD_SC_SD_SD_
; %bb.0:
	s_load_dwordx2 s[34:35], s[4:5], 0x0
	s_lshl_b32 s67, s6, 10
	v_or_b32_e32 v8, s67, v0
	s_mov_b32 s33, 0
	s_waitcnt lgkmcnt(0)
	s_cmp_gt_i32 s34, 0
	v_cmp_gt_i32_e32 vcc, s35, v8
	s_cselect_b64 s[0:1], -1, 0
	s_and_b64 s[0:1], vcc, s[0:1]
	s_and_saveexec_b64 s[2:3], s[0:1]
	s_cbranch_execz .LBB42_68
; %bb.1:
	s_load_dwordx8 s[8:15], s[4:5], 0x38
	s_load_dwordx8 s[16:23], s[4:5], 0x10
	v_ashrrev_i32_e32 v9, 31, v8
	v_lshlrev_b64 v[0:1], 2, v[8:9]
	s_addk_i32 s67, 0x400
	s_waitcnt lgkmcnt(0)
	v_mov_b32_e32 v3, s11
	v_add_co_u32_e32 v2, vcc, s10, v0
	v_addc_co_u32_e32 v3, vcc, v3, v1, vcc
	global_load_dword v4, v[2:3], off
	v_mov_b32_e32 v3, s9
	v_add_co_u32_e32 v2, vcc, s8, v0
	v_addc_co_u32_e32 v3, vcc, v3, v1, vcc
	global_load_dword v5, v[2:3], off
	;; [unrolled: 4-line block ×4, first 2 shown]
	s_load_dwordx4 s[16:19], s[4:5], 0x98
	s_load_dwordx8 s[24:31], s[4:5], 0x68
	s_load_dword s64, s[4:5], 0x30
	s_load_dwordx2 s[36:37], s[4:5], 0x58
	s_load_dword s65, s[4:5], 0x60
	s_load_dwordx2 s[38:39], s[4:5], 0x88
	s_load_dword s66, s[4:5], 0x90
	v_mov_b32_e32 v6, s13
	s_mov_b32 s40, 0
	v_mov_b32_e32 v7, s15
	s_brev_b32 s41, 8
	v_mov_b32_e32 v9, 0x260
	s_movk_i32 s68, 0x1f8
	v_mov_b32_e32 v11, 0
	v_cmp_gt_u32_e64 s[0:1], s67, v8
	v_mov_b32_e32 v34, 0xffffff80
	s_waitcnt vmcnt(2) lgkmcnt(0)
	v_subrev_u32_e32 v12, s65, v5
	v_ashrrev_i32_e32 v13, 31, v12
	v_sub_u32_e32 v28, v4, v5
	v_cmp_lt_i32_e64 s[4:5], 0, v28
	s_waitcnt vmcnt(1)
	v_subrev_u32_e32 v29, s64, v2
	s_waitcnt vmcnt(0)
	v_subrev_u32_e32 v30, s64, v0
	v_cmp_lt_i32_e64 s[2:3], v2, v0
	v_lshlrev_b64 v[0:1], 2, v[12:13]
	v_lshlrev_b64 v[2:3], 4, v[12:13]
	v_add_co_u32_e32 v13, vcc, s12, v0
	v_addc_co_u32_e32 v31, vcc, v6, v1, vcc
	v_add_co_u32_e32 v32, vcc, s14, v2
	v_addc_co_u32_e32 v33, vcc, v7, v3, vcc
	s_branch .LBB42_3
.LBB42_2:                               ;   in Loop: Header=BB42_3 Depth=1
	s_or_b64 exec, exec, s[6:7]
	s_add_i32 s33, s33, 1
	s_cmp_eq_u32 s33, s34
	s_cbranch_scc1 .LBB42_68
.LBB42_3:                               ; =>This Loop Header: Depth=1
                                        ;     Child Loop BB42_6 Depth 2
                                        ;       Child Loop BB42_10 Depth 3
                                        ;       Child Loop BB42_40 Depth 3
	;; [unrolled: 1-line block ×3, first 2 shown]
                                        ;     Child Loop BB42_61 Depth 2
                                        ;       Child Loop BB42_64 Depth 3
                                        ;       Child Loop BB42_67 Depth 3
	s_and_saveexec_b64 s[42:43], s[2:3]
	s_cbranch_execz .LBB42_57
; %bb.4:                                ;   in Loop: Header=BB42_3 Depth=1
	s_mov_b64 s[44:45], 0
	v_mov_b32_e32 v14, v29
	s_branch .LBB42_6
.LBB42_5:                               ;   in Loop: Header=BB42_6 Depth=2
	s_or_b64 exec, exec, s[46:47]
	v_add_u32_e32 v14, 1, v14
	v_cmp_ge_i32_e32 vcc, v14, v30
	s_or_b64 s[44:45], vcc, s[44:45]
	s_andn2_b64 exec, exec, s[44:45]
	s_cbranch_execz .LBB42_57
.LBB42_6:                               ;   Parent Loop BB42_3 Depth=1
                                        ; =>  This Loop Header: Depth=2
                                        ;       Child Loop BB42_10 Depth 3
                                        ;       Child Loop BB42_40 Depth 3
	;; [unrolled: 1-line block ×3, first 2 shown]
	v_ashrrev_i32_e32 v15, 31, v14
	v_lshlrev_b64 v[0:1], 2, v[14:15]
	v_mov_b32_e32 v2, s21
	v_add_co_u32_e32 v0, vcc, s20, v0
	v_addc_co_u32_e32 v1, vcc, v2, v1, vcc
	global_load_dword v0, v[0:1], off
	v_mov_b32_e32 v3, s25
	v_mov_b32_e32 v4, s27
	v_mov_b32_e32 v10, 0
	v_mov_b32_e32 v20, 0
	s_waitcnt vmcnt(0)
	v_subrev_u32_e32 v16, s64, v0
	v_ashrrev_i32_e32 v17, 31, v16
	v_lshlrev_b64 v[0:1], 2, v[16:17]
	v_add_co_u32_e32 v2, vcc, s24, v0
	v_addc_co_u32_e32 v3, vcc, v3, v1, vcc
	v_add_co_u32_e32 v0, vcc, s26, v0
	v_addc_co_u32_e32 v1, vcc, v4, v1, vcc
	global_load_dword v4, v[2:3], off
	global_load_dword v5, v[0:1], off
	v_pk_mov_b32 v[0:1], 0, 0
	v_pk_mov_b32 v[2:3], v[0:1], v[0:1] op_sel:[0,1]
	s_waitcnt vmcnt(1)
	v_subrev_u32_e32 v18, s66, v4
	s_waitcnt vmcnt(0)
	v_sub_u32_e32 v35, v5, v4
	s_and_saveexec_b64 s[6:7], s[4:5]
	s_cbranch_execz .LBB42_14
; %bb.7:                                ;   in Loop: Header=BB42_6 Depth=2
	v_ashrrev_i32_e32 v19, 31, v18
	v_lshlrev_b64 v[0:1], 2, v[18:19]
	v_mov_b32_e32 v2, s29
	v_add_co_u32_e32 v4, vcc, s28, v0
	v_addc_co_u32_e32 v5, vcc, v2, v1, vcc
	v_lshlrev_b64 v[0:1], 4, v[18:19]
	v_mov_b32_e32 v2, s31
	v_add_co_u32_e32 v6, vcc, s30, v0
	v_addc_co_u32_e32 v7, vcc, v2, v1, vcc
	v_mov_b32_e32 v20, 0
	v_pk_mov_b32 v[0:1], 0, 0
	s_mov_b64 s[46:47], 0
	v_mov_b32_e32 v10, v20
	v_pk_mov_b32 v[2:3], v[0:1], v[0:1] op_sel:[0,1]
                                        ; implicit-def: $sgpr48_sgpr49
	s_branch .LBB42_10
.LBB42_8:                               ;   in Loop: Header=BB42_10 Depth=3
	s_or_b64 exec, exec, s[52:53]
	v_cmp_le_i32_e32 vcc, v19, v22
	v_addc_co_u32_e32 v10, vcc, 0, v10, vcc
	v_cmp_ge_i32_e32 vcc, v19, v22
	v_addc_co_u32_e32 v20, vcc, 0, v20, vcc
	v_cmp_ge_i32_e32 vcc, v10, v28
	s_andn2_b64 s[48:49], s[48:49], exec
	s_and_b64 s[52:53], vcc, exec
	s_or_b64 s[48:49], s[48:49], s[52:53]
.LBB42_9:                               ;   in Loop: Header=BB42_10 Depth=3
	s_or_b64 exec, exec, s[50:51]
	s_and_b64 s[50:51], exec, s[48:49]
	s_or_b64 s[46:47], s[50:51], s[46:47]
	s_andn2_b64 exec, exec, s[46:47]
	s_cbranch_execz .LBB42_13
.LBB42_10:                              ;   Parent Loop BB42_3 Depth=1
                                        ;     Parent Loop BB42_6 Depth=2
                                        ; =>    This Inner Loop Header: Depth=3
	v_cmp_lt_i32_e32 vcc, v20, v35
	s_or_b64 s[48:49], s[48:49], exec
	s_and_saveexec_b64 s[50:51], vcc
	s_cbranch_execz .LBB42_9
; %bb.11:                               ;   in Loop: Header=BB42_10 Depth=3
	v_lshlrev_b64 v[22:23], 2, v[10:11]
	v_add_co_u32_e32 v22, vcc, v13, v22
	v_addc_co_u32_e32 v23, vcc, v31, v23, vcc
	v_mov_b32_e32 v21, v11
	global_load_dword v19, v[22:23], off
	v_lshlrev_b64 v[22:23], 2, v[20:21]
	v_add_co_u32_e32 v22, vcc, v4, v22
	v_addc_co_u32_e32 v23, vcc, v5, v23, vcc
	global_load_dword v22, v[22:23], off
	s_waitcnt vmcnt(1)
	v_subrev_u32_e32 v19, s65, v19
	s_waitcnt vmcnt(0)
	v_subrev_u32_e32 v22, s66, v22
	v_cmp_eq_u32_e32 vcc, v19, v22
	s_and_saveexec_b64 s[52:53], vcc
	s_cbranch_execz .LBB42_8
; %bb.12:                               ;   in Loop: Header=BB42_10 Depth=3
	v_lshlrev_b64 v[24:25], 4, v[10:11]
	v_add_co_u32_e32 v24, vcc, v32, v24
	v_addc_co_u32_e32 v25, vcc, v33, v25, vcc
	v_lshlrev_b64 v[36:37], 4, v[20:21]
	v_add_co_u32_e32 v36, vcc, v6, v36
	v_addc_co_u32_e32 v37, vcc, v7, v37, vcc
	global_load_dwordx4 v[24:27], v[24:25], off
	s_nop 0
	global_load_dwordx4 v[36:39], v[36:37], off
	s_waitcnt vmcnt(0)
	v_fmac_f64_e32 v[0:1], v[24:25], v[36:37]
	v_fmac_f64_e32 v[2:3], v[26:27], v[36:37]
	v_fma_f64 v[0:1], -v[26:27], v[38:39], v[0:1]
	v_fmac_f64_e32 v[2:3], v[24:25], v[38:39]
	s_branch .LBB42_8
.LBB42_13:                              ;   in Loop: Header=BB42_6 Depth=2
	s_or_b64 exec, exec, s[46:47]
.LBB42_14:                              ;   in Loop: Header=BB42_6 Depth=2
	s_or_b64 exec, exec, s[6:7]
	v_lshlrev_b64 v[4:5], 4, v[14:15]
	v_mov_b32_e32 v6, s23
	v_add_co_u32_e32 v4, vcc, s22, v4
	v_addc_co_u32_e32 v5, vcc, v6, v5, vcc
	global_load_dwordx4 v[4:7], v[4:5], off
	v_cmp_le_i32_e64 s[6:7], v8, v16
	v_cmp_gt_i32_e32 vcc, v8, v16
	s_waitcnt vmcnt(0)
	v_add_f64 v[0:1], v[4:5], -v[0:1]
	v_add_f64 v[2:3], v[6:7], -v[2:3]
	s_and_saveexec_b64 s[46:47], vcc
	s_cbranch_execz .LBB42_24
; %bb.15:                               ;   in Loop: Header=BB42_6 Depth=2
	v_lshlrev_b64 v[4:5], 4, v[16:17]
	v_mov_b32_e32 v6, s17
	v_add_co_u32_e32 v4, vcc, s16, v4
	v_addc_co_u32_e32 v5, vcc, v6, v5, vcc
	global_load_dwordx4 v[4:7], v[4:5], off
                                        ; implicit-def: $vgpr26_vgpr27
	s_waitcnt vmcnt(0)
	v_xor_b32_e32 v15, 0x80000000, v5
	v_cmp_gt_f64_e32 vcc, 0, v[4:5]
	v_xor_b32_e32 v19, 0x80000000, v7
	v_cndmask_b32_e32 v23, v5, v15, vcc
	v_cmp_gt_f64_e32 vcc, 0, v[6:7]
	v_mov_b32_e32 v22, v4
	v_cndmask_b32_e32 v25, v7, v19, vcc
	v_mov_b32_e32 v24, v6
	v_cmp_ngt_f64_e32 vcc, v[22:23], v[24:25]
	s_and_saveexec_b64 s[48:49], vcc
	s_xor_b64 s[48:49], exec, s[48:49]
	s_cbranch_execz .LBB42_19
; %bb.16:                               ;   in Loop: Header=BB42_6 Depth=2
	v_cmp_neq_f64_e32 vcc, 0, v[6:7]
	v_pk_mov_b32 v[26:27], 0, 0
	s_and_saveexec_b64 s[50:51], vcc
	s_cbranch_execz .LBB42_18
; %bb.17:                               ;   in Loop: Header=BB42_6 Depth=2
	v_div_scale_f64 v[26:27], s[52:53], v[24:25], v[24:25], v[22:23]
	v_rcp_f64_e32 v[36:37], v[26:27]
	v_div_scale_f64 v[38:39], vcc, v[22:23], v[24:25], v[22:23]
	v_fma_f64 v[40:41], -v[26:27], v[36:37], 1.0
	v_fmac_f64_e32 v[36:37], v[36:37], v[40:41]
	v_fma_f64 v[40:41], -v[26:27], v[36:37], 1.0
	v_fmac_f64_e32 v[36:37], v[36:37], v[40:41]
	v_mul_f64 v[40:41], v[38:39], v[36:37]
	v_fma_f64 v[26:27], -v[26:27], v[40:41], v[38:39]
	v_div_fmas_f64 v[26:27], v[26:27], v[36:37], v[40:41]
	v_div_fixup_f64 v[22:23], v[26:27], v[24:25], v[22:23]
	v_fma_f64 v[22:23], v[22:23], v[22:23], 1.0
	v_cmp_gt_f64_e32 vcc, s[40:41], v[22:23]
	v_cndmask_b32_e64 v15, 0, 1, vcc
	v_lshlrev_b32_e32 v15, 8, v15
	v_ldexp_f64 v[22:23], v[22:23], v15
	v_rsq_f64_e32 v[26:27], v[22:23]
	v_cndmask_b32_e32 v15, 0, v34, vcc
	v_cmp_class_f64_e32 vcc, v[22:23], v9
	v_mul_f64 v[36:37], v[22:23], v[26:27]
	v_mul_f64 v[26:27], v[26:27], 0.5
	v_fma_f64 v[38:39], -v[26:27], v[36:37], 0.5
	v_fmac_f64_e32 v[36:37], v[36:37], v[38:39]
	v_fma_f64 v[40:41], -v[36:37], v[36:37], v[22:23]
	v_fmac_f64_e32 v[26:27], v[26:27], v[38:39]
	v_fmac_f64_e32 v[36:37], v[40:41], v[26:27]
	v_fma_f64 v[38:39], -v[36:37], v[36:37], v[22:23]
	v_fmac_f64_e32 v[36:37], v[38:39], v[26:27]
	v_ldexp_f64 v[26:27], v[36:37], v15
	v_cndmask_b32_e32 v23, v27, v23, vcc
	v_cndmask_b32_e32 v22, v26, v22, vcc
	v_mul_f64 v[26:27], v[24:25], v[22:23]
.LBB42_18:                              ;   in Loop: Header=BB42_6 Depth=2
	s_or_b64 exec, exec, s[50:51]
                                        ; implicit-def: $vgpr22_vgpr23
                                        ; implicit-def: $vgpr24_vgpr25
.LBB42_19:                              ;   in Loop: Header=BB42_6 Depth=2
	s_andn2_saveexec_b64 s[48:49], s[48:49]
	s_cbranch_execz .LBB42_21
; %bb.20:                               ;   in Loop: Header=BB42_6 Depth=2
	v_div_scale_f64 v[26:27], s[50:51], v[22:23], v[22:23], v[24:25]
	v_rcp_f64_e32 v[36:37], v[26:27]
	v_div_scale_f64 v[38:39], vcc, v[24:25], v[22:23], v[24:25]
	v_fma_f64 v[40:41], -v[26:27], v[36:37], 1.0
	v_fmac_f64_e32 v[36:37], v[36:37], v[40:41]
	v_fma_f64 v[40:41], -v[26:27], v[36:37], 1.0
	v_fmac_f64_e32 v[36:37], v[36:37], v[40:41]
	v_mul_f64 v[40:41], v[38:39], v[36:37]
	v_fma_f64 v[26:27], -v[26:27], v[40:41], v[38:39]
	v_div_fmas_f64 v[26:27], v[26:27], v[36:37], v[40:41]
	v_div_fixup_f64 v[24:25], v[26:27], v[22:23], v[24:25]
	v_fma_f64 v[24:25], v[24:25], v[24:25], 1.0
	v_cmp_gt_f64_e32 vcc, s[40:41], v[24:25]
	v_cndmask_b32_e64 v15, 0, 1, vcc
	v_lshlrev_b32_e32 v15, 8, v15
	v_ldexp_f64 v[24:25], v[24:25], v15
	v_rsq_f64_e32 v[26:27], v[24:25]
	v_cndmask_b32_e32 v15, 0, v34, vcc
	v_cmp_class_f64_e32 vcc, v[24:25], v9
	v_mul_f64 v[36:37], v[24:25], v[26:27]
	v_mul_f64 v[26:27], v[26:27], 0.5
	v_fma_f64 v[38:39], -v[26:27], v[36:37], 0.5
	v_fmac_f64_e32 v[36:37], v[36:37], v[38:39]
	v_fma_f64 v[40:41], -v[36:37], v[36:37], v[24:25]
	v_fmac_f64_e32 v[26:27], v[26:27], v[38:39]
	v_fmac_f64_e32 v[36:37], v[40:41], v[26:27]
	v_fma_f64 v[38:39], -v[36:37], v[36:37], v[24:25]
	v_fmac_f64_e32 v[36:37], v[38:39], v[26:27]
	v_ldexp_f64 v[26:27], v[36:37], v15
	v_cndmask_b32_e32 v25, v27, v25, vcc
	v_cndmask_b32_e32 v24, v26, v24, vcc
	v_mul_f64 v[26:27], v[22:23], v[24:25]
.LBB42_21:                              ;   in Loop: Header=BB42_6 Depth=2
	s_or_b64 exec, exec, s[48:49]
	v_pk_mov_b32 v[22:23], 0, 0
	v_cmp_lt_f64_e32 vcc, 0, v[26:27]
	v_pk_mov_b32 v[24:25], v[22:23], v[22:23] op_sel:[0,1]
	s_and_saveexec_b64 s[48:49], vcc
	s_cbranch_execz .LBB42_23
; %bb.22:                               ;   in Loop: Header=BB42_6 Depth=2
	v_mul_f64 v[22:23], v[6:7], v[6:7]
	v_fmac_f64_e32 v[22:23], v[4:5], v[4:5]
	v_div_scale_f64 v[24:25], s[50:51], v[22:23], v[22:23], 1.0
	v_rcp_f64_e32 v[26:27], v[24:25]
	v_div_scale_f64 v[36:37], vcc, 1.0, v[22:23], 1.0
	v_fma_f64 v[38:39], -v[24:25], v[26:27], 1.0
	v_fmac_f64_e32 v[26:27], v[26:27], v[38:39]
	v_fma_f64 v[38:39], -v[24:25], v[26:27], 1.0
	v_fmac_f64_e32 v[26:27], v[26:27], v[38:39]
	v_mul_f64 v[38:39], v[36:37], v[26:27]
	v_fma_f64 v[24:25], -v[24:25], v[38:39], v[36:37]
	v_div_fmas_f64 v[24:25], v[24:25], v[26:27], v[38:39]
	v_div_fixup_f64 v[24:25], v[24:25], v[22:23], 1.0
	v_mul_f64 v[22:23], v[2:3], v[6:7]
	v_fmac_f64_e32 v[22:23], v[0:1], v[4:5]
	v_mul_f64 v[0:1], v[6:7], -v[0:1]
	v_fmac_f64_e32 v[0:1], v[2:3], v[4:5]
	v_mul_f64 v[22:23], v[22:23], v[24:25]
	v_mul_f64 v[24:25], v[0:1], v[24:25]
.LBB42_23:                              ;   in Loop: Header=BB42_6 Depth=2
	s_or_b64 exec, exec, s[48:49]
	v_pk_mov_b32 v[0:1], v[22:23], v[22:23] op_sel:[0,1]
	v_pk_mov_b32 v[2:3], v[24:25], v[24:25] op_sel:[0,1]
.LBB42_24:                              ;   in Loop: Header=BB42_6 Depth=2
	s_or_b64 exec, exec, s[46:47]
	v_xor_b32_e32 v4, 0x80000000, v1
	v_cmp_gt_f64_e32 vcc, 0, v[0:1]
	v_cndmask_b32_e32 v5, v1, v4, vcc
	v_cndmask_b32_e32 v4, v0, v0, vcc
	v_xor_b32_e32 v6, 0x80000000, v3
	v_cmp_gt_f64_e32 vcc, 0, v[2:3]
	v_cndmask_b32_e32 v7, v3, v6, vcc
	v_cndmask_b32_e32 v6, v2, v2, vcc
	v_cmp_ngt_f64_e32 vcc, v[4:5], v[6:7]
                                        ; implicit-def: $vgpr22_vgpr23
	s_and_saveexec_b64 s[46:47], vcc
	s_xor_b64 s[46:47], exec, s[46:47]
	s_cbranch_execnz .LBB42_27
; %bb.25:                               ;   in Loop: Header=BB42_6 Depth=2
	s_andn2_saveexec_b64 s[46:47], s[46:47]
	s_cbranch_execnz .LBB42_30
.LBB42_26:                              ;   in Loop: Header=BB42_6 Depth=2
	s_or_b64 exec, exec, s[46:47]
	v_cmp_class_f64_e64 s[48:49], v[22:23], s68
	s_and_saveexec_b64 s[46:47], s[48:49]
	s_cbranch_execz .LBB42_5
	s_branch .LBB42_31
.LBB42_27:                              ;   in Loop: Header=BB42_6 Depth=2
	v_cmp_neq_f64_e32 vcc, 0, v[2:3]
	v_pk_mov_b32 v[22:23], 0, 0
	s_and_saveexec_b64 s[48:49], vcc
	s_cbranch_execz .LBB42_29
; %bb.28:                               ;   in Loop: Header=BB42_6 Depth=2
	v_div_scale_f64 v[22:23], s[50:51], v[6:7], v[6:7], v[4:5]
	v_rcp_f64_e32 v[24:25], v[22:23]
	v_div_scale_f64 v[26:27], vcc, v[4:5], v[6:7], v[4:5]
	v_fma_f64 v[36:37], -v[22:23], v[24:25], 1.0
	v_fmac_f64_e32 v[24:25], v[24:25], v[36:37]
	v_fma_f64 v[36:37], -v[22:23], v[24:25], 1.0
	v_fmac_f64_e32 v[24:25], v[24:25], v[36:37]
	v_mul_f64 v[36:37], v[26:27], v[24:25]
	v_fma_f64 v[22:23], -v[22:23], v[36:37], v[26:27]
	v_div_fmas_f64 v[22:23], v[22:23], v[24:25], v[36:37]
	v_div_fixup_f64 v[4:5], v[22:23], v[6:7], v[4:5]
	v_fma_f64 v[4:5], v[4:5], v[4:5], 1.0
	v_cmp_gt_f64_e32 vcc, s[40:41], v[4:5]
	v_cndmask_b32_e64 v15, 0, 1, vcc
	v_lshlrev_b32_e32 v15, 8, v15
	v_ldexp_f64 v[4:5], v[4:5], v15
	v_rsq_f64_e32 v[22:23], v[4:5]
	v_cndmask_b32_e32 v15, 0, v34, vcc
	v_cmp_class_f64_e32 vcc, v[4:5], v9
	v_mul_f64 v[24:25], v[4:5], v[22:23]
	v_mul_f64 v[22:23], v[22:23], 0.5
	v_fma_f64 v[26:27], -v[22:23], v[24:25], 0.5
	v_fmac_f64_e32 v[24:25], v[24:25], v[26:27]
	v_fma_f64 v[36:37], -v[24:25], v[24:25], v[4:5]
	v_fmac_f64_e32 v[22:23], v[22:23], v[26:27]
	v_fmac_f64_e32 v[24:25], v[36:37], v[22:23]
	v_fma_f64 v[26:27], -v[24:25], v[24:25], v[4:5]
	v_fmac_f64_e32 v[24:25], v[26:27], v[22:23]
	v_ldexp_f64 v[22:23], v[24:25], v15
	v_cndmask_b32_e32 v5, v23, v5, vcc
	v_cndmask_b32_e32 v4, v22, v4, vcc
	v_mul_f64 v[22:23], v[6:7], v[4:5]
.LBB42_29:                              ;   in Loop: Header=BB42_6 Depth=2
	s_or_b64 exec, exec, s[48:49]
                                        ; implicit-def: $vgpr4_vgpr5
                                        ; implicit-def: $vgpr6_vgpr7
	s_andn2_saveexec_b64 s[46:47], s[46:47]
	s_cbranch_execz .LBB42_26
.LBB42_30:                              ;   in Loop: Header=BB42_6 Depth=2
	v_div_scale_f64 v[22:23], s[48:49], v[4:5], v[4:5], v[6:7]
	v_rcp_f64_e32 v[24:25], v[22:23]
	v_div_scale_f64 v[26:27], vcc, v[6:7], v[4:5], v[6:7]
	v_fma_f64 v[36:37], -v[22:23], v[24:25], 1.0
	v_fmac_f64_e32 v[24:25], v[24:25], v[36:37]
	v_fma_f64 v[36:37], -v[22:23], v[24:25], 1.0
	v_fmac_f64_e32 v[24:25], v[24:25], v[36:37]
	v_mul_f64 v[36:37], v[26:27], v[24:25]
	v_fma_f64 v[22:23], -v[22:23], v[36:37], v[26:27]
	v_div_fmas_f64 v[22:23], v[22:23], v[24:25], v[36:37]
	v_div_fixup_f64 v[6:7], v[22:23], v[4:5], v[6:7]
	v_fma_f64 v[6:7], v[6:7], v[6:7], 1.0
	v_cmp_gt_f64_e32 vcc, s[40:41], v[6:7]
	v_cndmask_b32_e64 v15, 0, 1, vcc
	v_lshlrev_b32_e32 v15, 8, v15
	v_ldexp_f64 v[6:7], v[6:7], v15
	v_rsq_f64_e32 v[22:23], v[6:7]
	v_cndmask_b32_e32 v15, 0, v34, vcc
	v_cmp_class_f64_e32 vcc, v[6:7], v9
	v_mul_f64 v[24:25], v[6:7], v[22:23]
	v_mul_f64 v[22:23], v[22:23], 0.5
	v_fma_f64 v[26:27], -v[22:23], v[24:25], 0.5
	v_fmac_f64_e32 v[24:25], v[24:25], v[26:27]
	v_fma_f64 v[36:37], -v[24:25], v[24:25], v[6:7]
	v_fmac_f64_e32 v[22:23], v[22:23], v[26:27]
	v_fmac_f64_e32 v[24:25], v[36:37], v[22:23]
	v_fma_f64 v[26:27], -v[24:25], v[24:25], v[6:7]
	v_fmac_f64_e32 v[24:25], v[26:27], v[22:23]
	v_ldexp_f64 v[22:23], v[24:25], v15
	v_cndmask_b32_e32 v7, v23, v7, vcc
	v_cndmask_b32_e32 v6, v22, v6, vcc
	v_mul_f64 v[22:23], v[4:5], v[6:7]
	s_or_b64 exec, exec, s[46:47]
	v_cmp_class_f64_e64 s[48:49], v[22:23], s68
	s_and_saveexec_b64 s[46:47], s[48:49]
	s_cbranch_execz .LBB42_5
.LBB42_31:                              ;   in Loop: Header=BB42_6 Depth=2
	s_mov_b64 s[48:49], 0
                                        ; implicit-def: $vgpr4_vgpr5
	s_and_saveexec_b64 s[50:51], s[6:7]
	s_xor_b64 s[6:7], exec, s[50:51]
	s_cbranch_execnz .LBB42_34
; %bb.32:                               ;   in Loop: Header=BB42_6 Depth=2
	s_andn2_saveexec_b64 s[6:7], s[6:7]
	s_cbranch_execnz .LBB42_47
.LBB42_33:                              ;   in Loop: Header=BB42_6 Depth=2
	s_or_b64 exec, exec, s[6:7]
	s_and_b64 exec, exec, s[48:49]
	s_cbranch_execz .LBB42_5
	s_branch .LBB42_56
.LBB42_34:                              ;   in Loop: Header=BB42_6 Depth=2
	v_cmp_ge_i32_e32 vcc, v8, v16
                                        ; implicit-def: $vgpr4_vgpr5
	s_and_saveexec_b64 s[50:51], vcc
	s_xor_b64 s[50:51], exec, s[50:51]
; %bb.35:                               ;   in Loop: Header=BB42_6 Depth=2
	v_lshlrev_b64 v[4:5], 4, v[16:17]
	v_mov_b32_e32 v6, s19
	v_add_co_u32_e32 v4, vcc, s18, v4
	s_mov_b64 s[48:49], exec
	v_addc_co_u32_e32 v5, vcc, v6, v5, vcc
                                        ; implicit-def: $vgpr20
                                        ; implicit-def: $vgpr35
                                        ; implicit-def: $vgpr18
; %bb.36:                               ;   in Loop: Header=BB42_6 Depth=2
	s_andn2_saveexec_b64 s[50:51], s[50:51]
	s_cbranch_execz .LBB42_46
; %bb.37:                               ;   in Loop: Header=BB42_6 Depth=2
	v_cmp_lt_i32_e32 vcc, v20, v35
	s_mov_b64 s[54:55], s[48:49]
                                        ; implicit-def: $vgpr4_vgpr5
	s_and_saveexec_b64 s[52:53], vcc
	s_cbranch_execz .LBB42_45
; %bb.38:                               ;   in Loop: Header=BB42_6 Depth=2
	s_mov_b64 s[56:57], 0
                                        ; implicit-def: $sgpr54_sgpr55
                                        ; implicit-def: $sgpr60_sgpr61
                                        ; implicit-def: $sgpr58_sgpr59
	s_branch .LBB42_40
.LBB42_39:                              ;   in Loop: Header=BB42_40 Depth=3
	s_or_b64 exec, exec, s[62:63]
	s_and_b64 s[62:63], exec, s[60:61]
	s_or_b64 s[56:57], s[62:63], s[56:57]
	s_andn2_b64 s[54:55], s[54:55], exec
	s_and_b64 s[62:63], s[58:59], exec
	s_or_b64 s[54:55], s[54:55], s[62:63]
	s_andn2_b64 exec, exec, s[56:57]
	s_cbranch_execz .LBB42_42
.LBB42_40:                              ;   Parent Loop BB42_3 Depth=1
                                        ;     Parent Loop BB42_6 Depth=2
                                        ; =>    This Inner Loop Header: Depth=3
	v_add_u32_e32 v6, v18, v20
	v_ashrrev_i32_e32 v7, 31, v6
	v_lshlrev_b64 v[4:5], 2, v[6:7]
	v_mov_b32_e32 v10, s29
	v_add_co_u32_e32 v4, vcc, s28, v4
	v_addc_co_u32_e32 v5, vcc, v10, v5, vcc
	global_load_dword v4, v[4:5], off
	s_or_b64 s[58:59], s[58:59], exec
	s_or_b64 s[60:61], s[60:61], exec
	s_waitcnt vmcnt(0)
	v_subrev_u32_e32 v4, s66, v4
	v_cmp_ne_u32_e32 vcc, v4, v8
	s_and_saveexec_b64 s[62:63], vcc
	s_cbranch_execz .LBB42_39
; %bb.41:                               ;   in Loop: Header=BB42_40 Depth=3
	v_add_u32_e32 v20, 1, v20
	v_cmp_ge_i32_e32 vcc, v20, v35
	s_andn2_b64 s[60:61], s[60:61], exec
	s_and_b64 s[70:71], vcc, exec
	s_andn2_b64 s[58:59], s[58:59], exec
	s_or_b64 s[60:61], s[60:61], s[70:71]
	s_branch .LBB42_39
.LBB42_42:                              ;   in Loop: Header=BB42_6 Depth=2
	s_or_b64 exec, exec, s[56:57]
	s_mov_b64 s[56:57], s[48:49]
                                        ; implicit-def: $vgpr4_vgpr5
	s_and_saveexec_b64 s[58:59], s[54:55]
	s_xor_b64 s[54:55], exec, s[58:59]
; %bb.43:                               ;   in Loop: Header=BB42_6 Depth=2
	v_lshlrev_b64 v[4:5], 4, v[6:7]
	v_mov_b32_e32 v6, s39
	v_add_co_u32_e32 v4, vcc, s38, v4
	v_addc_co_u32_e32 v5, vcc, v6, v5, vcc
	s_or_b64 s[56:57], s[48:49], exec
; %bb.44:                               ;   in Loop: Header=BB42_6 Depth=2
	s_or_b64 exec, exec, s[54:55]
	s_andn2_b64 s[54:55], s[48:49], exec
	s_and_b64 s[56:57], s[56:57], exec
	s_or_b64 s[54:55], s[54:55], s[56:57]
.LBB42_45:                              ;   in Loop: Header=BB42_6 Depth=2
	s_or_b64 exec, exec, s[52:53]
	s_andn2_b64 s[48:49], s[48:49], exec
	s_and_b64 s[52:53], s[54:55], exec
	s_or_b64 s[48:49], s[48:49], s[52:53]
.LBB42_46:                              ;   in Loop: Header=BB42_6 Depth=2
	s_or_b64 exec, exec, s[50:51]
	s_and_b64 s[48:49], s[48:49], exec
                                        ; implicit-def: $vgpr16_vgpr17
	s_andn2_saveexec_b64 s[6:7], s[6:7]
	s_cbranch_execz .LBB42_33
.LBB42_47:                              ;   in Loop: Header=BB42_6 Depth=2
	v_cmp_lt_i32_e32 vcc, v10, v28
	s_mov_b64 s[52:53], s[48:49]
                                        ; implicit-def: $vgpr4_vgpr5
	s_and_saveexec_b64 s[50:51], vcc
	s_cbranch_execz .LBB42_55
; %bb.48:                               ;   in Loop: Header=BB42_6 Depth=2
	s_mov_b64 s[54:55], 0
                                        ; implicit-def: $sgpr52_sgpr53
                                        ; implicit-def: $sgpr58_sgpr59
                                        ; implicit-def: $sgpr56_sgpr57
	s_branch .LBB42_50
.LBB42_49:                              ;   in Loop: Header=BB42_50 Depth=3
	s_or_b64 exec, exec, s[60:61]
	s_and_b64 s[60:61], exec, s[58:59]
	s_or_b64 s[54:55], s[60:61], s[54:55]
	s_andn2_b64 s[52:53], s[52:53], exec
	s_and_b64 s[60:61], s[56:57], exec
	s_or_b64 s[52:53], s[52:53], s[60:61]
	s_andn2_b64 exec, exec, s[54:55]
	s_cbranch_execz .LBB42_52
.LBB42_50:                              ;   Parent Loop BB42_3 Depth=1
                                        ;     Parent Loop BB42_6 Depth=2
                                        ; =>    This Inner Loop Header: Depth=3
	v_add_u32_e32 v6, v12, v10
	v_ashrrev_i32_e32 v7, 31, v6
	v_lshlrev_b64 v[4:5], 2, v[6:7]
	v_mov_b32_e32 v15, s13
	v_add_co_u32_e32 v4, vcc, s12, v4
	v_addc_co_u32_e32 v5, vcc, v15, v5, vcc
	global_load_dword v4, v[4:5], off
	s_or_b64 s[56:57], s[56:57], exec
	s_or_b64 s[58:59], s[58:59], exec
	s_waitcnt vmcnt(0)
	v_subrev_u32_e32 v4, s65, v4
	v_cmp_ne_u32_e32 vcc, v4, v16
	s_and_saveexec_b64 s[60:61], vcc
	s_cbranch_execz .LBB42_49
; %bb.51:                               ;   in Loop: Header=BB42_50 Depth=3
	v_add_u32_e32 v10, 1, v10
	v_cmp_ge_i32_e32 vcc, v10, v28
	s_andn2_b64 s[58:59], s[58:59], exec
	s_and_b64 s[62:63], vcc, exec
	s_andn2_b64 s[56:57], s[56:57], exec
	s_or_b64 s[58:59], s[58:59], s[62:63]
	s_branch .LBB42_49
.LBB42_52:                              ;   in Loop: Header=BB42_6 Depth=2
	s_or_b64 exec, exec, s[54:55]
	s_mov_b64 s[54:55], s[48:49]
                                        ; implicit-def: $vgpr4_vgpr5
	s_and_saveexec_b64 s[56:57], s[52:53]
	s_xor_b64 s[52:53], exec, s[56:57]
; %bb.53:                               ;   in Loop: Header=BB42_6 Depth=2
	v_lshlrev_b64 v[4:5], 4, v[6:7]
	v_mov_b32_e32 v6, s37
	v_add_co_u32_e32 v4, vcc, s36, v4
	v_addc_co_u32_e32 v5, vcc, v6, v5, vcc
	s_or_b64 s[54:55], s[48:49], exec
; %bb.54:                               ;   in Loop: Header=BB42_6 Depth=2
	s_or_b64 exec, exec, s[52:53]
	s_andn2_b64 s[52:53], s[48:49], exec
	s_and_b64 s[54:55], s[54:55], exec
	s_or_b64 s[52:53], s[52:53], s[54:55]
.LBB42_55:                              ;   in Loop: Header=BB42_6 Depth=2
	s_or_b64 exec, exec, s[50:51]
	s_andn2_b64 s[48:49], s[48:49], exec
	s_and_b64 s[50:51], s[52:53], exec
	s_or_b64 s[48:49], s[48:49], s[50:51]
	s_or_b64 exec, exec, s[6:7]
	s_and_b64 exec, exec, s[48:49]
	s_cbranch_execz .LBB42_5
.LBB42_56:                              ;   in Loop: Header=BB42_6 Depth=2
	global_store_dwordx4 v[4:5], v[0:3], off
	s_branch .LBB42_5
.LBB42_57:                              ;   in Loop: Header=BB42_3 Depth=1
	s_or_b64 exec, exec, s[42:43]
	s_and_saveexec_b64 s[6:7], s[0:1]
	s_cbranch_execz .LBB42_2
; %bb.58:                               ;   in Loop: Header=BB42_3 Depth=1
	s_mov_b64 s[42:43], 0
	v_mov_b32_e32 v0, v8
	s_branch .LBB42_61
.LBB42_59:                              ;   in Loop: Header=BB42_61 Depth=2
	s_or_b64 exec, exec, s[46:47]
	v_lshlrev_b64 v[6:7], 4, v[0:1]
	v_mov_b32_e32 v1, s19
	v_add_co_u32_e32 v2, vcc, s18, v6
	v_addc_co_u32_e32 v3, vcc, v1, v7, vcc
	global_load_dwordx4 v[2:5], v[2:3], off
	v_mov_b32_e32 v1, s17
	v_add_co_u32_e32 v6, vcc, s16, v6
	v_addc_co_u32_e32 v7, vcc, v1, v7, vcc
	s_waitcnt vmcnt(0)
	global_store_dwordx4 v[6:7], v[2:5], off
.LBB42_60:                              ;   in Loop: Header=BB42_61 Depth=2
	s_or_b64 exec, exec, s[44:45]
	v_add_u32_e32 v0, 0x400, v0
	v_cmp_le_u32_e32 vcc, s67, v0
	s_or_b64 s[42:43], vcc, s[42:43]
	s_andn2_b64 exec, exec, s[42:43]
	s_cbranch_execz .LBB42_2
.LBB42_61:                              ;   Parent Loop BB42_3 Depth=1
                                        ; =>  This Loop Header: Depth=2
                                        ;       Child Loop BB42_64 Depth 3
                                        ;       Child Loop BB42_67 Depth 3
	v_cmp_gt_i32_e32 vcc, s35, v0
	s_and_saveexec_b64 s[44:45], vcc
	s_cbranch_execz .LBB42_60
; %bb.62:                               ;   in Loop: Header=BB42_61 Depth=2
	v_ashrrev_i32_e32 v1, 31, v0
	v_lshlrev_b64 v[2:3], 2, v[0:1]
	v_mov_b32_e32 v5, s9
	v_add_co_u32_e32 v4, vcc, s8, v2
	v_addc_co_u32_e32 v5, vcc, v5, v3, vcc
	global_load_dword v4, v[4:5], off
	v_mov_b32_e32 v5, s11
	v_add_co_u32_e32 v6, vcc, s10, v2
	v_addc_co_u32_e32 v7, vcc, v5, v3, vcc
	global_load_dword v5, v[6:7], off
	s_waitcnt vmcnt(0)
	v_cmp_lt_i32_e32 vcc, v4, v5
	s_and_saveexec_b64 s[46:47], vcc
	s_cbranch_execz .LBB42_65
; %bb.63:                               ;   in Loop: Header=BB42_61 Depth=2
	v_subrev_u32_e32 v4, s65, v4
	v_subrev_u32_e32 v10, s65, v5
	v_ashrrev_i32_e32 v5, 31, v4
	v_lshlrev_b64 v[14:15], 4, v[4:5]
	v_mov_b32_e32 v5, s15
	v_add_co_u32_e32 v6, vcc, s14, v14
	v_addc_co_u32_e32 v7, vcc, v5, v15, vcc
	v_mov_b32_e32 v5, s37
	v_add_co_u32_e32 v14, vcc, s36, v14
	v_addc_co_u32_e32 v15, vcc, v5, v15, vcc
	s_mov_b64 s[48:49], 0
.LBB42_64:                              ;   Parent Loop BB42_3 Depth=1
                                        ;     Parent Loop BB42_61 Depth=2
                                        ; =>    This Inner Loop Header: Depth=3
	global_load_dwordx4 v[16:19], v[14:15], off
	v_add_co_u32_e32 v14, vcc, 16, v14
	v_add_u32_e32 v4, 1, v4
	v_addc_co_u32_e32 v15, vcc, 0, v15, vcc
	v_cmp_ge_i32_e32 vcc, v4, v10
	s_or_b64 s[48:49], vcc, s[48:49]
	s_waitcnt vmcnt(0)
	global_store_dwordx4 v[6:7], v[16:19], off
	v_add_co_u32_e32 v6, vcc, 16, v6
	v_addc_co_u32_e32 v7, vcc, 0, v7, vcc
	s_andn2_b64 exec, exec, s[48:49]
	s_cbranch_execnz .LBB42_64
.LBB42_65:                              ;   in Loop: Header=BB42_61 Depth=2
	s_or_b64 exec, exec, s[46:47]
	v_mov_b32_e32 v5, s25
	v_add_co_u32_e32 v4, vcc, s24, v2
	v_addc_co_u32_e32 v5, vcc, v5, v3, vcc
	global_load_dword v4, v[4:5], off
	v_mov_b32_e32 v5, s27
	v_add_co_u32_e32 v2, vcc, s26, v2
	v_addc_co_u32_e32 v3, vcc, v5, v3, vcc
	global_load_dword v2, v[2:3], off
	s_waitcnt vmcnt(0)
	v_cmp_lt_i32_e32 vcc, v4, v2
	s_and_saveexec_b64 s[46:47], vcc
	s_cbranch_execz .LBB42_59
; %bb.66:                               ;   in Loop: Header=BB42_61 Depth=2
	v_subrev_u32_e32 v10, s66, v2
	v_subrev_u32_e32 v2, s66, v4
	v_ashrrev_i32_e32 v3, 31, v2
	v_lshlrev_b64 v[6:7], 4, v[2:3]
	v_mov_b32_e32 v3, s31
	v_add_co_u32_e32 v4, vcc, s30, v6
	v_addc_co_u32_e32 v5, vcc, v3, v7, vcc
	v_mov_b32_e32 v3, s39
	v_add_co_u32_e32 v6, vcc, s38, v6
	v_addc_co_u32_e32 v7, vcc, v3, v7, vcc
	s_mov_b64 s[48:49], 0
.LBB42_67:                              ;   Parent Loop BB42_3 Depth=1
                                        ;     Parent Loop BB42_61 Depth=2
                                        ; =>    This Inner Loop Header: Depth=3
	global_load_dwordx4 v[14:17], v[6:7], off
	v_add_co_u32_e32 v6, vcc, 16, v6
	v_add_u32_e32 v2, 1, v2
	v_addc_co_u32_e32 v7, vcc, 0, v7, vcc
	v_cmp_ge_i32_e32 vcc, v2, v10
	s_or_b64 s[48:49], vcc, s[48:49]
	s_waitcnt vmcnt(0)
	global_store_dwordx4 v[4:5], v[14:17], off
	v_add_co_u32_e32 v4, vcc, 16, v4
	v_addc_co_u32_e32 v5, vcc, 0, v5, vcc
	s_andn2_b64 exec, exec, s[48:49]
	s_cbranch_execnz .LBB42_67
	s_branch .LBB42_59
.LBB42_68:
	s_endpgm
	.section	.rodata,"a",@progbits
	.p2align	6, 0x0
	.amdhsa_kernel _ZN9rocsparseL14kernel_freerunILi1024ELi1E21rocsparse_complex_numIdEiiEEvT3_S3_T2_PKS4_S6_PKS3_PKT1_21rocsparse_index_base_S6_S6_S8_PS9_SD_SC_S6_S6_S8_SD_SD_SC_SD_SD_
		.amdhsa_group_segment_fixed_size 0
		.amdhsa_private_segment_fixed_size 0
		.amdhsa_kernarg_size 168
		.amdhsa_user_sgpr_count 6
		.amdhsa_user_sgpr_private_segment_buffer 1
		.amdhsa_user_sgpr_dispatch_ptr 0
		.amdhsa_user_sgpr_queue_ptr 0
		.amdhsa_user_sgpr_kernarg_segment_ptr 1
		.amdhsa_user_sgpr_dispatch_id 0
		.amdhsa_user_sgpr_flat_scratch_init 0
		.amdhsa_user_sgpr_kernarg_preload_length 0
		.amdhsa_user_sgpr_kernarg_preload_offset 0
		.amdhsa_user_sgpr_private_segment_size 0
		.amdhsa_uses_dynamic_stack 0
		.amdhsa_system_sgpr_private_segment_wavefront_offset 0
		.amdhsa_system_sgpr_workgroup_id_x 1
		.amdhsa_system_sgpr_workgroup_id_y 0
		.amdhsa_system_sgpr_workgroup_id_z 0
		.amdhsa_system_sgpr_workgroup_info 0
		.amdhsa_system_vgpr_workitem_id 0
		.amdhsa_next_free_vgpr 42
		.amdhsa_next_free_sgpr 72
		.amdhsa_accum_offset 44
		.amdhsa_reserve_vcc 1
		.amdhsa_reserve_flat_scratch 0
		.amdhsa_float_round_mode_32 0
		.amdhsa_float_round_mode_16_64 0
		.amdhsa_float_denorm_mode_32 3
		.amdhsa_float_denorm_mode_16_64 3
		.amdhsa_dx10_clamp 1
		.amdhsa_ieee_mode 1
		.amdhsa_fp16_overflow 0
		.amdhsa_tg_split 0
		.amdhsa_exception_fp_ieee_invalid_op 0
		.amdhsa_exception_fp_denorm_src 0
		.amdhsa_exception_fp_ieee_div_zero 0
		.amdhsa_exception_fp_ieee_overflow 0
		.amdhsa_exception_fp_ieee_underflow 0
		.amdhsa_exception_fp_ieee_inexact 0
		.amdhsa_exception_int_div_zero 0
	.end_amdhsa_kernel
	.section	.text._ZN9rocsparseL14kernel_freerunILi1024ELi1E21rocsparse_complex_numIdEiiEEvT3_S3_T2_PKS4_S6_PKS3_PKT1_21rocsparse_index_base_S6_S6_S8_PS9_SD_SC_S6_S6_S8_SD_SD_SC_SD_SD_,"axG",@progbits,_ZN9rocsparseL14kernel_freerunILi1024ELi1E21rocsparse_complex_numIdEiiEEvT3_S3_T2_PKS4_S6_PKS3_PKT1_21rocsparse_index_base_S6_S6_S8_PS9_SD_SC_S6_S6_S8_SD_SD_SC_SD_SD_,comdat
.Lfunc_end42:
	.size	_ZN9rocsparseL14kernel_freerunILi1024ELi1E21rocsparse_complex_numIdEiiEEvT3_S3_T2_PKS4_S6_PKS3_PKT1_21rocsparse_index_base_S6_S6_S8_PS9_SD_SC_S6_S6_S8_SD_SD_SC_SD_SD_, .Lfunc_end42-_ZN9rocsparseL14kernel_freerunILi1024ELi1E21rocsparse_complex_numIdEiiEEvT3_S3_T2_PKS4_S6_PKS3_PKT1_21rocsparse_index_base_S6_S6_S8_PS9_SD_SC_S6_S6_S8_SD_SD_SC_SD_SD_
                                        ; -- End function
	.section	.AMDGPU.csdata,"",@progbits
; Kernel info:
; codeLenInByte = 3208
; NumSgprs: 76
; NumVgprs: 42
; NumAgprs: 0
; TotalNumVgprs: 42
; ScratchSize: 0
; MemoryBound: 1
; FloatMode: 240
; IeeeMode: 1
; LDSByteSize: 0 bytes/workgroup (compile time only)
; SGPRBlocks: 9
; VGPRBlocks: 5
; NumSGPRsForWavesPerEU: 76
; NumVGPRsForWavesPerEU: 42
; AccumOffset: 44
; Occupancy: 8
; WaveLimiterHint : 1
; COMPUTE_PGM_RSRC2:SCRATCH_EN: 0
; COMPUTE_PGM_RSRC2:USER_SGPR: 6
; COMPUTE_PGM_RSRC2:TRAP_HANDLER: 0
; COMPUTE_PGM_RSRC2:TGID_X_EN: 1
; COMPUTE_PGM_RSRC2:TGID_Y_EN: 0
; COMPUTE_PGM_RSRC2:TGID_Z_EN: 0
; COMPUTE_PGM_RSRC2:TIDIG_COMP_CNT: 0
; COMPUTE_PGM_RSRC3_GFX90A:ACCUM_OFFSET: 10
; COMPUTE_PGM_RSRC3_GFX90A:TG_SPLIT: 0
	.section	.text._ZN9rocsparseL14kernel_freerunILi1024ELi2E21rocsparse_complex_numIdEiiEEvT3_S3_T2_PKS4_S6_PKS3_PKT1_21rocsparse_index_base_S6_S6_S8_PS9_SD_SC_S6_S6_S8_SD_SD_SC_SD_SD_,"axG",@progbits,_ZN9rocsparseL14kernel_freerunILi1024ELi2E21rocsparse_complex_numIdEiiEEvT3_S3_T2_PKS4_S6_PKS3_PKT1_21rocsparse_index_base_S6_S6_S8_PS9_SD_SC_S6_S6_S8_SD_SD_SC_SD_SD_,comdat
	.globl	_ZN9rocsparseL14kernel_freerunILi1024ELi2E21rocsparse_complex_numIdEiiEEvT3_S3_T2_PKS4_S6_PKS3_PKT1_21rocsparse_index_base_S6_S6_S8_PS9_SD_SC_S6_S6_S8_SD_SD_SC_SD_SD_ ; -- Begin function _ZN9rocsparseL14kernel_freerunILi1024ELi2E21rocsparse_complex_numIdEiiEEvT3_S3_T2_PKS4_S6_PKS3_PKT1_21rocsparse_index_base_S6_S6_S8_PS9_SD_SC_S6_S6_S8_SD_SD_SC_SD_SD_
	.p2align	8
	.type	_ZN9rocsparseL14kernel_freerunILi1024ELi2E21rocsparse_complex_numIdEiiEEvT3_S3_T2_PKS4_S6_PKS3_PKT1_21rocsparse_index_base_S6_S6_S8_PS9_SD_SC_S6_S6_S8_SD_SD_SC_SD_SD_,@function
_ZN9rocsparseL14kernel_freerunILi1024ELi2E21rocsparse_complex_numIdEiiEEvT3_S3_T2_PKS4_S6_PKS3_PKT1_21rocsparse_index_base_S6_S6_S8_PS9_SD_SC_S6_S6_S8_SD_SD_SC_SD_SD_: ; @_ZN9rocsparseL14kernel_freerunILi1024ELi2E21rocsparse_complex_numIdEiiEEvT3_S3_T2_PKS4_S6_PKS3_PKT1_21rocsparse_index_base_S6_S6_S8_PS9_SD_SC_S6_S6_S8_SD_SD_SC_SD_SD_
; %bb.0:
	s_load_dwordx2 s[34:35], s[4:5], 0x0
	v_lshrrev_b32_e32 v1, 1, v0
	s_lshl_b32 s73, s6, 10
	v_or_b32_e32 v28, s73, v1
	s_mov_b32 s33, 0
	s_waitcnt lgkmcnt(0)
	s_cmp_gt_i32 s34, 0
	v_cmp_gt_i32_e32 vcc, s35, v28
	s_cselect_b64 s[0:1], -1, 0
	s_and_b64 s[0:1], vcc, s[0:1]
	s_and_saveexec_b64 s[2:3], s[0:1]
	s_cbranch_execz .LBB43_72
; %bb.1:
	s_load_dwordx4 s[36:39], s[4:5], 0x98
	s_load_dwordx8 s[8:15], s[4:5], 0x68
	s_load_dwordx8 s[16:23], s[4:5], 0x38
	;; [unrolled: 1-line block ×3, first 2 shown]
	s_load_dword s70, s[4:5], 0x30
	s_load_dwordx2 s[40:41], s[4:5], 0x58
	s_load_dword s71, s[4:5], 0x60
	s_load_dwordx2 s[42:43], s[4:5], 0x88
	s_load_dword s72, s[4:5], 0x90
	v_and_b32_e32 v0, 1, v0
	s_addk_i32 s73, 0x400
	s_mov_b32 s44, 0
	s_waitcnt lgkmcnt(0)
	v_subrev_u32_e32 v29, s70, v0
	v_cmp_gt_u32_e64 s[0:1], s73, v28
	v_subrev_u32_e32 v30, s71, v0
	v_subrev_u32_e32 v31, s72, v0
	v_cmp_eq_u32_e64 s[2:3], 0, v0
	s_brev_b32 s45, 8
	v_mov_b32_e32 v32, 0x260
	s_movk_i32 s74, 0x1f8
	v_mov_b32_e32 v9, 0
	v_mov_b32_e32 v33, 0xffffff80
	s_branch .LBB43_3
.LBB43_2:                               ;   in Loop: Header=BB43_3 Depth=1
	s_or_b64 exec, exec, s[4:5]
	s_add_i32 s33, s33, 1
	s_cmp_eq_u32 s33, s34
	s_cbranch_scc1 .LBB43_72
.LBB43_3:                               ; =>This Loop Header: Depth=1
                                        ;     Child Loop BB43_5 Depth 2
                                        ;       Child Loop BB43_9 Depth 3
                                        ;         Child Loop BB43_13 Depth 4
                                        ;         Child Loop BB43_43 Depth 4
	;; [unrolled: 1-line block ×3, first 2 shown]
                                        ;     Child Loop BB43_63 Depth 2
                                        ;       Child Loop BB43_66 Depth 3
                                        ;       Child Loop BB43_69 Depth 3
	s_mov_b32 s4, 0
	s_mov_b64 s[46:47], -1
	s_branch .LBB43_5
.LBB43_4:                               ;   in Loop: Header=BB43_5 Depth=2
	s_or_b64 exec, exec, s[48:49]
	s_xor_b64 s[6:7], s[46:47], -1
	s_movk_i32 s4, 0x200
	s_mov_b64 s[46:47], 0
	s_and_b64 vcc, exec, s[6:7]
	s_cbranch_vccnz .LBB43_60
.LBB43_5:                               ;   Parent Loop BB43_3 Depth=1
                                        ; =>  This Loop Header: Depth=2
                                        ;       Child Loop BB43_9 Depth 3
                                        ;         Child Loop BB43_13 Depth 4
                                        ;         Child Loop BB43_43 Depth 4
	;; [unrolled: 1-line block ×3, first 2 shown]
	v_or_b32_e32 v10, s4, v28
	v_cmp_gt_i32_e32 vcc, s35, v10
	s_and_saveexec_b64 s[48:49], vcc
	s_cbranch_execz .LBB43_4
; %bb.6:                                ;   in Loop: Header=BB43_5 Depth=2
	v_ashrrev_i32_e32 v11, 31, v10
	v_lshlrev_b64 v[0:1], 2, v[10:11]
	v_mov_b32_e32 v3, s25
	v_add_co_u32_e32 v2, vcc, s24, v0
	v_addc_co_u32_e32 v3, vcc, v3, v1, vcc
	global_load_dword v4, v[2:3], off
	v_mov_b32_e32 v3, s27
	v_add_co_u32_e32 v2, vcc, s26, v0
	v_addc_co_u32_e32 v3, vcc, v3, v1, vcc
	global_load_dword v2, v[2:3], off
	s_waitcnt vmcnt(1)
	v_add_u32_e32 v12, v29, v4
	s_waitcnt vmcnt(0)
	v_subrev_u32_e32 v11, s70, v2
	v_cmp_lt_i32_e32 vcc, v12, v11
	s_and_b64 exec, exec, vcc
	s_cbranch_execz .LBB43_4
; %bb.7:                                ;   in Loop: Header=BB43_5 Depth=2
	v_mov_b32_e32 v3, s19
	v_add_co_u32_e32 v2, vcc, s18, v0
	v_addc_co_u32_e32 v3, vcc, v3, v1, vcc
	v_mov_b32_e32 v4, s17
	v_add_co_u32_e32 v0, vcc, s16, v0
	v_addc_co_u32_e32 v1, vcc, v4, v1, vcc
	global_load_dword v0, v[0:1], off
	s_nop 0
	global_load_dword v1, v[2:3], off
	v_mov_b32_e32 v4, s21
	v_mov_b32_e32 v5, s23
	s_mov_b64 s[50:51], 0
	s_waitcnt vmcnt(1)
	v_subrev_u32_e32 v14, s71, v0
	v_ashrrev_i32_e32 v15, 31, v14
	s_waitcnt vmcnt(0)
	v_sub_u32_e32 v34, v1, v0
	v_lshlrev_b64 v[0:1], 2, v[14:15]
	v_lshlrev_b64 v[2:3], 4, v[14:15]
	v_add_co_u32_e32 v15, vcc, s20, v0
	v_addc_co_u32_e32 v35, vcc, v4, v1, vcc
	v_add_co_u32_e32 v36, vcc, s22, v2
	v_cmp_lt_i32_e64 s[4:5], 0, v34
	v_addc_co_u32_e32 v37, vcc, v5, v3, vcc
	s_branch .LBB43_9
.LBB43_8:                               ;   in Loop: Header=BB43_9 Depth=3
	s_or_b64 exec, exec, s[52:53]
	v_add_u32_e32 v12, 2, v12
	v_cmp_ge_i32_e32 vcc, v12, v11
	s_or_b64 s[50:51], vcc, s[50:51]
	s_andn2_b64 exec, exec, s[50:51]
	s_cbranch_execz .LBB43_4
.LBB43_9:                               ;   Parent Loop BB43_3 Depth=1
                                        ;     Parent Loop BB43_5 Depth=2
                                        ; =>    This Loop Header: Depth=3
                                        ;         Child Loop BB43_13 Depth 4
                                        ;         Child Loop BB43_43 Depth 4
	;; [unrolled: 1-line block ×3, first 2 shown]
	v_ashrrev_i32_e32 v13, 31, v12
	v_lshlrev_b64 v[0:1], 2, v[12:13]
	v_mov_b32_e32 v2, s29
	v_add_co_u32_e32 v0, vcc, s28, v0
	v_addc_co_u32_e32 v1, vcc, v2, v1, vcc
	global_load_dword v0, v[0:1], off
	v_mov_b32_e32 v3, s9
	v_mov_b32_e32 v4, s11
	;; [unrolled: 1-line block ×4, first 2 shown]
	s_waitcnt vmcnt(0)
	v_subrev_u32_e32 v16, s70, v0
	v_ashrrev_i32_e32 v17, 31, v16
	v_lshlrev_b64 v[0:1], 2, v[16:17]
	v_add_co_u32_e32 v2, vcc, s8, v0
	v_addc_co_u32_e32 v3, vcc, v3, v1, vcc
	v_add_co_u32_e32 v0, vcc, s10, v0
	v_addc_co_u32_e32 v1, vcc, v4, v1, vcc
	global_load_dword v4, v[2:3], off
	global_load_dword v5, v[0:1], off
	v_pk_mov_b32 v[0:1], 0, 0
	v_pk_mov_b32 v[2:3], v[0:1], v[0:1] op_sel:[0,1]
	s_waitcnt vmcnt(1)
	v_subrev_u32_e32 v18, s72, v4
	s_waitcnt vmcnt(0)
	v_sub_u32_e32 v38, v5, v4
	s_and_saveexec_b64 s[6:7], s[4:5]
	s_cbranch_execz .LBB43_17
; %bb.10:                               ;   in Loop: Header=BB43_9 Depth=3
	v_ashrrev_i32_e32 v19, 31, v18
	v_lshlrev_b64 v[0:1], 2, v[18:19]
	v_mov_b32_e32 v2, s13
	v_add_co_u32_e32 v4, vcc, s12, v0
	v_addc_co_u32_e32 v5, vcc, v2, v1, vcc
	v_lshlrev_b64 v[0:1], 4, v[18:19]
	v_mov_b32_e32 v2, s15
	v_add_co_u32_e32 v6, vcc, s14, v0
	v_addc_co_u32_e32 v7, vcc, v2, v1, vcc
	v_mov_b32_e32 v20, 0
	v_pk_mov_b32 v[0:1], 0, 0
	s_mov_b64 s[52:53], 0
	v_mov_b32_e32 v8, v20
	v_pk_mov_b32 v[2:3], v[0:1], v[0:1] op_sel:[0,1]
                                        ; implicit-def: $sgpr54_sgpr55
	s_branch .LBB43_13
.LBB43_11:                              ;   in Loop: Header=BB43_13 Depth=4
	s_or_b64 exec, exec, s[58:59]
	v_cmp_le_i32_e32 vcc, v19, v22
	v_addc_co_u32_e32 v8, vcc, 0, v8, vcc
	v_cmp_ge_i32_e32 vcc, v19, v22
	v_addc_co_u32_e32 v20, vcc, 0, v20, vcc
	v_cmp_ge_i32_e32 vcc, v8, v34
	s_andn2_b64 s[54:55], s[54:55], exec
	s_and_b64 s[58:59], vcc, exec
	s_or_b64 s[54:55], s[54:55], s[58:59]
.LBB43_12:                              ;   in Loop: Header=BB43_13 Depth=4
	s_or_b64 exec, exec, s[56:57]
	s_and_b64 s[56:57], exec, s[54:55]
	s_or_b64 s[52:53], s[56:57], s[52:53]
	s_andn2_b64 exec, exec, s[52:53]
	s_cbranch_execz .LBB43_16
.LBB43_13:                              ;   Parent Loop BB43_3 Depth=1
                                        ;     Parent Loop BB43_5 Depth=2
                                        ;       Parent Loop BB43_9 Depth=3
                                        ; =>      This Inner Loop Header: Depth=4
	v_cmp_lt_i32_e32 vcc, v20, v38
	s_or_b64 s[54:55], s[54:55], exec
	s_and_saveexec_b64 s[56:57], vcc
	s_cbranch_execz .LBB43_12
; %bb.14:                               ;   in Loop: Header=BB43_13 Depth=4
	v_lshlrev_b64 v[22:23], 2, v[8:9]
	v_add_co_u32_e32 v22, vcc, v15, v22
	v_addc_co_u32_e32 v23, vcc, v35, v23, vcc
	v_mov_b32_e32 v21, v9
	global_load_dword v19, v[22:23], off
	v_lshlrev_b64 v[22:23], 2, v[20:21]
	v_add_co_u32_e32 v22, vcc, v4, v22
	v_addc_co_u32_e32 v23, vcc, v5, v23, vcc
	global_load_dword v22, v[22:23], off
	s_waitcnt vmcnt(1)
	v_subrev_u32_e32 v19, s71, v19
	s_waitcnt vmcnt(0)
	v_subrev_u32_e32 v22, s72, v22
	v_cmp_eq_u32_e32 vcc, v19, v22
	s_and_saveexec_b64 s[58:59], vcc
	s_cbranch_execz .LBB43_11
; %bb.15:                               ;   in Loop: Header=BB43_13 Depth=4
	v_lshlrev_b64 v[24:25], 4, v[8:9]
	v_add_co_u32_e32 v24, vcc, v36, v24
	v_addc_co_u32_e32 v25, vcc, v37, v25, vcc
	v_lshlrev_b64 v[40:41], 4, v[20:21]
	v_add_co_u32_e32 v40, vcc, v6, v40
	v_addc_co_u32_e32 v41, vcc, v7, v41, vcc
	global_load_dwordx4 v[24:27], v[24:25], off
	s_nop 0
	global_load_dwordx4 v[40:43], v[40:41], off
	s_waitcnt vmcnt(0)
	v_fmac_f64_e32 v[0:1], v[24:25], v[40:41]
	v_fmac_f64_e32 v[2:3], v[26:27], v[40:41]
	v_fma_f64 v[0:1], -v[26:27], v[42:43], v[0:1]
	v_fmac_f64_e32 v[2:3], v[24:25], v[42:43]
	s_branch .LBB43_11
.LBB43_16:                              ;   in Loop: Header=BB43_9 Depth=3
	s_or_b64 exec, exec, s[52:53]
.LBB43_17:                              ;   in Loop: Header=BB43_9 Depth=3
	s_or_b64 exec, exec, s[6:7]
	v_lshlrev_b64 v[4:5], 4, v[12:13]
	v_mov_b32_e32 v6, s31
	v_add_co_u32_e32 v4, vcc, s30, v4
	v_addc_co_u32_e32 v5, vcc, v6, v5, vcc
	global_load_dwordx4 v[4:7], v[4:5], off
	v_cmp_le_i32_e64 s[6:7], v10, v16
	v_cmp_gt_i32_e32 vcc, v10, v16
	s_waitcnt vmcnt(0)
	v_add_f64 v[0:1], v[4:5], -v[0:1]
	v_add_f64 v[2:3], v[6:7], -v[2:3]
	s_and_saveexec_b64 s[52:53], vcc
	s_cbranch_execz .LBB43_27
; %bb.18:                               ;   in Loop: Header=BB43_9 Depth=3
	v_lshlrev_b64 v[4:5], 4, v[16:17]
	v_mov_b32_e32 v6, s37
	v_add_co_u32_e32 v4, vcc, s36, v4
	v_addc_co_u32_e32 v5, vcc, v6, v5, vcc
	global_load_dwordx4 v[4:7], v[4:5], off
                                        ; implicit-def: $vgpr26_vgpr27
	s_waitcnt vmcnt(0)
	v_xor_b32_e32 v13, 0x80000000, v5
	v_cmp_gt_f64_e32 vcc, 0, v[4:5]
	v_xor_b32_e32 v19, 0x80000000, v7
	v_cndmask_b32_e32 v23, v5, v13, vcc
	v_cmp_gt_f64_e32 vcc, 0, v[6:7]
	v_mov_b32_e32 v22, v4
	v_cndmask_b32_e32 v25, v7, v19, vcc
	v_mov_b32_e32 v24, v6
	v_cmp_ngt_f64_e32 vcc, v[22:23], v[24:25]
	s_and_saveexec_b64 s[54:55], vcc
	s_xor_b64 s[54:55], exec, s[54:55]
	s_cbranch_execz .LBB43_22
; %bb.19:                               ;   in Loop: Header=BB43_9 Depth=3
	v_cmp_neq_f64_e32 vcc, 0, v[6:7]
	v_pk_mov_b32 v[26:27], 0, 0
	s_and_saveexec_b64 s[56:57], vcc
	s_cbranch_execz .LBB43_21
; %bb.20:                               ;   in Loop: Header=BB43_9 Depth=3
	v_div_scale_f64 v[26:27], s[58:59], v[24:25], v[24:25], v[22:23]
	v_rcp_f64_e32 v[40:41], v[26:27]
	v_div_scale_f64 v[42:43], vcc, v[22:23], v[24:25], v[22:23]
	v_fma_f64 v[44:45], -v[26:27], v[40:41], 1.0
	v_fmac_f64_e32 v[40:41], v[40:41], v[44:45]
	v_fma_f64 v[44:45], -v[26:27], v[40:41], 1.0
	v_fmac_f64_e32 v[40:41], v[40:41], v[44:45]
	v_mul_f64 v[44:45], v[42:43], v[40:41]
	v_fma_f64 v[26:27], -v[26:27], v[44:45], v[42:43]
	v_div_fmas_f64 v[26:27], v[26:27], v[40:41], v[44:45]
	v_div_fixup_f64 v[22:23], v[26:27], v[24:25], v[22:23]
	v_fma_f64 v[22:23], v[22:23], v[22:23], 1.0
	v_cmp_gt_f64_e32 vcc, s[44:45], v[22:23]
	v_cndmask_b32_e64 v13, 0, 1, vcc
	v_lshlrev_b32_e32 v13, 8, v13
	v_ldexp_f64 v[22:23], v[22:23], v13
	v_rsq_f64_e32 v[26:27], v[22:23]
	v_cndmask_b32_e32 v13, 0, v33, vcc
	v_cmp_class_f64_e32 vcc, v[22:23], v32
	v_mul_f64 v[40:41], v[22:23], v[26:27]
	v_mul_f64 v[26:27], v[26:27], 0.5
	v_fma_f64 v[42:43], -v[26:27], v[40:41], 0.5
	v_fmac_f64_e32 v[40:41], v[40:41], v[42:43]
	v_fma_f64 v[44:45], -v[40:41], v[40:41], v[22:23]
	v_fmac_f64_e32 v[26:27], v[26:27], v[42:43]
	v_fmac_f64_e32 v[40:41], v[44:45], v[26:27]
	v_fma_f64 v[42:43], -v[40:41], v[40:41], v[22:23]
	v_fmac_f64_e32 v[40:41], v[42:43], v[26:27]
	v_ldexp_f64 v[26:27], v[40:41], v13
	v_cndmask_b32_e32 v23, v27, v23, vcc
	v_cndmask_b32_e32 v22, v26, v22, vcc
	v_mul_f64 v[26:27], v[24:25], v[22:23]
.LBB43_21:                              ;   in Loop: Header=BB43_9 Depth=3
	s_or_b64 exec, exec, s[56:57]
                                        ; implicit-def: $vgpr22_vgpr23
                                        ; implicit-def: $vgpr24_vgpr25
.LBB43_22:                              ;   in Loop: Header=BB43_9 Depth=3
	s_andn2_saveexec_b64 s[54:55], s[54:55]
	s_cbranch_execz .LBB43_24
; %bb.23:                               ;   in Loop: Header=BB43_9 Depth=3
	v_div_scale_f64 v[26:27], s[56:57], v[22:23], v[22:23], v[24:25]
	v_rcp_f64_e32 v[40:41], v[26:27]
	v_div_scale_f64 v[42:43], vcc, v[24:25], v[22:23], v[24:25]
	v_fma_f64 v[44:45], -v[26:27], v[40:41], 1.0
	v_fmac_f64_e32 v[40:41], v[40:41], v[44:45]
	v_fma_f64 v[44:45], -v[26:27], v[40:41], 1.0
	v_fmac_f64_e32 v[40:41], v[40:41], v[44:45]
	v_mul_f64 v[44:45], v[42:43], v[40:41]
	v_fma_f64 v[26:27], -v[26:27], v[44:45], v[42:43]
	v_div_fmas_f64 v[26:27], v[26:27], v[40:41], v[44:45]
	v_div_fixup_f64 v[24:25], v[26:27], v[22:23], v[24:25]
	v_fma_f64 v[24:25], v[24:25], v[24:25], 1.0
	v_cmp_gt_f64_e32 vcc, s[44:45], v[24:25]
	v_cndmask_b32_e64 v13, 0, 1, vcc
	v_lshlrev_b32_e32 v13, 8, v13
	v_ldexp_f64 v[24:25], v[24:25], v13
	v_rsq_f64_e32 v[26:27], v[24:25]
	v_cndmask_b32_e32 v13, 0, v33, vcc
	v_cmp_class_f64_e32 vcc, v[24:25], v32
	v_mul_f64 v[40:41], v[24:25], v[26:27]
	v_mul_f64 v[26:27], v[26:27], 0.5
	v_fma_f64 v[42:43], -v[26:27], v[40:41], 0.5
	v_fmac_f64_e32 v[40:41], v[40:41], v[42:43]
	v_fma_f64 v[44:45], -v[40:41], v[40:41], v[24:25]
	v_fmac_f64_e32 v[26:27], v[26:27], v[42:43]
	v_fmac_f64_e32 v[40:41], v[44:45], v[26:27]
	v_fma_f64 v[42:43], -v[40:41], v[40:41], v[24:25]
	v_fmac_f64_e32 v[40:41], v[42:43], v[26:27]
	v_ldexp_f64 v[26:27], v[40:41], v13
	v_cndmask_b32_e32 v25, v27, v25, vcc
	v_cndmask_b32_e32 v24, v26, v24, vcc
	v_mul_f64 v[26:27], v[22:23], v[24:25]
.LBB43_24:                              ;   in Loop: Header=BB43_9 Depth=3
	s_or_b64 exec, exec, s[54:55]
	v_pk_mov_b32 v[22:23], 0, 0
	v_cmp_lt_f64_e32 vcc, 0, v[26:27]
	v_pk_mov_b32 v[24:25], v[22:23], v[22:23] op_sel:[0,1]
	s_and_saveexec_b64 s[54:55], vcc
	s_cbranch_execz .LBB43_26
; %bb.25:                               ;   in Loop: Header=BB43_9 Depth=3
	v_mul_f64 v[22:23], v[6:7], v[6:7]
	v_fmac_f64_e32 v[22:23], v[4:5], v[4:5]
	v_div_scale_f64 v[24:25], s[56:57], v[22:23], v[22:23], 1.0
	v_rcp_f64_e32 v[26:27], v[24:25]
	v_div_scale_f64 v[40:41], vcc, 1.0, v[22:23], 1.0
	v_fma_f64 v[42:43], -v[24:25], v[26:27], 1.0
	v_fmac_f64_e32 v[26:27], v[26:27], v[42:43]
	v_fma_f64 v[42:43], -v[24:25], v[26:27], 1.0
	v_fmac_f64_e32 v[26:27], v[26:27], v[42:43]
	v_mul_f64 v[42:43], v[40:41], v[26:27]
	v_fma_f64 v[24:25], -v[24:25], v[42:43], v[40:41]
	v_div_fmas_f64 v[24:25], v[24:25], v[26:27], v[42:43]
	v_div_fixup_f64 v[24:25], v[24:25], v[22:23], 1.0
	v_mul_f64 v[22:23], v[2:3], v[6:7]
	v_fmac_f64_e32 v[22:23], v[0:1], v[4:5]
	v_mul_f64 v[0:1], v[6:7], -v[0:1]
	v_fmac_f64_e32 v[0:1], v[2:3], v[4:5]
	v_mul_f64 v[22:23], v[22:23], v[24:25]
	v_mul_f64 v[24:25], v[0:1], v[24:25]
.LBB43_26:                              ;   in Loop: Header=BB43_9 Depth=3
	s_or_b64 exec, exec, s[54:55]
	v_pk_mov_b32 v[0:1], v[22:23], v[22:23] op_sel:[0,1]
	v_pk_mov_b32 v[2:3], v[24:25], v[24:25] op_sel:[0,1]
.LBB43_27:                              ;   in Loop: Header=BB43_9 Depth=3
	s_or_b64 exec, exec, s[52:53]
	v_xor_b32_e32 v4, 0x80000000, v1
	v_cmp_gt_f64_e32 vcc, 0, v[0:1]
	v_cndmask_b32_e32 v5, v1, v4, vcc
	v_cndmask_b32_e32 v4, v0, v0, vcc
	v_xor_b32_e32 v6, 0x80000000, v3
	v_cmp_gt_f64_e32 vcc, 0, v[2:3]
	v_cndmask_b32_e32 v7, v3, v6, vcc
	v_cndmask_b32_e32 v6, v2, v2, vcc
	v_cmp_ngt_f64_e32 vcc, v[4:5], v[6:7]
                                        ; implicit-def: $vgpr22_vgpr23
	s_and_saveexec_b64 s[52:53], vcc
	s_xor_b64 s[52:53], exec, s[52:53]
	s_cbranch_execnz .LBB43_30
; %bb.28:                               ;   in Loop: Header=BB43_9 Depth=3
	s_andn2_saveexec_b64 s[52:53], s[52:53]
	s_cbranch_execnz .LBB43_33
.LBB43_29:                              ;   in Loop: Header=BB43_9 Depth=3
	s_or_b64 exec, exec, s[52:53]
	v_cmp_class_f64_e64 s[54:55], v[22:23], s74
	s_and_saveexec_b64 s[52:53], s[54:55]
	s_cbranch_execz .LBB43_8
	s_branch .LBB43_34
.LBB43_30:                              ;   in Loop: Header=BB43_9 Depth=3
	v_cmp_neq_f64_e32 vcc, 0, v[2:3]
	v_pk_mov_b32 v[22:23], 0, 0
	s_and_saveexec_b64 s[54:55], vcc
	s_cbranch_execz .LBB43_32
; %bb.31:                               ;   in Loop: Header=BB43_9 Depth=3
	v_div_scale_f64 v[22:23], s[56:57], v[6:7], v[6:7], v[4:5]
	v_rcp_f64_e32 v[24:25], v[22:23]
	v_div_scale_f64 v[26:27], vcc, v[4:5], v[6:7], v[4:5]
	v_fma_f64 v[40:41], -v[22:23], v[24:25], 1.0
	v_fmac_f64_e32 v[24:25], v[24:25], v[40:41]
	v_fma_f64 v[40:41], -v[22:23], v[24:25], 1.0
	v_fmac_f64_e32 v[24:25], v[24:25], v[40:41]
	v_mul_f64 v[40:41], v[26:27], v[24:25]
	v_fma_f64 v[22:23], -v[22:23], v[40:41], v[26:27]
	v_div_fmas_f64 v[22:23], v[22:23], v[24:25], v[40:41]
	v_div_fixup_f64 v[4:5], v[22:23], v[6:7], v[4:5]
	v_fma_f64 v[4:5], v[4:5], v[4:5], 1.0
	v_cmp_gt_f64_e32 vcc, s[44:45], v[4:5]
	v_cndmask_b32_e64 v13, 0, 1, vcc
	v_lshlrev_b32_e32 v13, 8, v13
	v_ldexp_f64 v[4:5], v[4:5], v13
	v_rsq_f64_e32 v[22:23], v[4:5]
	v_cndmask_b32_e32 v13, 0, v33, vcc
	v_cmp_class_f64_e32 vcc, v[4:5], v32
	v_mul_f64 v[24:25], v[4:5], v[22:23]
	v_mul_f64 v[22:23], v[22:23], 0.5
	v_fma_f64 v[26:27], -v[22:23], v[24:25], 0.5
	v_fmac_f64_e32 v[24:25], v[24:25], v[26:27]
	v_fma_f64 v[40:41], -v[24:25], v[24:25], v[4:5]
	v_fmac_f64_e32 v[22:23], v[22:23], v[26:27]
	v_fmac_f64_e32 v[24:25], v[40:41], v[22:23]
	v_fma_f64 v[26:27], -v[24:25], v[24:25], v[4:5]
	v_fmac_f64_e32 v[24:25], v[26:27], v[22:23]
	v_ldexp_f64 v[22:23], v[24:25], v13
	v_cndmask_b32_e32 v5, v23, v5, vcc
	v_cndmask_b32_e32 v4, v22, v4, vcc
	v_mul_f64 v[22:23], v[6:7], v[4:5]
.LBB43_32:                              ;   in Loop: Header=BB43_9 Depth=3
	s_or_b64 exec, exec, s[54:55]
                                        ; implicit-def: $vgpr4_vgpr5
                                        ; implicit-def: $vgpr6_vgpr7
	s_andn2_saveexec_b64 s[52:53], s[52:53]
	s_cbranch_execz .LBB43_29
.LBB43_33:                              ;   in Loop: Header=BB43_9 Depth=3
	v_div_scale_f64 v[22:23], s[54:55], v[4:5], v[4:5], v[6:7]
	v_rcp_f64_e32 v[24:25], v[22:23]
	v_div_scale_f64 v[26:27], vcc, v[6:7], v[4:5], v[6:7]
	v_fma_f64 v[40:41], -v[22:23], v[24:25], 1.0
	v_fmac_f64_e32 v[24:25], v[24:25], v[40:41]
	v_fma_f64 v[40:41], -v[22:23], v[24:25], 1.0
	v_fmac_f64_e32 v[24:25], v[24:25], v[40:41]
	v_mul_f64 v[40:41], v[26:27], v[24:25]
	v_fma_f64 v[22:23], -v[22:23], v[40:41], v[26:27]
	v_div_fmas_f64 v[22:23], v[22:23], v[24:25], v[40:41]
	v_div_fixup_f64 v[6:7], v[22:23], v[4:5], v[6:7]
	v_fma_f64 v[6:7], v[6:7], v[6:7], 1.0
	v_cmp_gt_f64_e32 vcc, s[44:45], v[6:7]
	v_cndmask_b32_e64 v13, 0, 1, vcc
	v_lshlrev_b32_e32 v13, 8, v13
	v_ldexp_f64 v[6:7], v[6:7], v13
	v_rsq_f64_e32 v[22:23], v[6:7]
	v_cndmask_b32_e32 v13, 0, v33, vcc
	v_cmp_class_f64_e32 vcc, v[6:7], v32
	v_mul_f64 v[24:25], v[6:7], v[22:23]
	v_mul_f64 v[22:23], v[22:23], 0.5
	v_fma_f64 v[26:27], -v[22:23], v[24:25], 0.5
	v_fmac_f64_e32 v[24:25], v[24:25], v[26:27]
	v_fma_f64 v[40:41], -v[24:25], v[24:25], v[6:7]
	v_fmac_f64_e32 v[22:23], v[22:23], v[26:27]
	v_fmac_f64_e32 v[24:25], v[40:41], v[22:23]
	v_fma_f64 v[26:27], -v[24:25], v[24:25], v[6:7]
	v_fmac_f64_e32 v[24:25], v[26:27], v[22:23]
	v_ldexp_f64 v[22:23], v[24:25], v13
	v_cndmask_b32_e32 v7, v23, v7, vcc
	v_cndmask_b32_e32 v6, v22, v6, vcc
	v_mul_f64 v[22:23], v[4:5], v[6:7]
	s_or_b64 exec, exec, s[52:53]
	v_cmp_class_f64_e64 s[54:55], v[22:23], s74
	s_and_saveexec_b64 s[52:53], s[54:55]
	s_cbranch_execz .LBB43_8
.LBB43_34:                              ;   in Loop: Header=BB43_9 Depth=3
	s_mov_b64 s[54:55], 0
                                        ; implicit-def: $vgpr4_vgpr5
	s_and_saveexec_b64 s[56:57], s[6:7]
	s_xor_b64 s[6:7], exec, s[56:57]
	s_cbranch_execnz .LBB43_37
; %bb.35:                               ;   in Loop: Header=BB43_9 Depth=3
	s_andn2_saveexec_b64 s[6:7], s[6:7]
	s_cbranch_execnz .LBB43_50
.LBB43_36:                              ;   in Loop: Header=BB43_9 Depth=3
	s_or_b64 exec, exec, s[6:7]
	s_and_b64 exec, exec, s[54:55]
	s_cbranch_execz .LBB43_8
	s_branch .LBB43_59
.LBB43_37:                              ;   in Loop: Header=BB43_9 Depth=3
	v_cmp_ge_i32_e32 vcc, v10, v16
                                        ; implicit-def: $vgpr4_vgpr5
	s_and_saveexec_b64 s[56:57], vcc
	s_xor_b64 s[56:57], exec, s[56:57]
; %bb.38:                               ;   in Loop: Header=BB43_9 Depth=3
	v_lshlrev_b64 v[4:5], 4, v[16:17]
	v_mov_b32_e32 v6, s39
	v_add_co_u32_e32 v4, vcc, s38, v4
	s_mov_b64 s[54:55], exec
	v_addc_co_u32_e32 v5, vcc, v6, v5, vcc
                                        ; implicit-def: $vgpr20
                                        ; implicit-def: $vgpr38
                                        ; implicit-def: $vgpr18
; %bb.39:                               ;   in Loop: Header=BB43_9 Depth=3
	s_andn2_saveexec_b64 s[56:57], s[56:57]
	s_cbranch_execz .LBB43_49
; %bb.40:                               ;   in Loop: Header=BB43_9 Depth=3
	v_cmp_lt_i32_e32 vcc, v20, v38
	s_mov_b64 s[60:61], s[54:55]
                                        ; implicit-def: $vgpr4_vgpr5
	s_and_saveexec_b64 s[58:59], vcc
	s_cbranch_execz .LBB43_48
; %bb.41:                               ;   in Loop: Header=BB43_9 Depth=3
	s_mov_b64 s[62:63], 0
                                        ; implicit-def: $sgpr60_sgpr61
                                        ; implicit-def: $sgpr66_sgpr67
                                        ; implicit-def: $sgpr64_sgpr65
	s_branch .LBB43_43
.LBB43_42:                              ;   in Loop: Header=BB43_43 Depth=4
	s_or_b64 exec, exec, s[68:69]
	s_and_b64 s[68:69], exec, s[66:67]
	s_or_b64 s[62:63], s[68:69], s[62:63]
	s_andn2_b64 s[60:61], s[60:61], exec
	s_and_b64 s[68:69], s[64:65], exec
	s_or_b64 s[60:61], s[60:61], s[68:69]
	s_andn2_b64 exec, exec, s[62:63]
	s_cbranch_execz .LBB43_45
.LBB43_43:                              ;   Parent Loop BB43_3 Depth=1
                                        ;     Parent Loop BB43_5 Depth=2
                                        ;       Parent Loop BB43_9 Depth=3
                                        ; =>      This Inner Loop Header: Depth=4
	v_add_u32_e32 v6, v18, v20
	v_ashrrev_i32_e32 v7, 31, v6
	v_lshlrev_b64 v[4:5], 2, v[6:7]
	v_mov_b32_e32 v8, s13
	v_add_co_u32_e32 v4, vcc, s12, v4
	v_addc_co_u32_e32 v5, vcc, v8, v5, vcc
	global_load_dword v4, v[4:5], off
	s_or_b64 s[64:65], s[64:65], exec
	s_or_b64 s[66:67], s[66:67], exec
	s_waitcnt vmcnt(0)
	v_subrev_u32_e32 v4, s72, v4
	v_cmp_ne_u32_e32 vcc, v4, v10
	s_and_saveexec_b64 s[68:69], vcc
	s_cbranch_execz .LBB43_42
; %bb.44:                               ;   in Loop: Header=BB43_43 Depth=4
	v_add_u32_e32 v20, 1, v20
	v_cmp_ge_i32_e32 vcc, v20, v38
	s_andn2_b64 s[66:67], s[66:67], exec
	s_and_b64 s[76:77], vcc, exec
	s_andn2_b64 s[64:65], s[64:65], exec
	s_or_b64 s[66:67], s[66:67], s[76:77]
	s_branch .LBB43_42
.LBB43_45:                              ;   in Loop: Header=BB43_9 Depth=3
	s_or_b64 exec, exec, s[62:63]
	s_mov_b64 s[62:63], s[54:55]
                                        ; implicit-def: $vgpr4_vgpr5
	s_and_saveexec_b64 s[64:65], s[60:61]
	s_xor_b64 s[60:61], exec, s[64:65]
; %bb.46:                               ;   in Loop: Header=BB43_9 Depth=3
	v_lshlrev_b64 v[4:5], 4, v[6:7]
	v_mov_b32_e32 v6, s43
	v_add_co_u32_e32 v4, vcc, s42, v4
	v_addc_co_u32_e32 v5, vcc, v6, v5, vcc
	s_or_b64 s[62:63], s[54:55], exec
; %bb.47:                               ;   in Loop: Header=BB43_9 Depth=3
	s_or_b64 exec, exec, s[60:61]
	s_andn2_b64 s[60:61], s[54:55], exec
	s_and_b64 s[62:63], s[62:63], exec
	s_or_b64 s[60:61], s[60:61], s[62:63]
.LBB43_48:                              ;   in Loop: Header=BB43_9 Depth=3
	s_or_b64 exec, exec, s[58:59]
	s_andn2_b64 s[54:55], s[54:55], exec
	s_and_b64 s[58:59], s[60:61], exec
	s_or_b64 s[54:55], s[54:55], s[58:59]
.LBB43_49:                              ;   in Loop: Header=BB43_9 Depth=3
	s_or_b64 exec, exec, s[56:57]
	s_and_b64 s[54:55], s[54:55], exec
                                        ; implicit-def: $vgpr16_vgpr17
	s_andn2_saveexec_b64 s[6:7], s[6:7]
	s_cbranch_execz .LBB43_36
.LBB43_50:                              ;   in Loop: Header=BB43_9 Depth=3
	v_cmp_lt_i32_e32 vcc, v8, v34
	s_mov_b64 s[58:59], s[54:55]
                                        ; implicit-def: $vgpr4_vgpr5
	s_and_saveexec_b64 s[56:57], vcc
	s_cbranch_execz .LBB43_58
; %bb.51:                               ;   in Loop: Header=BB43_9 Depth=3
	s_mov_b64 s[60:61], 0
                                        ; implicit-def: $sgpr58_sgpr59
                                        ; implicit-def: $sgpr64_sgpr65
                                        ; implicit-def: $sgpr62_sgpr63
	s_branch .LBB43_53
.LBB43_52:                              ;   in Loop: Header=BB43_53 Depth=4
	s_or_b64 exec, exec, s[66:67]
	s_and_b64 s[66:67], exec, s[64:65]
	s_or_b64 s[60:61], s[66:67], s[60:61]
	s_andn2_b64 s[58:59], s[58:59], exec
	s_and_b64 s[66:67], s[62:63], exec
	s_or_b64 s[58:59], s[58:59], s[66:67]
	s_andn2_b64 exec, exec, s[60:61]
	s_cbranch_execz .LBB43_55
.LBB43_53:                              ;   Parent Loop BB43_3 Depth=1
                                        ;     Parent Loop BB43_5 Depth=2
                                        ;       Parent Loop BB43_9 Depth=3
                                        ; =>      This Inner Loop Header: Depth=4
	v_add_u32_e32 v6, v14, v8
	v_ashrrev_i32_e32 v7, 31, v6
	v_lshlrev_b64 v[4:5], 2, v[6:7]
	v_mov_b32_e32 v13, s21
	v_add_co_u32_e32 v4, vcc, s20, v4
	v_addc_co_u32_e32 v5, vcc, v13, v5, vcc
	global_load_dword v4, v[4:5], off
	s_or_b64 s[62:63], s[62:63], exec
	s_or_b64 s[64:65], s[64:65], exec
	s_waitcnt vmcnt(0)
	v_subrev_u32_e32 v4, s71, v4
	v_cmp_ne_u32_e32 vcc, v4, v16
	s_and_saveexec_b64 s[66:67], vcc
	s_cbranch_execz .LBB43_52
; %bb.54:                               ;   in Loop: Header=BB43_53 Depth=4
	v_add_u32_e32 v8, 1, v8
	v_cmp_ge_i32_e32 vcc, v8, v34
	s_andn2_b64 s[64:65], s[64:65], exec
	s_and_b64 s[68:69], vcc, exec
	s_andn2_b64 s[62:63], s[62:63], exec
	s_or_b64 s[64:65], s[64:65], s[68:69]
	s_branch .LBB43_52
.LBB43_55:                              ;   in Loop: Header=BB43_9 Depth=3
	s_or_b64 exec, exec, s[60:61]
	s_mov_b64 s[60:61], s[54:55]
                                        ; implicit-def: $vgpr4_vgpr5
	s_and_saveexec_b64 s[62:63], s[58:59]
	s_xor_b64 s[58:59], exec, s[62:63]
; %bb.56:                               ;   in Loop: Header=BB43_9 Depth=3
	v_lshlrev_b64 v[4:5], 4, v[6:7]
	v_mov_b32_e32 v6, s41
	v_add_co_u32_e32 v4, vcc, s40, v4
	v_addc_co_u32_e32 v5, vcc, v6, v5, vcc
	s_or_b64 s[60:61], s[54:55], exec
; %bb.57:                               ;   in Loop: Header=BB43_9 Depth=3
	s_or_b64 exec, exec, s[58:59]
	s_andn2_b64 s[58:59], s[54:55], exec
	s_and_b64 s[60:61], s[60:61], exec
	s_or_b64 s[58:59], s[58:59], s[60:61]
.LBB43_58:                              ;   in Loop: Header=BB43_9 Depth=3
	s_or_b64 exec, exec, s[56:57]
	s_andn2_b64 s[54:55], s[54:55], exec
	s_and_b64 s[56:57], s[58:59], exec
	s_or_b64 s[54:55], s[54:55], s[56:57]
	s_or_b64 exec, exec, s[6:7]
	s_and_b64 exec, exec, s[54:55]
	s_cbranch_execz .LBB43_8
.LBB43_59:                              ;   in Loop: Header=BB43_9 Depth=3
	global_store_dwordx4 v[4:5], v[0:3], off
	s_branch .LBB43_8
.LBB43_60:                              ;   in Loop: Header=BB43_3 Depth=1
	s_and_saveexec_b64 s[4:5], s[0:1]
	s_cbranch_execz .LBB43_2
; %bb.61:                               ;   in Loop: Header=BB43_3 Depth=1
	s_mov_b64 s[6:7], 0
	v_mov_b32_e32 v0, v28
	s_branch .LBB43_63
.LBB43_62:                              ;   in Loop: Header=BB43_63 Depth=2
	s_or_b64 exec, exec, s[46:47]
	v_add_u32_e32 v0, 0x200, v0
	v_cmp_le_u32_e32 vcc, s73, v0
	s_or_b64 s[6:7], vcc, s[6:7]
	s_andn2_b64 exec, exec, s[6:7]
	s_cbranch_execz .LBB43_2
.LBB43_63:                              ;   Parent Loop BB43_3 Depth=1
                                        ; =>  This Loop Header: Depth=2
                                        ;       Child Loop BB43_66 Depth 3
                                        ;       Child Loop BB43_69 Depth 3
	v_cmp_gt_i32_e32 vcc, s35, v0
	s_and_saveexec_b64 s[46:47], vcc
	s_cbranch_execz .LBB43_62
; %bb.64:                               ;   in Loop: Header=BB43_63 Depth=2
	v_ashrrev_i32_e32 v1, 31, v0
	v_lshlrev_b64 v[2:3], 2, v[0:1]
	v_mov_b32_e32 v5, s17
	v_add_co_u32_e32 v4, vcc, s16, v2
	v_addc_co_u32_e32 v5, vcc, v5, v3, vcc
	global_load_dword v6, v[4:5], off
	v_mov_b32_e32 v5, s19
	v_add_co_u32_e32 v4, vcc, s18, v2
	v_addc_co_u32_e32 v5, vcc, v5, v3, vcc
	global_load_dword v5, v[4:5], off
	s_waitcnt vmcnt(1)
	v_add_u32_e32 v4, v30, v6
	s_waitcnt vmcnt(0)
	v_subrev_u32_e32 v8, s71, v5
	v_cmp_lt_i32_e32 vcc, v4, v8
	s_and_saveexec_b64 s[48:49], vcc
	s_cbranch_execz .LBB43_67
; %bb.65:                               ;   in Loop: Header=BB43_63 Depth=2
	v_ashrrev_i32_e32 v5, 31, v4
	v_lshlrev_b64 v[10:11], 4, v[4:5]
	v_mov_b32_e32 v5, s23
	v_add_co_u32_e32 v6, vcc, s22, v10
	v_addc_co_u32_e32 v7, vcc, v5, v11, vcc
	v_mov_b32_e32 v5, s41
	v_add_co_u32_e32 v10, vcc, s40, v10
	v_addc_co_u32_e32 v11, vcc, v5, v11, vcc
	s_mov_b64 s[50:51], 0
.LBB43_66:                              ;   Parent Loop BB43_3 Depth=1
                                        ;     Parent Loop BB43_63 Depth=2
                                        ; =>    This Inner Loop Header: Depth=3
	global_load_dwordx4 v[12:15], v[10:11], off
	v_add_co_u32_e32 v10, vcc, 32, v10
	v_add_u32_e32 v4, 2, v4
	v_addc_co_u32_e32 v11, vcc, 0, v11, vcc
	v_cmp_ge_i32_e32 vcc, v4, v8
	s_or_b64 s[50:51], vcc, s[50:51]
	s_waitcnt vmcnt(0)
	global_store_dwordx4 v[6:7], v[12:15], off
	v_add_co_u32_e32 v6, vcc, 32, v6
	v_addc_co_u32_e32 v7, vcc, 0, v7, vcc
	s_andn2_b64 exec, exec, s[50:51]
	s_cbranch_execnz .LBB43_66
.LBB43_67:                              ;   in Loop: Header=BB43_63 Depth=2
	s_or_b64 exec, exec, s[48:49]
	v_mov_b32_e32 v5, s9
	v_add_co_u32_e32 v4, vcc, s8, v2
	v_addc_co_u32_e32 v5, vcc, v5, v3, vcc
	global_load_dword v4, v[4:5], off
	v_mov_b32_e32 v5, s11
	v_add_co_u32_e32 v2, vcc, s10, v2
	v_addc_co_u32_e32 v3, vcc, v5, v3, vcc
	global_load_dword v3, v[2:3], off
	s_waitcnt vmcnt(1)
	v_add_u32_e32 v2, v31, v4
	s_waitcnt vmcnt(0)
	v_subrev_u32_e32 v8, s72, v3
	v_cmp_lt_i32_e32 vcc, v2, v8
	s_and_saveexec_b64 s[48:49], vcc
	s_cbranch_execz .LBB43_70
; %bb.68:                               ;   in Loop: Header=BB43_63 Depth=2
	v_ashrrev_i32_e32 v3, 31, v2
	v_lshlrev_b64 v[6:7], 4, v[2:3]
	v_mov_b32_e32 v3, s15
	v_add_co_u32_e32 v4, vcc, s14, v6
	v_addc_co_u32_e32 v5, vcc, v3, v7, vcc
	v_mov_b32_e32 v3, s43
	v_add_co_u32_e32 v6, vcc, s42, v6
	v_addc_co_u32_e32 v7, vcc, v3, v7, vcc
	s_mov_b64 s[50:51], 0
.LBB43_69:                              ;   Parent Loop BB43_3 Depth=1
                                        ;     Parent Loop BB43_63 Depth=2
                                        ; =>    This Inner Loop Header: Depth=3
	global_load_dwordx4 v[10:13], v[6:7], off
	v_add_co_u32_e32 v6, vcc, 32, v6
	v_add_u32_e32 v2, 2, v2
	v_addc_co_u32_e32 v7, vcc, 0, v7, vcc
	v_cmp_ge_i32_e32 vcc, v2, v8
	s_or_b64 s[50:51], vcc, s[50:51]
	s_waitcnt vmcnt(0)
	global_store_dwordx4 v[4:5], v[10:13], off
	v_add_co_u32_e32 v4, vcc, 32, v4
	v_addc_co_u32_e32 v5, vcc, 0, v5, vcc
	s_andn2_b64 exec, exec, s[50:51]
	s_cbranch_execnz .LBB43_69
.LBB43_70:                              ;   in Loop: Header=BB43_63 Depth=2
	s_or_b64 exec, exec, s[48:49]
	s_and_b64 exec, exec, s[2:3]
	s_cbranch_execz .LBB43_62
; %bb.71:                               ;   in Loop: Header=BB43_63 Depth=2
	v_lshlrev_b64 v[6:7], 4, v[0:1]
	v_mov_b32_e32 v1, s39
	v_add_co_u32_e32 v2, vcc, s38, v6
	v_addc_co_u32_e32 v3, vcc, v1, v7, vcc
	global_load_dwordx4 v[2:5], v[2:3], off
	v_mov_b32_e32 v1, s37
	v_add_co_u32_e32 v6, vcc, s36, v6
	v_addc_co_u32_e32 v7, vcc, v1, v7, vcc
	s_waitcnt vmcnt(0)
	global_store_dwordx4 v[6:7], v[2:5], off
	s_branch .LBB43_62
.LBB43_72:
	s_endpgm
	.section	.rodata,"a",@progbits
	.p2align	6, 0x0
	.amdhsa_kernel _ZN9rocsparseL14kernel_freerunILi1024ELi2E21rocsparse_complex_numIdEiiEEvT3_S3_T2_PKS4_S6_PKS3_PKT1_21rocsparse_index_base_S6_S6_S8_PS9_SD_SC_S6_S6_S8_SD_SD_SC_SD_SD_
		.amdhsa_group_segment_fixed_size 0
		.amdhsa_private_segment_fixed_size 0
		.amdhsa_kernarg_size 168
		.amdhsa_user_sgpr_count 6
		.amdhsa_user_sgpr_private_segment_buffer 1
		.amdhsa_user_sgpr_dispatch_ptr 0
		.amdhsa_user_sgpr_queue_ptr 0
		.amdhsa_user_sgpr_kernarg_segment_ptr 1
		.amdhsa_user_sgpr_dispatch_id 0
		.amdhsa_user_sgpr_flat_scratch_init 0
		.amdhsa_user_sgpr_kernarg_preload_length 0
		.amdhsa_user_sgpr_kernarg_preload_offset 0
		.amdhsa_user_sgpr_private_segment_size 0
		.amdhsa_uses_dynamic_stack 0
		.amdhsa_system_sgpr_private_segment_wavefront_offset 0
		.amdhsa_system_sgpr_workgroup_id_x 1
		.amdhsa_system_sgpr_workgroup_id_y 0
		.amdhsa_system_sgpr_workgroup_id_z 0
		.amdhsa_system_sgpr_workgroup_info 0
		.amdhsa_system_vgpr_workitem_id 0
		.amdhsa_next_free_vgpr 46
		.amdhsa_next_free_sgpr 78
		.amdhsa_accum_offset 48
		.amdhsa_reserve_vcc 1
		.amdhsa_reserve_flat_scratch 0
		.amdhsa_float_round_mode_32 0
		.amdhsa_float_round_mode_16_64 0
		.amdhsa_float_denorm_mode_32 3
		.amdhsa_float_denorm_mode_16_64 3
		.amdhsa_dx10_clamp 1
		.amdhsa_ieee_mode 1
		.amdhsa_fp16_overflow 0
		.amdhsa_tg_split 0
		.amdhsa_exception_fp_ieee_invalid_op 0
		.amdhsa_exception_fp_denorm_src 0
		.amdhsa_exception_fp_ieee_div_zero 0
		.amdhsa_exception_fp_ieee_overflow 0
		.amdhsa_exception_fp_ieee_underflow 0
		.amdhsa_exception_fp_ieee_inexact 0
		.amdhsa_exception_int_div_zero 0
	.end_amdhsa_kernel
	.section	.text._ZN9rocsparseL14kernel_freerunILi1024ELi2E21rocsparse_complex_numIdEiiEEvT3_S3_T2_PKS4_S6_PKS3_PKT1_21rocsparse_index_base_S6_S6_S8_PS9_SD_SC_S6_S6_S8_SD_SD_SC_SD_SD_,"axG",@progbits,_ZN9rocsparseL14kernel_freerunILi1024ELi2E21rocsparse_complex_numIdEiiEEvT3_S3_T2_PKS4_S6_PKS3_PKT1_21rocsparse_index_base_S6_S6_S8_PS9_SD_SC_S6_S6_S8_SD_SD_SC_SD_SD_,comdat
.Lfunc_end43:
	.size	_ZN9rocsparseL14kernel_freerunILi1024ELi2E21rocsparse_complex_numIdEiiEEvT3_S3_T2_PKS4_S6_PKS3_PKT1_21rocsparse_index_base_S6_S6_S8_PS9_SD_SC_S6_S6_S8_SD_SD_SC_SD_SD_, .Lfunc_end43-_ZN9rocsparseL14kernel_freerunILi1024ELi2E21rocsparse_complex_numIdEiiEEvT3_S3_T2_PKS4_S6_PKS3_PKT1_21rocsparse_index_base_S6_S6_S8_PS9_SD_SC_S6_S6_S8_SD_SD_SC_SD_SD_
                                        ; -- End function
	.section	.AMDGPU.csdata,"",@progbits
; Kernel info:
; codeLenInByte = 3300
; NumSgprs: 82
; NumVgprs: 46
; NumAgprs: 0
; TotalNumVgprs: 46
; ScratchSize: 0
; MemoryBound: 1
; FloatMode: 240
; IeeeMode: 1
; LDSByteSize: 0 bytes/workgroup (compile time only)
; SGPRBlocks: 10
; VGPRBlocks: 5
; NumSGPRsForWavesPerEU: 82
; NumVGPRsForWavesPerEU: 46
; AccumOffset: 48
; Occupancy: 8
; WaveLimiterHint : 1
; COMPUTE_PGM_RSRC2:SCRATCH_EN: 0
; COMPUTE_PGM_RSRC2:USER_SGPR: 6
; COMPUTE_PGM_RSRC2:TRAP_HANDLER: 0
; COMPUTE_PGM_RSRC2:TGID_X_EN: 1
; COMPUTE_PGM_RSRC2:TGID_Y_EN: 0
; COMPUTE_PGM_RSRC2:TGID_Z_EN: 0
; COMPUTE_PGM_RSRC2:TIDIG_COMP_CNT: 0
; COMPUTE_PGM_RSRC3_GFX90A:ACCUM_OFFSET: 11
; COMPUTE_PGM_RSRC3_GFX90A:TG_SPLIT: 0
	.section	.text._ZN9rocsparseL14kernel_freerunILi1024ELi4E21rocsparse_complex_numIdEiiEEvT3_S3_T2_PKS4_S6_PKS3_PKT1_21rocsparse_index_base_S6_S6_S8_PS9_SD_SC_S6_S6_S8_SD_SD_SC_SD_SD_,"axG",@progbits,_ZN9rocsparseL14kernel_freerunILi1024ELi4E21rocsparse_complex_numIdEiiEEvT3_S3_T2_PKS4_S6_PKS3_PKT1_21rocsparse_index_base_S6_S6_S8_PS9_SD_SC_S6_S6_S8_SD_SD_SC_SD_SD_,comdat
	.globl	_ZN9rocsparseL14kernel_freerunILi1024ELi4E21rocsparse_complex_numIdEiiEEvT3_S3_T2_PKS4_S6_PKS3_PKT1_21rocsparse_index_base_S6_S6_S8_PS9_SD_SC_S6_S6_S8_SD_SD_SC_SD_SD_ ; -- Begin function _ZN9rocsparseL14kernel_freerunILi1024ELi4E21rocsparse_complex_numIdEiiEEvT3_S3_T2_PKS4_S6_PKS3_PKT1_21rocsparse_index_base_S6_S6_S8_PS9_SD_SC_S6_S6_S8_SD_SD_SC_SD_SD_
	.p2align	8
	.type	_ZN9rocsparseL14kernel_freerunILi1024ELi4E21rocsparse_complex_numIdEiiEEvT3_S3_T2_PKS4_S6_PKS3_PKT1_21rocsparse_index_base_S6_S6_S8_PS9_SD_SC_S6_S6_S8_SD_SD_SC_SD_SD_,@function
_ZN9rocsparseL14kernel_freerunILi1024ELi4E21rocsparse_complex_numIdEiiEEvT3_S3_T2_PKS4_S6_PKS3_PKT1_21rocsparse_index_base_S6_S6_S8_PS9_SD_SC_S6_S6_S8_SD_SD_SC_SD_SD_: ; @_ZN9rocsparseL14kernel_freerunILi1024ELi4E21rocsparse_complex_numIdEiiEEvT3_S3_T2_PKS4_S6_PKS3_PKT1_21rocsparse_index_base_S6_S6_S8_PS9_SD_SC_S6_S6_S8_SD_SD_SC_SD_SD_
; %bb.0:
	s_load_dwordx2 s[34:35], s[4:5], 0x0
	v_lshrrev_b32_e32 v1, 2, v0
	s_lshl_b32 s71, s6, 10
	v_or_b32_e32 v28, s71, v1
	s_mov_b32 s33, 0
	s_waitcnt lgkmcnt(0)
	s_cmp_gt_i32 s34, 0
	v_cmp_gt_i32_e32 vcc, s35, v28
	s_cselect_b64 s[0:1], -1, 0
	s_and_b64 s[0:1], vcc, s[0:1]
	s_and_saveexec_b64 s[2:3], s[0:1]
	s_cbranch_execz .LBB44_72
; %bb.1:
	s_load_dwordx4 s[36:39], s[4:5], 0x98
	s_load_dwordx8 s[8:15], s[4:5], 0x68
	s_load_dwordx8 s[16:23], s[4:5], 0x38
	;; [unrolled: 1-line block ×3, first 2 shown]
	s_load_dword s68, s[4:5], 0x30
	s_load_dwordx2 s[40:41], s[4:5], 0x58
	s_load_dword s69, s[4:5], 0x60
	s_load_dwordx2 s[42:43], s[4:5], 0x88
	s_load_dword s70, s[4:5], 0x90
	v_and_b32_e32 v0, 3, v0
	s_addk_i32 s71, 0x400
	s_mov_b32 s44, 0
	s_waitcnt lgkmcnt(0)
	v_subrev_u32_e32 v29, s68, v0
	v_cmp_gt_u32_e64 s[0:1], s71, v28
	v_subrev_u32_e32 v30, s69, v0
	v_subrev_u32_e32 v31, s70, v0
	v_cmp_eq_u32_e64 s[2:3], 0, v0
	s_brev_b32 s45, 8
	v_mov_b32_e32 v32, 0x260
	s_movk_i32 s72, 0x1f8
	v_mov_b32_e32 v9, 0
	v_mov_b32_e32 v33, 0xffffff80
	s_branch .LBB44_3
.LBB44_2:                               ;   in Loop: Header=BB44_3 Depth=1
	s_or_b64 exec, exec, s[4:5]
	s_add_i32 s33, s33, 1
	s_cmp_eq_u32 s33, s34
	s_cbranch_scc1 .LBB44_72
.LBB44_3:                               ; =>This Loop Header: Depth=1
                                        ;     Child Loop BB44_5 Depth 2
                                        ;       Child Loop BB44_9 Depth 3
                                        ;         Child Loop BB44_13 Depth 4
                                        ;         Child Loop BB44_43 Depth 4
	;; [unrolled: 1-line block ×3, first 2 shown]
                                        ;     Child Loop BB44_63 Depth 2
                                        ;       Child Loop BB44_66 Depth 3
                                        ;       Child Loop BB44_69 Depth 3
	s_mov_b32 s73, 0
	s_branch .LBB44_5
.LBB44_4:                               ;   in Loop: Header=BB44_5 Depth=2
	s_or_b64 exec, exec, s[46:47]
	s_add_i32 s73, s73, 1
	s_cmp_eq_u32 s73, 4
	s_cbranch_scc1 .LBB44_60
.LBB44_5:                               ;   Parent Loop BB44_3 Depth=1
                                        ; =>  This Loop Header: Depth=2
                                        ;       Child Loop BB44_9 Depth 3
                                        ;         Child Loop BB44_13 Depth 4
                                        ;         Child Loop BB44_43 Depth 4
	;; [unrolled: 1-line block ×3, first 2 shown]
	v_lshl_add_u32 v10, s73, 8, v28
	v_cmp_gt_i32_e32 vcc, s35, v10
	s_and_saveexec_b64 s[46:47], vcc
	s_cbranch_execz .LBB44_4
; %bb.6:                                ;   in Loop: Header=BB44_5 Depth=2
	v_ashrrev_i32_e32 v11, 31, v10
	v_lshlrev_b64 v[0:1], 2, v[10:11]
	v_mov_b32_e32 v3, s25
	v_add_co_u32_e32 v2, vcc, s24, v0
	v_addc_co_u32_e32 v3, vcc, v3, v1, vcc
	global_load_dword v4, v[2:3], off
	v_mov_b32_e32 v3, s27
	v_add_co_u32_e32 v2, vcc, s26, v0
	v_addc_co_u32_e32 v3, vcc, v3, v1, vcc
	global_load_dword v2, v[2:3], off
	s_waitcnt vmcnt(1)
	v_add_u32_e32 v12, v29, v4
	s_waitcnt vmcnt(0)
	v_subrev_u32_e32 v11, s68, v2
	v_cmp_lt_i32_e32 vcc, v12, v11
	s_and_b64 exec, exec, vcc
	s_cbranch_execz .LBB44_4
; %bb.7:                                ;   in Loop: Header=BB44_5 Depth=2
	v_mov_b32_e32 v3, s19
	v_add_co_u32_e32 v2, vcc, s18, v0
	v_addc_co_u32_e32 v3, vcc, v3, v1, vcc
	v_mov_b32_e32 v4, s17
	v_add_co_u32_e32 v0, vcc, s16, v0
	v_addc_co_u32_e32 v1, vcc, v4, v1, vcc
	global_load_dword v0, v[0:1], off
	s_nop 0
	global_load_dword v1, v[2:3], off
	v_mov_b32_e32 v4, s21
	v_mov_b32_e32 v5, s23
	s_mov_b64 s[48:49], 0
	s_waitcnt vmcnt(1)
	v_subrev_u32_e32 v14, s69, v0
	v_ashrrev_i32_e32 v15, 31, v14
	s_waitcnt vmcnt(0)
	v_sub_u32_e32 v34, v1, v0
	v_lshlrev_b64 v[0:1], 2, v[14:15]
	v_lshlrev_b64 v[2:3], 4, v[14:15]
	v_add_co_u32_e32 v15, vcc, s20, v0
	v_addc_co_u32_e32 v35, vcc, v4, v1, vcc
	v_add_co_u32_e32 v36, vcc, s22, v2
	v_cmp_lt_i32_e64 s[4:5], 0, v34
	v_addc_co_u32_e32 v37, vcc, v5, v3, vcc
	s_branch .LBB44_9
.LBB44_8:                               ;   in Loop: Header=BB44_9 Depth=3
	s_or_b64 exec, exec, s[50:51]
	v_add_u32_e32 v12, 4, v12
	v_cmp_ge_i32_e32 vcc, v12, v11
	s_or_b64 s[48:49], vcc, s[48:49]
	s_andn2_b64 exec, exec, s[48:49]
	s_cbranch_execz .LBB44_4
.LBB44_9:                               ;   Parent Loop BB44_3 Depth=1
                                        ;     Parent Loop BB44_5 Depth=2
                                        ; =>    This Loop Header: Depth=3
                                        ;         Child Loop BB44_13 Depth 4
                                        ;         Child Loop BB44_43 Depth 4
	;; [unrolled: 1-line block ×3, first 2 shown]
	v_ashrrev_i32_e32 v13, 31, v12
	v_lshlrev_b64 v[0:1], 2, v[12:13]
	v_mov_b32_e32 v2, s29
	v_add_co_u32_e32 v0, vcc, s28, v0
	v_addc_co_u32_e32 v1, vcc, v2, v1, vcc
	global_load_dword v0, v[0:1], off
	v_mov_b32_e32 v3, s9
	v_mov_b32_e32 v4, s11
	;; [unrolled: 1-line block ×4, first 2 shown]
	s_waitcnt vmcnt(0)
	v_subrev_u32_e32 v16, s68, v0
	v_ashrrev_i32_e32 v17, 31, v16
	v_lshlrev_b64 v[0:1], 2, v[16:17]
	v_add_co_u32_e32 v2, vcc, s8, v0
	v_addc_co_u32_e32 v3, vcc, v3, v1, vcc
	v_add_co_u32_e32 v0, vcc, s10, v0
	v_addc_co_u32_e32 v1, vcc, v4, v1, vcc
	global_load_dword v4, v[2:3], off
	global_load_dword v5, v[0:1], off
	v_pk_mov_b32 v[0:1], 0, 0
	v_pk_mov_b32 v[2:3], v[0:1], v[0:1] op_sel:[0,1]
	s_waitcnt vmcnt(1)
	v_subrev_u32_e32 v18, s70, v4
	s_waitcnt vmcnt(0)
	v_sub_u32_e32 v38, v5, v4
	s_and_saveexec_b64 s[6:7], s[4:5]
	s_cbranch_execz .LBB44_17
; %bb.10:                               ;   in Loop: Header=BB44_9 Depth=3
	v_ashrrev_i32_e32 v19, 31, v18
	v_lshlrev_b64 v[0:1], 2, v[18:19]
	v_mov_b32_e32 v2, s13
	v_add_co_u32_e32 v4, vcc, s12, v0
	v_addc_co_u32_e32 v5, vcc, v2, v1, vcc
	v_lshlrev_b64 v[0:1], 4, v[18:19]
	v_mov_b32_e32 v2, s15
	v_add_co_u32_e32 v6, vcc, s14, v0
	v_addc_co_u32_e32 v7, vcc, v2, v1, vcc
	v_mov_b32_e32 v20, 0
	v_pk_mov_b32 v[0:1], 0, 0
	s_mov_b64 s[50:51], 0
	v_mov_b32_e32 v8, v20
	v_pk_mov_b32 v[2:3], v[0:1], v[0:1] op_sel:[0,1]
                                        ; implicit-def: $sgpr52_sgpr53
	s_branch .LBB44_13
.LBB44_11:                              ;   in Loop: Header=BB44_13 Depth=4
	s_or_b64 exec, exec, s[56:57]
	v_cmp_le_i32_e32 vcc, v19, v22
	v_addc_co_u32_e32 v8, vcc, 0, v8, vcc
	v_cmp_ge_i32_e32 vcc, v19, v22
	v_addc_co_u32_e32 v20, vcc, 0, v20, vcc
	v_cmp_ge_i32_e32 vcc, v8, v34
	s_andn2_b64 s[52:53], s[52:53], exec
	s_and_b64 s[56:57], vcc, exec
	s_or_b64 s[52:53], s[52:53], s[56:57]
.LBB44_12:                              ;   in Loop: Header=BB44_13 Depth=4
	s_or_b64 exec, exec, s[54:55]
	s_and_b64 s[54:55], exec, s[52:53]
	s_or_b64 s[50:51], s[54:55], s[50:51]
	s_andn2_b64 exec, exec, s[50:51]
	s_cbranch_execz .LBB44_16
.LBB44_13:                              ;   Parent Loop BB44_3 Depth=1
                                        ;     Parent Loop BB44_5 Depth=2
                                        ;       Parent Loop BB44_9 Depth=3
                                        ; =>      This Inner Loop Header: Depth=4
	v_cmp_lt_i32_e32 vcc, v20, v38
	s_or_b64 s[52:53], s[52:53], exec
	s_and_saveexec_b64 s[54:55], vcc
	s_cbranch_execz .LBB44_12
; %bb.14:                               ;   in Loop: Header=BB44_13 Depth=4
	v_lshlrev_b64 v[22:23], 2, v[8:9]
	v_add_co_u32_e32 v22, vcc, v15, v22
	v_addc_co_u32_e32 v23, vcc, v35, v23, vcc
	v_mov_b32_e32 v21, v9
	global_load_dword v19, v[22:23], off
	v_lshlrev_b64 v[22:23], 2, v[20:21]
	v_add_co_u32_e32 v22, vcc, v4, v22
	v_addc_co_u32_e32 v23, vcc, v5, v23, vcc
	global_load_dword v22, v[22:23], off
	s_waitcnt vmcnt(1)
	v_subrev_u32_e32 v19, s69, v19
	s_waitcnt vmcnt(0)
	v_subrev_u32_e32 v22, s70, v22
	v_cmp_eq_u32_e32 vcc, v19, v22
	s_and_saveexec_b64 s[56:57], vcc
	s_cbranch_execz .LBB44_11
; %bb.15:                               ;   in Loop: Header=BB44_13 Depth=4
	v_lshlrev_b64 v[24:25], 4, v[8:9]
	v_add_co_u32_e32 v24, vcc, v36, v24
	v_addc_co_u32_e32 v25, vcc, v37, v25, vcc
	v_lshlrev_b64 v[40:41], 4, v[20:21]
	v_add_co_u32_e32 v40, vcc, v6, v40
	v_addc_co_u32_e32 v41, vcc, v7, v41, vcc
	global_load_dwordx4 v[24:27], v[24:25], off
	s_nop 0
	global_load_dwordx4 v[40:43], v[40:41], off
	s_waitcnt vmcnt(0)
	v_fmac_f64_e32 v[0:1], v[24:25], v[40:41]
	v_fmac_f64_e32 v[2:3], v[26:27], v[40:41]
	v_fma_f64 v[0:1], -v[26:27], v[42:43], v[0:1]
	v_fmac_f64_e32 v[2:3], v[24:25], v[42:43]
	s_branch .LBB44_11
.LBB44_16:                              ;   in Loop: Header=BB44_9 Depth=3
	s_or_b64 exec, exec, s[50:51]
.LBB44_17:                              ;   in Loop: Header=BB44_9 Depth=3
	s_or_b64 exec, exec, s[6:7]
	v_lshlrev_b64 v[4:5], 4, v[12:13]
	v_mov_b32_e32 v6, s31
	v_add_co_u32_e32 v4, vcc, s30, v4
	v_addc_co_u32_e32 v5, vcc, v6, v5, vcc
	global_load_dwordx4 v[4:7], v[4:5], off
	v_cmp_le_i32_e64 s[6:7], v10, v16
	v_cmp_gt_i32_e32 vcc, v10, v16
	s_waitcnt vmcnt(0)
	v_add_f64 v[0:1], v[4:5], -v[0:1]
	v_add_f64 v[2:3], v[6:7], -v[2:3]
	s_and_saveexec_b64 s[50:51], vcc
	s_cbranch_execz .LBB44_27
; %bb.18:                               ;   in Loop: Header=BB44_9 Depth=3
	v_lshlrev_b64 v[4:5], 4, v[16:17]
	v_mov_b32_e32 v6, s37
	v_add_co_u32_e32 v4, vcc, s36, v4
	v_addc_co_u32_e32 v5, vcc, v6, v5, vcc
	global_load_dwordx4 v[4:7], v[4:5], off
                                        ; implicit-def: $vgpr26_vgpr27
	s_waitcnt vmcnt(0)
	v_xor_b32_e32 v13, 0x80000000, v5
	v_cmp_gt_f64_e32 vcc, 0, v[4:5]
	v_xor_b32_e32 v19, 0x80000000, v7
	v_cndmask_b32_e32 v23, v5, v13, vcc
	v_cmp_gt_f64_e32 vcc, 0, v[6:7]
	v_mov_b32_e32 v22, v4
	v_cndmask_b32_e32 v25, v7, v19, vcc
	v_mov_b32_e32 v24, v6
	v_cmp_ngt_f64_e32 vcc, v[22:23], v[24:25]
	s_and_saveexec_b64 s[52:53], vcc
	s_xor_b64 s[52:53], exec, s[52:53]
	s_cbranch_execz .LBB44_22
; %bb.19:                               ;   in Loop: Header=BB44_9 Depth=3
	v_cmp_neq_f64_e32 vcc, 0, v[6:7]
	v_pk_mov_b32 v[26:27], 0, 0
	s_and_saveexec_b64 s[54:55], vcc
	s_cbranch_execz .LBB44_21
; %bb.20:                               ;   in Loop: Header=BB44_9 Depth=3
	v_div_scale_f64 v[26:27], s[56:57], v[24:25], v[24:25], v[22:23]
	v_rcp_f64_e32 v[40:41], v[26:27]
	v_div_scale_f64 v[42:43], vcc, v[22:23], v[24:25], v[22:23]
	v_fma_f64 v[44:45], -v[26:27], v[40:41], 1.0
	v_fmac_f64_e32 v[40:41], v[40:41], v[44:45]
	v_fma_f64 v[44:45], -v[26:27], v[40:41], 1.0
	v_fmac_f64_e32 v[40:41], v[40:41], v[44:45]
	v_mul_f64 v[44:45], v[42:43], v[40:41]
	v_fma_f64 v[26:27], -v[26:27], v[44:45], v[42:43]
	v_div_fmas_f64 v[26:27], v[26:27], v[40:41], v[44:45]
	v_div_fixup_f64 v[22:23], v[26:27], v[24:25], v[22:23]
	v_fma_f64 v[22:23], v[22:23], v[22:23], 1.0
	v_cmp_gt_f64_e32 vcc, s[44:45], v[22:23]
	v_cndmask_b32_e64 v13, 0, 1, vcc
	v_lshlrev_b32_e32 v13, 8, v13
	v_ldexp_f64 v[22:23], v[22:23], v13
	v_rsq_f64_e32 v[26:27], v[22:23]
	v_cndmask_b32_e32 v13, 0, v33, vcc
	v_cmp_class_f64_e32 vcc, v[22:23], v32
	v_mul_f64 v[40:41], v[22:23], v[26:27]
	v_mul_f64 v[26:27], v[26:27], 0.5
	v_fma_f64 v[42:43], -v[26:27], v[40:41], 0.5
	v_fmac_f64_e32 v[40:41], v[40:41], v[42:43]
	v_fma_f64 v[44:45], -v[40:41], v[40:41], v[22:23]
	v_fmac_f64_e32 v[26:27], v[26:27], v[42:43]
	v_fmac_f64_e32 v[40:41], v[44:45], v[26:27]
	v_fma_f64 v[42:43], -v[40:41], v[40:41], v[22:23]
	v_fmac_f64_e32 v[40:41], v[42:43], v[26:27]
	v_ldexp_f64 v[26:27], v[40:41], v13
	v_cndmask_b32_e32 v23, v27, v23, vcc
	v_cndmask_b32_e32 v22, v26, v22, vcc
	v_mul_f64 v[26:27], v[24:25], v[22:23]
.LBB44_21:                              ;   in Loop: Header=BB44_9 Depth=3
	s_or_b64 exec, exec, s[54:55]
                                        ; implicit-def: $vgpr22_vgpr23
                                        ; implicit-def: $vgpr24_vgpr25
.LBB44_22:                              ;   in Loop: Header=BB44_9 Depth=3
	s_andn2_saveexec_b64 s[52:53], s[52:53]
	s_cbranch_execz .LBB44_24
; %bb.23:                               ;   in Loop: Header=BB44_9 Depth=3
	v_div_scale_f64 v[26:27], s[54:55], v[22:23], v[22:23], v[24:25]
	v_rcp_f64_e32 v[40:41], v[26:27]
	v_div_scale_f64 v[42:43], vcc, v[24:25], v[22:23], v[24:25]
	v_fma_f64 v[44:45], -v[26:27], v[40:41], 1.0
	v_fmac_f64_e32 v[40:41], v[40:41], v[44:45]
	v_fma_f64 v[44:45], -v[26:27], v[40:41], 1.0
	v_fmac_f64_e32 v[40:41], v[40:41], v[44:45]
	v_mul_f64 v[44:45], v[42:43], v[40:41]
	v_fma_f64 v[26:27], -v[26:27], v[44:45], v[42:43]
	v_div_fmas_f64 v[26:27], v[26:27], v[40:41], v[44:45]
	v_div_fixup_f64 v[24:25], v[26:27], v[22:23], v[24:25]
	v_fma_f64 v[24:25], v[24:25], v[24:25], 1.0
	v_cmp_gt_f64_e32 vcc, s[44:45], v[24:25]
	v_cndmask_b32_e64 v13, 0, 1, vcc
	v_lshlrev_b32_e32 v13, 8, v13
	v_ldexp_f64 v[24:25], v[24:25], v13
	v_rsq_f64_e32 v[26:27], v[24:25]
	v_cndmask_b32_e32 v13, 0, v33, vcc
	v_cmp_class_f64_e32 vcc, v[24:25], v32
	v_mul_f64 v[40:41], v[24:25], v[26:27]
	v_mul_f64 v[26:27], v[26:27], 0.5
	v_fma_f64 v[42:43], -v[26:27], v[40:41], 0.5
	v_fmac_f64_e32 v[40:41], v[40:41], v[42:43]
	v_fma_f64 v[44:45], -v[40:41], v[40:41], v[24:25]
	v_fmac_f64_e32 v[26:27], v[26:27], v[42:43]
	v_fmac_f64_e32 v[40:41], v[44:45], v[26:27]
	v_fma_f64 v[42:43], -v[40:41], v[40:41], v[24:25]
	v_fmac_f64_e32 v[40:41], v[42:43], v[26:27]
	v_ldexp_f64 v[26:27], v[40:41], v13
	v_cndmask_b32_e32 v25, v27, v25, vcc
	v_cndmask_b32_e32 v24, v26, v24, vcc
	v_mul_f64 v[26:27], v[22:23], v[24:25]
.LBB44_24:                              ;   in Loop: Header=BB44_9 Depth=3
	s_or_b64 exec, exec, s[52:53]
	v_pk_mov_b32 v[22:23], 0, 0
	v_cmp_lt_f64_e32 vcc, 0, v[26:27]
	v_pk_mov_b32 v[24:25], v[22:23], v[22:23] op_sel:[0,1]
	s_and_saveexec_b64 s[52:53], vcc
	s_cbranch_execz .LBB44_26
; %bb.25:                               ;   in Loop: Header=BB44_9 Depth=3
	v_mul_f64 v[22:23], v[6:7], v[6:7]
	v_fmac_f64_e32 v[22:23], v[4:5], v[4:5]
	v_div_scale_f64 v[24:25], s[54:55], v[22:23], v[22:23], 1.0
	v_rcp_f64_e32 v[26:27], v[24:25]
	v_div_scale_f64 v[40:41], vcc, 1.0, v[22:23], 1.0
	v_fma_f64 v[42:43], -v[24:25], v[26:27], 1.0
	v_fmac_f64_e32 v[26:27], v[26:27], v[42:43]
	v_fma_f64 v[42:43], -v[24:25], v[26:27], 1.0
	v_fmac_f64_e32 v[26:27], v[26:27], v[42:43]
	v_mul_f64 v[42:43], v[40:41], v[26:27]
	v_fma_f64 v[24:25], -v[24:25], v[42:43], v[40:41]
	v_div_fmas_f64 v[24:25], v[24:25], v[26:27], v[42:43]
	v_div_fixup_f64 v[24:25], v[24:25], v[22:23], 1.0
	v_mul_f64 v[22:23], v[2:3], v[6:7]
	v_fmac_f64_e32 v[22:23], v[0:1], v[4:5]
	v_mul_f64 v[0:1], v[6:7], -v[0:1]
	v_fmac_f64_e32 v[0:1], v[2:3], v[4:5]
	v_mul_f64 v[22:23], v[22:23], v[24:25]
	v_mul_f64 v[24:25], v[0:1], v[24:25]
.LBB44_26:                              ;   in Loop: Header=BB44_9 Depth=3
	s_or_b64 exec, exec, s[52:53]
	v_pk_mov_b32 v[0:1], v[22:23], v[22:23] op_sel:[0,1]
	v_pk_mov_b32 v[2:3], v[24:25], v[24:25] op_sel:[0,1]
.LBB44_27:                              ;   in Loop: Header=BB44_9 Depth=3
	s_or_b64 exec, exec, s[50:51]
	v_xor_b32_e32 v4, 0x80000000, v1
	v_cmp_gt_f64_e32 vcc, 0, v[0:1]
	v_cndmask_b32_e32 v5, v1, v4, vcc
	v_cndmask_b32_e32 v4, v0, v0, vcc
	v_xor_b32_e32 v6, 0x80000000, v3
	v_cmp_gt_f64_e32 vcc, 0, v[2:3]
	v_cndmask_b32_e32 v7, v3, v6, vcc
	v_cndmask_b32_e32 v6, v2, v2, vcc
	v_cmp_ngt_f64_e32 vcc, v[4:5], v[6:7]
                                        ; implicit-def: $vgpr22_vgpr23
	s_and_saveexec_b64 s[50:51], vcc
	s_xor_b64 s[50:51], exec, s[50:51]
	s_cbranch_execnz .LBB44_30
; %bb.28:                               ;   in Loop: Header=BB44_9 Depth=3
	s_andn2_saveexec_b64 s[50:51], s[50:51]
	s_cbranch_execnz .LBB44_33
.LBB44_29:                              ;   in Loop: Header=BB44_9 Depth=3
	s_or_b64 exec, exec, s[50:51]
	v_cmp_class_f64_e64 s[52:53], v[22:23], s72
	s_and_saveexec_b64 s[50:51], s[52:53]
	s_cbranch_execz .LBB44_8
	s_branch .LBB44_34
.LBB44_30:                              ;   in Loop: Header=BB44_9 Depth=3
	v_cmp_neq_f64_e32 vcc, 0, v[2:3]
	v_pk_mov_b32 v[22:23], 0, 0
	s_and_saveexec_b64 s[52:53], vcc
	s_cbranch_execz .LBB44_32
; %bb.31:                               ;   in Loop: Header=BB44_9 Depth=3
	v_div_scale_f64 v[22:23], s[54:55], v[6:7], v[6:7], v[4:5]
	v_rcp_f64_e32 v[24:25], v[22:23]
	v_div_scale_f64 v[26:27], vcc, v[4:5], v[6:7], v[4:5]
	v_fma_f64 v[40:41], -v[22:23], v[24:25], 1.0
	v_fmac_f64_e32 v[24:25], v[24:25], v[40:41]
	v_fma_f64 v[40:41], -v[22:23], v[24:25], 1.0
	v_fmac_f64_e32 v[24:25], v[24:25], v[40:41]
	v_mul_f64 v[40:41], v[26:27], v[24:25]
	v_fma_f64 v[22:23], -v[22:23], v[40:41], v[26:27]
	v_div_fmas_f64 v[22:23], v[22:23], v[24:25], v[40:41]
	v_div_fixup_f64 v[4:5], v[22:23], v[6:7], v[4:5]
	v_fma_f64 v[4:5], v[4:5], v[4:5], 1.0
	v_cmp_gt_f64_e32 vcc, s[44:45], v[4:5]
	v_cndmask_b32_e64 v13, 0, 1, vcc
	v_lshlrev_b32_e32 v13, 8, v13
	v_ldexp_f64 v[4:5], v[4:5], v13
	v_rsq_f64_e32 v[22:23], v[4:5]
	v_cndmask_b32_e32 v13, 0, v33, vcc
	v_cmp_class_f64_e32 vcc, v[4:5], v32
	v_mul_f64 v[24:25], v[4:5], v[22:23]
	v_mul_f64 v[22:23], v[22:23], 0.5
	v_fma_f64 v[26:27], -v[22:23], v[24:25], 0.5
	v_fmac_f64_e32 v[24:25], v[24:25], v[26:27]
	v_fma_f64 v[40:41], -v[24:25], v[24:25], v[4:5]
	v_fmac_f64_e32 v[22:23], v[22:23], v[26:27]
	v_fmac_f64_e32 v[24:25], v[40:41], v[22:23]
	v_fma_f64 v[26:27], -v[24:25], v[24:25], v[4:5]
	v_fmac_f64_e32 v[24:25], v[26:27], v[22:23]
	v_ldexp_f64 v[22:23], v[24:25], v13
	v_cndmask_b32_e32 v5, v23, v5, vcc
	v_cndmask_b32_e32 v4, v22, v4, vcc
	v_mul_f64 v[22:23], v[6:7], v[4:5]
.LBB44_32:                              ;   in Loop: Header=BB44_9 Depth=3
	s_or_b64 exec, exec, s[52:53]
                                        ; implicit-def: $vgpr4_vgpr5
                                        ; implicit-def: $vgpr6_vgpr7
	s_andn2_saveexec_b64 s[50:51], s[50:51]
	s_cbranch_execz .LBB44_29
.LBB44_33:                              ;   in Loop: Header=BB44_9 Depth=3
	v_div_scale_f64 v[22:23], s[52:53], v[4:5], v[4:5], v[6:7]
	v_rcp_f64_e32 v[24:25], v[22:23]
	v_div_scale_f64 v[26:27], vcc, v[6:7], v[4:5], v[6:7]
	v_fma_f64 v[40:41], -v[22:23], v[24:25], 1.0
	v_fmac_f64_e32 v[24:25], v[24:25], v[40:41]
	v_fma_f64 v[40:41], -v[22:23], v[24:25], 1.0
	v_fmac_f64_e32 v[24:25], v[24:25], v[40:41]
	v_mul_f64 v[40:41], v[26:27], v[24:25]
	v_fma_f64 v[22:23], -v[22:23], v[40:41], v[26:27]
	v_div_fmas_f64 v[22:23], v[22:23], v[24:25], v[40:41]
	v_div_fixup_f64 v[6:7], v[22:23], v[4:5], v[6:7]
	v_fma_f64 v[6:7], v[6:7], v[6:7], 1.0
	v_cmp_gt_f64_e32 vcc, s[44:45], v[6:7]
	v_cndmask_b32_e64 v13, 0, 1, vcc
	v_lshlrev_b32_e32 v13, 8, v13
	v_ldexp_f64 v[6:7], v[6:7], v13
	v_rsq_f64_e32 v[22:23], v[6:7]
	v_cndmask_b32_e32 v13, 0, v33, vcc
	v_cmp_class_f64_e32 vcc, v[6:7], v32
	v_mul_f64 v[24:25], v[6:7], v[22:23]
	v_mul_f64 v[22:23], v[22:23], 0.5
	v_fma_f64 v[26:27], -v[22:23], v[24:25], 0.5
	v_fmac_f64_e32 v[24:25], v[24:25], v[26:27]
	v_fma_f64 v[40:41], -v[24:25], v[24:25], v[6:7]
	v_fmac_f64_e32 v[22:23], v[22:23], v[26:27]
	v_fmac_f64_e32 v[24:25], v[40:41], v[22:23]
	v_fma_f64 v[26:27], -v[24:25], v[24:25], v[6:7]
	v_fmac_f64_e32 v[24:25], v[26:27], v[22:23]
	v_ldexp_f64 v[22:23], v[24:25], v13
	v_cndmask_b32_e32 v7, v23, v7, vcc
	v_cndmask_b32_e32 v6, v22, v6, vcc
	v_mul_f64 v[22:23], v[4:5], v[6:7]
	s_or_b64 exec, exec, s[50:51]
	v_cmp_class_f64_e64 s[52:53], v[22:23], s72
	s_and_saveexec_b64 s[50:51], s[52:53]
	s_cbranch_execz .LBB44_8
.LBB44_34:                              ;   in Loop: Header=BB44_9 Depth=3
	s_mov_b64 s[52:53], 0
                                        ; implicit-def: $vgpr4_vgpr5
	s_and_saveexec_b64 s[54:55], s[6:7]
	s_xor_b64 s[6:7], exec, s[54:55]
	s_cbranch_execnz .LBB44_37
; %bb.35:                               ;   in Loop: Header=BB44_9 Depth=3
	s_andn2_saveexec_b64 s[6:7], s[6:7]
	s_cbranch_execnz .LBB44_50
.LBB44_36:                              ;   in Loop: Header=BB44_9 Depth=3
	s_or_b64 exec, exec, s[6:7]
	s_and_b64 exec, exec, s[52:53]
	s_cbranch_execz .LBB44_8
	s_branch .LBB44_59
.LBB44_37:                              ;   in Loop: Header=BB44_9 Depth=3
	v_cmp_ge_i32_e32 vcc, v10, v16
                                        ; implicit-def: $vgpr4_vgpr5
	s_and_saveexec_b64 s[54:55], vcc
	s_xor_b64 s[54:55], exec, s[54:55]
; %bb.38:                               ;   in Loop: Header=BB44_9 Depth=3
	v_lshlrev_b64 v[4:5], 4, v[16:17]
	v_mov_b32_e32 v6, s39
	v_add_co_u32_e32 v4, vcc, s38, v4
	s_mov_b64 s[52:53], exec
	v_addc_co_u32_e32 v5, vcc, v6, v5, vcc
                                        ; implicit-def: $vgpr20
                                        ; implicit-def: $vgpr38
                                        ; implicit-def: $vgpr18
; %bb.39:                               ;   in Loop: Header=BB44_9 Depth=3
	s_andn2_saveexec_b64 s[54:55], s[54:55]
	s_cbranch_execz .LBB44_49
; %bb.40:                               ;   in Loop: Header=BB44_9 Depth=3
	v_cmp_lt_i32_e32 vcc, v20, v38
	s_mov_b64 s[58:59], s[52:53]
                                        ; implicit-def: $vgpr4_vgpr5
	s_and_saveexec_b64 s[56:57], vcc
	s_cbranch_execz .LBB44_48
; %bb.41:                               ;   in Loop: Header=BB44_9 Depth=3
	s_mov_b64 s[60:61], 0
                                        ; implicit-def: $sgpr58_sgpr59
                                        ; implicit-def: $sgpr64_sgpr65
                                        ; implicit-def: $sgpr62_sgpr63
	s_branch .LBB44_43
.LBB44_42:                              ;   in Loop: Header=BB44_43 Depth=4
	s_or_b64 exec, exec, s[66:67]
	s_and_b64 s[66:67], exec, s[64:65]
	s_or_b64 s[60:61], s[66:67], s[60:61]
	s_andn2_b64 s[58:59], s[58:59], exec
	s_and_b64 s[66:67], s[62:63], exec
	s_or_b64 s[58:59], s[58:59], s[66:67]
	s_andn2_b64 exec, exec, s[60:61]
	s_cbranch_execz .LBB44_45
.LBB44_43:                              ;   Parent Loop BB44_3 Depth=1
                                        ;     Parent Loop BB44_5 Depth=2
                                        ;       Parent Loop BB44_9 Depth=3
                                        ; =>      This Inner Loop Header: Depth=4
	v_add_u32_e32 v6, v18, v20
	v_ashrrev_i32_e32 v7, 31, v6
	v_lshlrev_b64 v[4:5], 2, v[6:7]
	v_mov_b32_e32 v8, s13
	v_add_co_u32_e32 v4, vcc, s12, v4
	v_addc_co_u32_e32 v5, vcc, v8, v5, vcc
	global_load_dword v4, v[4:5], off
	s_or_b64 s[62:63], s[62:63], exec
	s_or_b64 s[64:65], s[64:65], exec
	s_waitcnt vmcnt(0)
	v_subrev_u32_e32 v4, s70, v4
	v_cmp_ne_u32_e32 vcc, v4, v10
	s_and_saveexec_b64 s[66:67], vcc
	s_cbranch_execz .LBB44_42
; %bb.44:                               ;   in Loop: Header=BB44_43 Depth=4
	v_add_u32_e32 v20, 1, v20
	v_cmp_ge_i32_e32 vcc, v20, v38
	s_andn2_b64 s[64:65], s[64:65], exec
	s_and_b64 s[74:75], vcc, exec
	s_andn2_b64 s[62:63], s[62:63], exec
	s_or_b64 s[64:65], s[64:65], s[74:75]
	s_branch .LBB44_42
.LBB44_45:                              ;   in Loop: Header=BB44_9 Depth=3
	s_or_b64 exec, exec, s[60:61]
	s_mov_b64 s[60:61], s[52:53]
                                        ; implicit-def: $vgpr4_vgpr5
	s_and_saveexec_b64 s[62:63], s[58:59]
	s_xor_b64 s[58:59], exec, s[62:63]
; %bb.46:                               ;   in Loop: Header=BB44_9 Depth=3
	v_lshlrev_b64 v[4:5], 4, v[6:7]
	v_mov_b32_e32 v6, s43
	v_add_co_u32_e32 v4, vcc, s42, v4
	v_addc_co_u32_e32 v5, vcc, v6, v5, vcc
	s_or_b64 s[60:61], s[52:53], exec
; %bb.47:                               ;   in Loop: Header=BB44_9 Depth=3
	s_or_b64 exec, exec, s[58:59]
	s_andn2_b64 s[58:59], s[52:53], exec
	s_and_b64 s[60:61], s[60:61], exec
	s_or_b64 s[58:59], s[58:59], s[60:61]
.LBB44_48:                              ;   in Loop: Header=BB44_9 Depth=3
	s_or_b64 exec, exec, s[56:57]
	s_andn2_b64 s[52:53], s[52:53], exec
	s_and_b64 s[56:57], s[58:59], exec
	s_or_b64 s[52:53], s[52:53], s[56:57]
.LBB44_49:                              ;   in Loop: Header=BB44_9 Depth=3
	s_or_b64 exec, exec, s[54:55]
	s_and_b64 s[52:53], s[52:53], exec
                                        ; implicit-def: $vgpr16_vgpr17
	s_andn2_saveexec_b64 s[6:7], s[6:7]
	s_cbranch_execz .LBB44_36
.LBB44_50:                              ;   in Loop: Header=BB44_9 Depth=3
	v_cmp_lt_i32_e32 vcc, v8, v34
	s_mov_b64 s[56:57], s[52:53]
                                        ; implicit-def: $vgpr4_vgpr5
	s_and_saveexec_b64 s[54:55], vcc
	s_cbranch_execz .LBB44_58
; %bb.51:                               ;   in Loop: Header=BB44_9 Depth=3
	s_mov_b64 s[58:59], 0
                                        ; implicit-def: $sgpr56_sgpr57
                                        ; implicit-def: $sgpr62_sgpr63
                                        ; implicit-def: $sgpr60_sgpr61
	s_branch .LBB44_53
.LBB44_52:                              ;   in Loop: Header=BB44_53 Depth=4
	s_or_b64 exec, exec, s[64:65]
	s_and_b64 s[64:65], exec, s[62:63]
	s_or_b64 s[58:59], s[64:65], s[58:59]
	s_andn2_b64 s[56:57], s[56:57], exec
	s_and_b64 s[64:65], s[60:61], exec
	s_or_b64 s[56:57], s[56:57], s[64:65]
	s_andn2_b64 exec, exec, s[58:59]
	s_cbranch_execz .LBB44_55
.LBB44_53:                              ;   Parent Loop BB44_3 Depth=1
                                        ;     Parent Loop BB44_5 Depth=2
                                        ;       Parent Loop BB44_9 Depth=3
                                        ; =>      This Inner Loop Header: Depth=4
	v_add_u32_e32 v6, v14, v8
	v_ashrrev_i32_e32 v7, 31, v6
	v_lshlrev_b64 v[4:5], 2, v[6:7]
	v_mov_b32_e32 v13, s21
	v_add_co_u32_e32 v4, vcc, s20, v4
	v_addc_co_u32_e32 v5, vcc, v13, v5, vcc
	global_load_dword v4, v[4:5], off
	s_or_b64 s[60:61], s[60:61], exec
	s_or_b64 s[62:63], s[62:63], exec
	s_waitcnt vmcnt(0)
	v_subrev_u32_e32 v4, s69, v4
	v_cmp_ne_u32_e32 vcc, v4, v16
	s_and_saveexec_b64 s[64:65], vcc
	s_cbranch_execz .LBB44_52
; %bb.54:                               ;   in Loop: Header=BB44_53 Depth=4
	v_add_u32_e32 v8, 1, v8
	v_cmp_ge_i32_e32 vcc, v8, v34
	s_andn2_b64 s[62:63], s[62:63], exec
	s_and_b64 s[66:67], vcc, exec
	s_andn2_b64 s[60:61], s[60:61], exec
	s_or_b64 s[62:63], s[62:63], s[66:67]
	s_branch .LBB44_52
.LBB44_55:                              ;   in Loop: Header=BB44_9 Depth=3
	s_or_b64 exec, exec, s[58:59]
	s_mov_b64 s[58:59], s[52:53]
                                        ; implicit-def: $vgpr4_vgpr5
	s_and_saveexec_b64 s[60:61], s[56:57]
	s_xor_b64 s[56:57], exec, s[60:61]
; %bb.56:                               ;   in Loop: Header=BB44_9 Depth=3
	v_lshlrev_b64 v[4:5], 4, v[6:7]
	v_mov_b32_e32 v6, s41
	v_add_co_u32_e32 v4, vcc, s40, v4
	v_addc_co_u32_e32 v5, vcc, v6, v5, vcc
	s_or_b64 s[58:59], s[52:53], exec
; %bb.57:                               ;   in Loop: Header=BB44_9 Depth=3
	s_or_b64 exec, exec, s[56:57]
	s_andn2_b64 s[56:57], s[52:53], exec
	s_and_b64 s[58:59], s[58:59], exec
	s_or_b64 s[56:57], s[56:57], s[58:59]
.LBB44_58:                              ;   in Loop: Header=BB44_9 Depth=3
	s_or_b64 exec, exec, s[54:55]
	s_andn2_b64 s[52:53], s[52:53], exec
	s_and_b64 s[54:55], s[56:57], exec
	s_or_b64 s[52:53], s[52:53], s[54:55]
	s_or_b64 exec, exec, s[6:7]
	s_and_b64 exec, exec, s[52:53]
	s_cbranch_execz .LBB44_8
.LBB44_59:                              ;   in Loop: Header=BB44_9 Depth=3
	global_store_dwordx4 v[4:5], v[0:3], off
	s_branch .LBB44_8
.LBB44_60:                              ;   in Loop: Header=BB44_3 Depth=1
	s_and_saveexec_b64 s[4:5], s[0:1]
	s_cbranch_execz .LBB44_2
; %bb.61:                               ;   in Loop: Header=BB44_3 Depth=1
	s_mov_b64 s[6:7], 0
	v_mov_b32_e32 v0, v28
	s_branch .LBB44_63
.LBB44_62:                              ;   in Loop: Header=BB44_63 Depth=2
	s_or_b64 exec, exec, s[46:47]
	v_add_u32_e32 v0, 0x100, v0
	v_cmp_le_u32_e32 vcc, s71, v0
	s_or_b64 s[6:7], vcc, s[6:7]
	s_andn2_b64 exec, exec, s[6:7]
	s_cbranch_execz .LBB44_2
.LBB44_63:                              ;   Parent Loop BB44_3 Depth=1
                                        ; =>  This Loop Header: Depth=2
                                        ;       Child Loop BB44_66 Depth 3
                                        ;       Child Loop BB44_69 Depth 3
	v_cmp_gt_i32_e32 vcc, s35, v0
	s_and_saveexec_b64 s[46:47], vcc
	s_cbranch_execz .LBB44_62
; %bb.64:                               ;   in Loop: Header=BB44_63 Depth=2
	v_ashrrev_i32_e32 v1, 31, v0
	v_lshlrev_b64 v[2:3], 2, v[0:1]
	v_mov_b32_e32 v5, s17
	v_add_co_u32_e32 v4, vcc, s16, v2
	v_addc_co_u32_e32 v5, vcc, v5, v3, vcc
	global_load_dword v6, v[4:5], off
	v_mov_b32_e32 v5, s19
	v_add_co_u32_e32 v4, vcc, s18, v2
	v_addc_co_u32_e32 v5, vcc, v5, v3, vcc
	global_load_dword v5, v[4:5], off
	s_waitcnt vmcnt(1)
	v_add_u32_e32 v4, v30, v6
	s_waitcnt vmcnt(0)
	v_subrev_u32_e32 v8, s69, v5
	v_cmp_lt_i32_e32 vcc, v4, v8
	s_and_saveexec_b64 s[48:49], vcc
	s_cbranch_execz .LBB44_67
; %bb.65:                               ;   in Loop: Header=BB44_63 Depth=2
	v_ashrrev_i32_e32 v5, 31, v4
	v_lshlrev_b64 v[10:11], 4, v[4:5]
	v_mov_b32_e32 v5, s23
	v_add_co_u32_e32 v6, vcc, s22, v10
	v_addc_co_u32_e32 v7, vcc, v5, v11, vcc
	v_mov_b32_e32 v5, s41
	v_add_co_u32_e32 v10, vcc, s40, v10
	v_addc_co_u32_e32 v11, vcc, v5, v11, vcc
	s_mov_b64 s[50:51], 0
.LBB44_66:                              ;   Parent Loop BB44_3 Depth=1
                                        ;     Parent Loop BB44_63 Depth=2
                                        ; =>    This Inner Loop Header: Depth=3
	global_load_dwordx4 v[12:15], v[10:11], off
	v_add_co_u32_e32 v10, vcc, 64, v10
	v_add_u32_e32 v4, 4, v4
	v_addc_co_u32_e32 v11, vcc, 0, v11, vcc
	v_cmp_ge_i32_e32 vcc, v4, v8
	s_or_b64 s[50:51], vcc, s[50:51]
	s_waitcnt vmcnt(0)
	global_store_dwordx4 v[6:7], v[12:15], off
	v_add_co_u32_e32 v6, vcc, 64, v6
	v_addc_co_u32_e32 v7, vcc, 0, v7, vcc
	s_andn2_b64 exec, exec, s[50:51]
	s_cbranch_execnz .LBB44_66
.LBB44_67:                              ;   in Loop: Header=BB44_63 Depth=2
	s_or_b64 exec, exec, s[48:49]
	v_mov_b32_e32 v5, s9
	v_add_co_u32_e32 v4, vcc, s8, v2
	v_addc_co_u32_e32 v5, vcc, v5, v3, vcc
	global_load_dword v4, v[4:5], off
	v_mov_b32_e32 v5, s11
	v_add_co_u32_e32 v2, vcc, s10, v2
	v_addc_co_u32_e32 v3, vcc, v5, v3, vcc
	global_load_dword v3, v[2:3], off
	s_waitcnt vmcnt(1)
	v_add_u32_e32 v2, v31, v4
	s_waitcnt vmcnt(0)
	v_subrev_u32_e32 v8, s70, v3
	v_cmp_lt_i32_e32 vcc, v2, v8
	s_and_saveexec_b64 s[48:49], vcc
	s_cbranch_execz .LBB44_70
; %bb.68:                               ;   in Loop: Header=BB44_63 Depth=2
	v_ashrrev_i32_e32 v3, 31, v2
	v_lshlrev_b64 v[6:7], 4, v[2:3]
	v_mov_b32_e32 v3, s15
	v_add_co_u32_e32 v4, vcc, s14, v6
	v_addc_co_u32_e32 v5, vcc, v3, v7, vcc
	v_mov_b32_e32 v3, s43
	v_add_co_u32_e32 v6, vcc, s42, v6
	v_addc_co_u32_e32 v7, vcc, v3, v7, vcc
	s_mov_b64 s[50:51], 0
.LBB44_69:                              ;   Parent Loop BB44_3 Depth=1
                                        ;     Parent Loop BB44_63 Depth=2
                                        ; =>    This Inner Loop Header: Depth=3
	global_load_dwordx4 v[10:13], v[6:7], off
	v_add_co_u32_e32 v6, vcc, 64, v6
	v_add_u32_e32 v2, 4, v2
	v_addc_co_u32_e32 v7, vcc, 0, v7, vcc
	v_cmp_ge_i32_e32 vcc, v2, v8
	s_or_b64 s[50:51], vcc, s[50:51]
	s_waitcnt vmcnt(0)
	global_store_dwordx4 v[4:5], v[10:13], off
	v_add_co_u32_e32 v4, vcc, 64, v4
	v_addc_co_u32_e32 v5, vcc, 0, v5, vcc
	s_andn2_b64 exec, exec, s[50:51]
	s_cbranch_execnz .LBB44_69
.LBB44_70:                              ;   in Loop: Header=BB44_63 Depth=2
	s_or_b64 exec, exec, s[48:49]
	s_and_b64 exec, exec, s[2:3]
	s_cbranch_execz .LBB44_62
; %bb.71:                               ;   in Loop: Header=BB44_63 Depth=2
	v_lshlrev_b64 v[6:7], 4, v[0:1]
	v_mov_b32_e32 v1, s39
	v_add_co_u32_e32 v2, vcc, s38, v6
	v_addc_co_u32_e32 v3, vcc, v1, v7, vcc
	global_load_dwordx4 v[2:5], v[2:3], off
	v_mov_b32_e32 v1, s37
	v_add_co_u32_e32 v6, vcc, s36, v6
	v_addc_co_u32_e32 v7, vcc, v1, v7, vcc
	s_waitcnt vmcnt(0)
	global_store_dwordx4 v[6:7], v[2:5], off
	s_branch .LBB44_62
.LBB44_72:
	s_endpgm
	.section	.rodata,"a",@progbits
	.p2align	6, 0x0
	.amdhsa_kernel _ZN9rocsparseL14kernel_freerunILi1024ELi4E21rocsparse_complex_numIdEiiEEvT3_S3_T2_PKS4_S6_PKS3_PKT1_21rocsparse_index_base_S6_S6_S8_PS9_SD_SC_S6_S6_S8_SD_SD_SC_SD_SD_
		.amdhsa_group_segment_fixed_size 0
		.amdhsa_private_segment_fixed_size 0
		.amdhsa_kernarg_size 168
		.amdhsa_user_sgpr_count 6
		.amdhsa_user_sgpr_private_segment_buffer 1
		.amdhsa_user_sgpr_dispatch_ptr 0
		.amdhsa_user_sgpr_queue_ptr 0
		.amdhsa_user_sgpr_kernarg_segment_ptr 1
		.amdhsa_user_sgpr_dispatch_id 0
		.amdhsa_user_sgpr_flat_scratch_init 0
		.amdhsa_user_sgpr_kernarg_preload_length 0
		.amdhsa_user_sgpr_kernarg_preload_offset 0
		.amdhsa_user_sgpr_private_segment_size 0
		.amdhsa_uses_dynamic_stack 0
		.amdhsa_system_sgpr_private_segment_wavefront_offset 0
		.amdhsa_system_sgpr_workgroup_id_x 1
		.amdhsa_system_sgpr_workgroup_id_y 0
		.amdhsa_system_sgpr_workgroup_id_z 0
		.amdhsa_system_sgpr_workgroup_info 0
		.amdhsa_system_vgpr_workitem_id 0
		.amdhsa_next_free_vgpr 46
		.amdhsa_next_free_sgpr 76
		.amdhsa_accum_offset 48
		.amdhsa_reserve_vcc 1
		.amdhsa_reserve_flat_scratch 0
		.amdhsa_float_round_mode_32 0
		.amdhsa_float_round_mode_16_64 0
		.amdhsa_float_denorm_mode_32 3
		.amdhsa_float_denorm_mode_16_64 3
		.amdhsa_dx10_clamp 1
		.amdhsa_ieee_mode 1
		.amdhsa_fp16_overflow 0
		.amdhsa_tg_split 0
		.amdhsa_exception_fp_ieee_invalid_op 0
		.amdhsa_exception_fp_denorm_src 0
		.amdhsa_exception_fp_ieee_div_zero 0
		.amdhsa_exception_fp_ieee_overflow 0
		.amdhsa_exception_fp_ieee_underflow 0
		.amdhsa_exception_fp_ieee_inexact 0
		.amdhsa_exception_int_div_zero 0
	.end_amdhsa_kernel
	.section	.text._ZN9rocsparseL14kernel_freerunILi1024ELi4E21rocsparse_complex_numIdEiiEEvT3_S3_T2_PKS4_S6_PKS3_PKT1_21rocsparse_index_base_S6_S6_S8_PS9_SD_SC_S6_S6_S8_SD_SD_SC_SD_SD_,"axG",@progbits,_ZN9rocsparseL14kernel_freerunILi1024ELi4E21rocsparse_complex_numIdEiiEEvT3_S3_T2_PKS4_S6_PKS3_PKT1_21rocsparse_index_base_S6_S6_S8_PS9_SD_SC_S6_S6_S8_SD_SD_SC_SD_SD_,comdat
.Lfunc_end44:
	.size	_ZN9rocsparseL14kernel_freerunILi1024ELi4E21rocsparse_complex_numIdEiiEEvT3_S3_T2_PKS4_S6_PKS3_PKT1_21rocsparse_index_base_S6_S6_S8_PS9_SD_SC_S6_S6_S8_SD_SD_SC_SD_SD_, .Lfunc_end44-_ZN9rocsparseL14kernel_freerunILi1024ELi4E21rocsparse_complex_numIdEiiEEvT3_S3_T2_PKS4_S6_PKS3_PKT1_21rocsparse_index_base_S6_S6_S8_PS9_SD_SC_S6_S6_S8_SD_SD_SC_SD_SD_
                                        ; -- End function
	.section	.AMDGPU.csdata,"",@progbits
; Kernel info:
; codeLenInByte = 3292
; NumSgprs: 80
; NumVgprs: 46
; NumAgprs: 0
; TotalNumVgprs: 46
; ScratchSize: 0
; MemoryBound: 1
; FloatMode: 240
; IeeeMode: 1
; LDSByteSize: 0 bytes/workgroup (compile time only)
; SGPRBlocks: 9
; VGPRBlocks: 5
; NumSGPRsForWavesPerEU: 80
; NumVGPRsForWavesPerEU: 46
; AccumOffset: 48
; Occupancy: 8
; WaveLimiterHint : 1
; COMPUTE_PGM_RSRC2:SCRATCH_EN: 0
; COMPUTE_PGM_RSRC2:USER_SGPR: 6
; COMPUTE_PGM_RSRC2:TRAP_HANDLER: 0
; COMPUTE_PGM_RSRC2:TGID_X_EN: 1
; COMPUTE_PGM_RSRC2:TGID_Y_EN: 0
; COMPUTE_PGM_RSRC2:TGID_Z_EN: 0
; COMPUTE_PGM_RSRC2:TIDIG_COMP_CNT: 0
; COMPUTE_PGM_RSRC3_GFX90A:ACCUM_OFFSET: 11
; COMPUTE_PGM_RSRC3_GFX90A:TG_SPLIT: 0
	.section	.text._ZN9rocsparseL14kernel_freerunILi1024ELi8E21rocsparse_complex_numIdEiiEEvT3_S3_T2_PKS4_S6_PKS3_PKT1_21rocsparse_index_base_S6_S6_S8_PS9_SD_SC_S6_S6_S8_SD_SD_SC_SD_SD_,"axG",@progbits,_ZN9rocsparseL14kernel_freerunILi1024ELi8E21rocsparse_complex_numIdEiiEEvT3_S3_T2_PKS4_S6_PKS3_PKT1_21rocsparse_index_base_S6_S6_S8_PS9_SD_SC_S6_S6_S8_SD_SD_SC_SD_SD_,comdat
	.globl	_ZN9rocsparseL14kernel_freerunILi1024ELi8E21rocsparse_complex_numIdEiiEEvT3_S3_T2_PKS4_S6_PKS3_PKT1_21rocsparse_index_base_S6_S6_S8_PS9_SD_SC_S6_S6_S8_SD_SD_SC_SD_SD_ ; -- Begin function _ZN9rocsparseL14kernel_freerunILi1024ELi8E21rocsparse_complex_numIdEiiEEvT3_S3_T2_PKS4_S6_PKS3_PKT1_21rocsparse_index_base_S6_S6_S8_PS9_SD_SC_S6_S6_S8_SD_SD_SC_SD_SD_
	.p2align	8
	.type	_ZN9rocsparseL14kernel_freerunILi1024ELi8E21rocsparse_complex_numIdEiiEEvT3_S3_T2_PKS4_S6_PKS3_PKT1_21rocsparse_index_base_S6_S6_S8_PS9_SD_SC_S6_S6_S8_SD_SD_SC_SD_SD_,@function
_ZN9rocsparseL14kernel_freerunILi1024ELi8E21rocsparse_complex_numIdEiiEEvT3_S3_T2_PKS4_S6_PKS3_PKT1_21rocsparse_index_base_S6_S6_S8_PS9_SD_SC_S6_S6_S8_SD_SD_SC_SD_SD_: ; @_ZN9rocsparseL14kernel_freerunILi1024ELi8E21rocsparse_complex_numIdEiiEEvT3_S3_T2_PKS4_S6_PKS3_PKT1_21rocsparse_index_base_S6_S6_S8_PS9_SD_SC_S6_S6_S8_SD_SD_SC_SD_SD_
; %bb.0:
	s_load_dwordx2 s[34:35], s[4:5], 0x0
	v_lshrrev_b32_e32 v1, 3, v0
	s_lshl_b32 s71, s6, 10
	v_or_b32_e32 v28, s71, v1
	s_mov_b32 s33, 0
	s_waitcnt lgkmcnt(0)
	s_cmp_gt_i32 s34, 0
	v_cmp_gt_i32_e32 vcc, s35, v28
	s_cselect_b64 s[0:1], -1, 0
	s_and_b64 s[0:1], vcc, s[0:1]
	s_and_saveexec_b64 s[2:3], s[0:1]
	s_cbranch_execz .LBB45_72
; %bb.1:
	s_load_dwordx4 s[36:39], s[4:5], 0x98
	s_load_dwordx8 s[8:15], s[4:5], 0x68
	s_load_dwordx8 s[16:23], s[4:5], 0x38
	;; [unrolled: 1-line block ×3, first 2 shown]
	s_load_dword s68, s[4:5], 0x30
	s_load_dwordx2 s[40:41], s[4:5], 0x58
	s_load_dword s69, s[4:5], 0x60
	s_load_dwordx2 s[42:43], s[4:5], 0x88
	s_load_dword s70, s[4:5], 0x90
	v_and_b32_e32 v0, 7, v0
	s_addk_i32 s71, 0x400
	s_mov_b32 s44, 0
	s_waitcnt lgkmcnt(0)
	v_subrev_u32_e32 v29, s68, v0
	v_cmp_gt_u32_e64 s[0:1], s71, v28
	v_subrev_u32_e32 v30, s69, v0
	v_subrev_u32_e32 v31, s70, v0
	v_cmp_eq_u32_e64 s[2:3], 0, v0
	s_brev_b32 s45, 8
	v_mov_b32_e32 v32, 0x260
	s_movk_i32 s72, 0x1f8
	v_mov_b32_e32 v9, 0
	v_mov_b32_e32 v33, 0xffffff80
	s_branch .LBB45_3
.LBB45_2:                               ;   in Loop: Header=BB45_3 Depth=1
	s_or_b64 exec, exec, s[4:5]
	s_add_i32 s33, s33, 1
	s_cmp_eq_u32 s33, s34
	s_cbranch_scc1 .LBB45_72
.LBB45_3:                               ; =>This Loop Header: Depth=1
                                        ;     Child Loop BB45_5 Depth 2
                                        ;       Child Loop BB45_9 Depth 3
                                        ;         Child Loop BB45_13 Depth 4
                                        ;         Child Loop BB45_43 Depth 4
	;; [unrolled: 1-line block ×3, first 2 shown]
                                        ;     Child Loop BB45_63 Depth 2
                                        ;       Child Loop BB45_66 Depth 3
                                        ;       Child Loop BB45_69 Depth 3
	s_mov_b32 s73, 0
	s_branch .LBB45_5
.LBB45_4:                               ;   in Loop: Header=BB45_5 Depth=2
	s_or_b64 exec, exec, s[46:47]
	s_add_i32 s73, s73, 1
	s_cmp_eq_u32 s73, 8
	s_cbranch_scc1 .LBB45_60
.LBB45_5:                               ;   Parent Loop BB45_3 Depth=1
                                        ; =>  This Loop Header: Depth=2
                                        ;       Child Loop BB45_9 Depth 3
                                        ;         Child Loop BB45_13 Depth 4
                                        ;         Child Loop BB45_43 Depth 4
	;; [unrolled: 1-line block ×3, first 2 shown]
	v_lshl_add_u32 v10, s73, 7, v28
	v_cmp_gt_i32_e32 vcc, s35, v10
	s_and_saveexec_b64 s[46:47], vcc
	s_cbranch_execz .LBB45_4
; %bb.6:                                ;   in Loop: Header=BB45_5 Depth=2
	v_ashrrev_i32_e32 v11, 31, v10
	v_lshlrev_b64 v[0:1], 2, v[10:11]
	v_mov_b32_e32 v3, s25
	v_add_co_u32_e32 v2, vcc, s24, v0
	v_addc_co_u32_e32 v3, vcc, v3, v1, vcc
	global_load_dword v4, v[2:3], off
	v_mov_b32_e32 v3, s27
	v_add_co_u32_e32 v2, vcc, s26, v0
	v_addc_co_u32_e32 v3, vcc, v3, v1, vcc
	global_load_dword v2, v[2:3], off
	s_waitcnt vmcnt(1)
	v_add_u32_e32 v12, v29, v4
	s_waitcnt vmcnt(0)
	v_subrev_u32_e32 v11, s68, v2
	v_cmp_lt_i32_e32 vcc, v12, v11
	s_and_b64 exec, exec, vcc
	s_cbranch_execz .LBB45_4
; %bb.7:                                ;   in Loop: Header=BB45_5 Depth=2
	v_mov_b32_e32 v3, s19
	v_add_co_u32_e32 v2, vcc, s18, v0
	v_addc_co_u32_e32 v3, vcc, v3, v1, vcc
	v_mov_b32_e32 v4, s17
	v_add_co_u32_e32 v0, vcc, s16, v0
	v_addc_co_u32_e32 v1, vcc, v4, v1, vcc
	global_load_dword v0, v[0:1], off
	s_nop 0
	global_load_dword v1, v[2:3], off
	v_mov_b32_e32 v4, s21
	v_mov_b32_e32 v5, s23
	s_mov_b64 s[48:49], 0
	s_waitcnt vmcnt(1)
	v_subrev_u32_e32 v14, s69, v0
	v_ashrrev_i32_e32 v15, 31, v14
	s_waitcnt vmcnt(0)
	v_sub_u32_e32 v34, v1, v0
	v_lshlrev_b64 v[0:1], 2, v[14:15]
	v_lshlrev_b64 v[2:3], 4, v[14:15]
	v_add_co_u32_e32 v15, vcc, s20, v0
	v_addc_co_u32_e32 v35, vcc, v4, v1, vcc
	v_add_co_u32_e32 v36, vcc, s22, v2
	v_cmp_lt_i32_e64 s[4:5], 0, v34
	v_addc_co_u32_e32 v37, vcc, v5, v3, vcc
	s_branch .LBB45_9
.LBB45_8:                               ;   in Loop: Header=BB45_9 Depth=3
	s_or_b64 exec, exec, s[50:51]
	v_add_u32_e32 v12, 8, v12
	v_cmp_ge_i32_e32 vcc, v12, v11
	s_or_b64 s[48:49], vcc, s[48:49]
	s_andn2_b64 exec, exec, s[48:49]
	s_cbranch_execz .LBB45_4
.LBB45_9:                               ;   Parent Loop BB45_3 Depth=1
                                        ;     Parent Loop BB45_5 Depth=2
                                        ; =>    This Loop Header: Depth=3
                                        ;         Child Loop BB45_13 Depth 4
                                        ;         Child Loop BB45_43 Depth 4
                                        ;         Child Loop BB45_53 Depth 4
	v_ashrrev_i32_e32 v13, 31, v12
	v_lshlrev_b64 v[0:1], 2, v[12:13]
	v_mov_b32_e32 v2, s29
	v_add_co_u32_e32 v0, vcc, s28, v0
	v_addc_co_u32_e32 v1, vcc, v2, v1, vcc
	global_load_dword v0, v[0:1], off
	v_mov_b32_e32 v3, s9
	v_mov_b32_e32 v4, s11
	;; [unrolled: 1-line block ×4, first 2 shown]
	s_waitcnt vmcnt(0)
	v_subrev_u32_e32 v16, s68, v0
	v_ashrrev_i32_e32 v17, 31, v16
	v_lshlrev_b64 v[0:1], 2, v[16:17]
	v_add_co_u32_e32 v2, vcc, s8, v0
	v_addc_co_u32_e32 v3, vcc, v3, v1, vcc
	v_add_co_u32_e32 v0, vcc, s10, v0
	v_addc_co_u32_e32 v1, vcc, v4, v1, vcc
	global_load_dword v4, v[2:3], off
	global_load_dword v5, v[0:1], off
	v_pk_mov_b32 v[0:1], 0, 0
	v_pk_mov_b32 v[2:3], v[0:1], v[0:1] op_sel:[0,1]
	s_waitcnt vmcnt(1)
	v_subrev_u32_e32 v18, s70, v4
	s_waitcnt vmcnt(0)
	v_sub_u32_e32 v38, v5, v4
	s_and_saveexec_b64 s[6:7], s[4:5]
	s_cbranch_execz .LBB45_17
; %bb.10:                               ;   in Loop: Header=BB45_9 Depth=3
	v_ashrrev_i32_e32 v19, 31, v18
	v_lshlrev_b64 v[0:1], 2, v[18:19]
	v_mov_b32_e32 v2, s13
	v_add_co_u32_e32 v4, vcc, s12, v0
	v_addc_co_u32_e32 v5, vcc, v2, v1, vcc
	v_lshlrev_b64 v[0:1], 4, v[18:19]
	v_mov_b32_e32 v2, s15
	v_add_co_u32_e32 v6, vcc, s14, v0
	v_addc_co_u32_e32 v7, vcc, v2, v1, vcc
	v_mov_b32_e32 v20, 0
	v_pk_mov_b32 v[0:1], 0, 0
	s_mov_b64 s[50:51], 0
	v_mov_b32_e32 v8, v20
	v_pk_mov_b32 v[2:3], v[0:1], v[0:1] op_sel:[0,1]
                                        ; implicit-def: $sgpr52_sgpr53
	s_branch .LBB45_13
.LBB45_11:                              ;   in Loop: Header=BB45_13 Depth=4
	s_or_b64 exec, exec, s[56:57]
	v_cmp_le_i32_e32 vcc, v19, v22
	v_addc_co_u32_e32 v8, vcc, 0, v8, vcc
	v_cmp_ge_i32_e32 vcc, v19, v22
	v_addc_co_u32_e32 v20, vcc, 0, v20, vcc
	v_cmp_ge_i32_e32 vcc, v8, v34
	s_andn2_b64 s[52:53], s[52:53], exec
	s_and_b64 s[56:57], vcc, exec
	s_or_b64 s[52:53], s[52:53], s[56:57]
.LBB45_12:                              ;   in Loop: Header=BB45_13 Depth=4
	s_or_b64 exec, exec, s[54:55]
	s_and_b64 s[54:55], exec, s[52:53]
	s_or_b64 s[50:51], s[54:55], s[50:51]
	s_andn2_b64 exec, exec, s[50:51]
	s_cbranch_execz .LBB45_16
.LBB45_13:                              ;   Parent Loop BB45_3 Depth=1
                                        ;     Parent Loop BB45_5 Depth=2
                                        ;       Parent Loop BB45_9 Depth=3
                                        ; =>      This Inner Loop Header: Depth=4
	v_cmp_lt_i32_e32 vcc, v20, v38
	s_or_b64 s[52:53], s[52:53], exec
	s_and_saveexec_b64 s[54:55], vcc
	s_cbranch_execz .LBB45_12
; %bb.14:                               ;   in Loop: Header=BB45_13 Depth=4
	v_lshlrev_b64 v[22:23], 2, v[8:9]
	v_add_co_u32_e32 v22, vcc, v15, v22
	v_addc_co_u32_e32 v23, vcc, v35, v23, vcc
	v_mov_b32_e32 v21, v9
	global_load_dword v19, v[22:23], off
	v_lshlrev_b64 v[22:23], 2, v[20:21]
	v_add_co_u32_e32 v22, vcc, v4, v22
	v_addc_co_u32_e32 v23, vcc, v5, v23, vcc
	global_load_dword v22, v[22:23], off
	s_waitcnt vmcnt(1)
	v_subrev_u32_e32 v19, s69, v19
	s_waitcnt vmcnt(0)
	v_subrev_u32_e32 v22, s70, v22
	v_cmp_eq_u32_e32 vcc, v19, v22
	s_and_saveexec_b64 s[56:57], vcc
	s_cbranch_execz .LBB45_11
; %bb.15:                               ;   in Loop: Header=BB45_13 Depth=4
	v_lshlrev_b64 v[24:25], 4, v[8:9]
	v_add_co_u32_e32 v24, vcc, v36, v24
	v_addc_co_u32_e32 v25, vcc, v37, v25, vcc
	v_lshlrev_b64 v[40:41], 4, v[20:21]
	v_add_co_u32_e32 v40, vcc, v6, v40
	v_addc_co_u32_e32 v41, vcc, v7, v41, vcc
	global_load_dwordx4 v[24:27], v[24:25], off
	s_nop 0
	global_load_dwordx4 v[40:43], v[40:41], off
	s_waitcnt vmcnt(0)
	v_fmac_f64_e32 v[0:1], v[24:25], v[40:41]
	v_fmac_f64_e32 v[2:3], v[26:27], v[40:41]
	v_fma_f64 v[0:1], -v[26:27], v[42:43], v[0:1]
	v_fmac_f64_e32 v[2:3], v[24:25], v[42:43]
	s_branch .LBB45_11
.LBB45_16:                              ;   in Loop: Header=BB45_9 Depth=3
	s_or_b64 exec, exec, s[50:51]
.LBB45_17:                              ;   in Loop: Header=BB45_9 Depth=3
	s_or_b64 exec, exec, s[6:7]
	v_lshlrev_b64 v[4:5], 4, v[12:13]
	v_mov_b32_e32 v6, s31
	v_add_co_u32_e32 v4, vcc, s30, v4
	v_addc_co_u32_e32 v5, vcc, v6, v5, vcc
	global_load_dwordx4 v[4:7], v[4:5], off
	v_cmp_le_i32_e64 s[6:7], v10, v16
	v_cmp_gt_i32_e32 vcc, v10, v16
	s_waitcnt vmcnt(0)
	v_add_f64 v[0:1], v[4:5], -v[0:1]
	v_add_f64 v[2:3], v[6:7], -v[2:3]
	s_and_saveexec_b64 s[50:51], vcc
	s_cbranch_execz .LBB45_27
; %bb.18:                               ;   in Loop: Header=BB45_9 Depth=3
	v_lshlrev_b64 v[4:5], 4, v[16:17]
	v_mov_b32_e32 v6, s37
	v_add_co_u32_e32 v4, vcc, s36, v4
	v_addc_co_u32_e32 v5, vcc, v6, v5, vcc
	global_load_dwordx4 v[4:7], v[4:5], off
                                        ; implicit-def: $vgpr26_vgpr27
	s_waitcnt vmcnt(0)
	v_xor_b32_e32 v13, 0x80000000, v5
	v_cmp_gt_f64_e32 vcc, 0, v[4:5]
	v_xor_b32_e32 v19, 0x80000000, v7
	v_cndmask_b32_e32 v23, v5, v13, vcc
	v_cmp_gt_f64_e32 vcc, 0, v[6:7]
	v_mov_b32_e32 v22, v4
	v_cndmask_b32_e32 v25, v7, v19, vcc
	v_mov_b32_e32 v24, v6
	v_cmp_ngt_f64_e32 vcc, v[22:23], v[24:25]
	s_and_saveexec_b64 s[52:53], vcc
	s_xor_b64 s[52:53], exec, s[52:53]
	s_cbranch_execz .LBB45_22
; %bb.19:                               ;   in Loop: Header=BB45_9 Depth=3
	v_cmp_neq_f64_e32 vcc, 0, v[6:7]
	v_pk_mov_b32 v[26:27], 0, 0
	s_and_saveexec_b64 s[54:55], vcc
	s_cbranch_execz .LBB45_21
; %bb.20:                               ;   in Loop: Header=BB45_9 Depth=3
	v_div_scale_f64 v[26:27], s[56:57], v[24:25], v[24:25], v[22:23]
	v_rcp_f64_e32 v[40:41], v[26:27]
	v_div_scale_f64 v[42:43], vcc, v[22:23], v[24:25], v[22:23]
	v_fma_f64 v[44:45], -v[26:27], v[40:41], 1.0
	v_fmac_f64_e32 v[40:41], v[40:41], v[44:45]
	v_fma_f64 v[44:45], -v[26:27], v[40:41], 1.0
	v_fmac_f64_e32 v[40:41], v[40:41], v[44:45]
	v_mul_f64 v[44:45], v[42:43], v[40:41]
	v_fma_f64 v[26:27], -v[26:27], v[44:45], v[42:43]
	v_div_fmas_f64 v[26:27], v[26:27], v[40:41], v[44:45]
	v_div_fixup_f64 v[22:23], v[26:27], v[24:25], v[22:23]
	v_fma_f64 v[22:23], v[22:23], v[22:23], 1.0
	v_cmp_gt_f64_e32 vcc, s[44:45], v[22:23]
	v_cndmask_b32_e64 v13, 0, 1, vcc
	v_lshlrev_b32_e32 v13, 8, v13
	v_ldexp_f64 v[22:23], v[22:23], v13
	v_rsq_f64_e32 v[26:27], v[22:23]
	v_cndmask_b32_e32 v13, 0, v33, vcc
	v_cmp_class_f64_e32 vcc, v[22:23], v32
	v_mul_f64 v[40:41], v[22:23], v[26:27]
	v_mul_f64 v[26:27], v[26:27], 0.5
	v_fma_f64 v[42:43], -v[26:27], v[40:41], 0.5
	v_fmac_f64_e32 v[40:41], v[40:41], v[42:43]
	v_fma_f64 v[44:45], -v[40:41], v[40:41], v[22:23]
	v_fmac_f64_e32 v[26:27], v[26:27], v[42:43]
	v_fmac_f64_e32 v[40:41], v[44:45], v[26:27]
	v_fma_f64 v[42:43], -v[40:41], v[40:41], v[22:23]
	v_fmac_f64_e32 v[40:41], v[42:43], v[26:27]
	v_ldexp_f64 v[26:27], v[40:41], v13
	v_cndmask_b32_e32 v23, v27, v23, vcc
	v_cndmask_b32_e32 v22, v26, v22, vcc
	v_mul_f64 v[26:27], v[24:25], v[22:23]
.LBB45_21:                              ;   in Loop: Header=BB45_9 Depth=3
	s_or_b64 exec, exec, s[54:55]
                                        ; implicit-def: $vgpr22_vgpr23
                                        ; implicit-def: $vgpr24_vgpr25
.LBB45_22:                              ;   in Loop: Header=BB45_9 Depth=3
	s_andn2_saveexec_b64 s[52:53], s[52:53]
	s_cbranch_execz .LBB45_24
; %bb.23:                               ;   in Loop: Header=BB45_9 Depth=3
	v_div_scale_f64 v[26:27], s[54:55], v[22:23], v[22:23], v[24:25]
	v_rcp_f64_e32 v[40:41], v[26:27]
	v_div_scale_f64 v[42:43], vcc, v[24:25], v[22:23], v[24:25]
	v_fma_f64 v[44:45], -v[26:27], v[40:41], 1.0
	v_fmac_f64_e32 v[40:41], v[40:41], v[44:45]
	v_fma_f64 v[44:45], -v[26:27], v[40:41], 1.0
	v_fmac_f64_e32 v[40:41], v[40:41], v[44:45]
	v_mul_f64 v[44:45], v[42:43], v[40:41]
	v_fma_f64 v[26:27], -v[26:27], v[44:45], v[42:43]
	v_div_fmas_f64 v[26:27], v[26:27], v[40:41], v[44:45]
	v_div_fixup_f64 v[24:25], v[26:27], v[22:23], v[24:25]
	v_fma_f64 v[24:25], v[24:25], v[24:25], 1.0
	v_cmp_gt_f64_e32 vcc, s[44:45], v[24:25]
	v_cndmask_b32_e64 v13, 0, 1, vcc
	v_lshlrev_b32_e32 v13, 8, v13
	v_ldexp_f64 v[24:25], v[24:25], v13
	v_rsq_f64_e32 v[26:27], v[24:25]
	v_cndmask_b32_e32 v13, 0, v33, vcc
	v_cmp_class_f64_e32 vcc, v[24:25], v32
	v_mul_f64 v[40:41], v[24:25], v[26:27]
	v_mul_f64 v[26:27], v[26:27], 0.5
	v_fma_f64 v[42:43], -v[26:27], v[40:41], 0.5
	v_fmac_f64_e32 v[40:41], v[40:41], v[42:43]
	v_fma_f64 v[44:45], -v[40:41], v[40:41], v[24:25]
	v_fmac_f64_e32 v[26:27], v[26:27], v[42:43]
	v_fmac_f64_e32 v[40:41], v[44:45], v[26:27]
	v_fma_f64 v[42:43], -v[40:41], v[40:41], v[24:25]
	v_fmac_f64_e32 v[40:41], v[42:43], v[26:27]
	v_ldexp_f64 v[26:27], v[40:41], v13
	v_cndmask_b32_e32 v25, v27, v25, vcc
	v_cndmask_b32_e32 v24, v26, v24, vcc
	v_mul_f64 v[26:27], v[22:23], v[24:25]
.LBB45_24:                              ;   in Loop: Header=BB45_9 Depth=3
	s_or_b64 exec, exec, s[52:53]
	v_pk_mov_b32 v[22:23], 0, 0
	v_cmp_lt_f64_e32 vcc, 0, v[26:27]
	v_pk_mov_b32 v[24:25], v[22:23], v[22:23] op_sel:[0,1]
	s_and_saveexec_b64 s[52:53], vcc
	s_cbranch_execz .LBB45_26
; %bb.25:                               ;   in Loop: Header=BB45_9 Depth=3
	v_mul_f64 v[22:23], v[6:7], v[6:7]
	v_fmac_f64_e32 v[22:23], v[4:5], v[4:5]
	v_div_scale_f64 v[24:25], s[54:55], v[22:23], v[22:23], 1.0
	v_rcp_f64_e32 v[26:27], v[24:25]
	v_div_scale_f64 v[40:41], vcc, 1.0, v[22:23], 1.0
	v_fma_f64 v[42:43], -v[24:25], v[26:27], 1.0
	v_fmac_f64_e32 v[26:27], v[26:27], v[42:43]
	v_fma_f64 v[42:43], -v[24:25], v[26:27], 1.0
	v_fmac_f64_e32 v[26:27], v[26:27], v[42:43]
	v_mul_f64 v[42:43], v[40:41], v[26:27]
	v_fma_f64 v[24:25], -v[24:25], v[42:43], v[40:41]
	v_div_fmas_f64 v[24:25], v[24:25], v[26:27], v[42:43]
	v_div_fixup_f64 v[24:25], v[24:25], v[22:23], 1.0
	v_mul_f64 v[22:23], v[2:3], v[6:7]
	v_fmac_f64_e32 v[22:23], v[0:1], v[4:5]
	v_mul_f64 v[0:1], v[6:7], -v[0:1]
	v_fmac_f64_e32 v[0:1], v[2:3], v[4:5]
	v_mul_f64 v[22:23], v[22:23], v[24:25]
	v_mul_f64 v[24:25], v[0:1], v[24:25]
.LBB45_26:                              ;   in Loop: Header=BB45_9 Depth=3
	s_or_b64 exec, exec, s[52:53]
	v_pk_mov_b32 v[0:1], v[22:23], v[22:23] op_sel:[0,1]
	v_pk_mov_b32 v[2:3], v[24:25], v[24:25] op_sel:[0,1]
.LBB45_27:                              ;   in Loop: Header=BB45_9 Depth=3
	s_or_b64 exec, exec, s[50:51]
	v_xor_b32_e32 v4, 0x80000000, v1
	v_cmp_gt_f64_e32 vcc, 0, v[0:1]
	v_cndmask_b32_e32 v5, v1, v4, vcc
	v_cndmask_b32_e32 v4, v0, v0, vcc
	v_xor_b32_e32 v6, 0x80000000, v3
	v_cmp_gt_f64_e32 vcc, 0, v[2:3]
	v_cndmask_b32_e32 v7, v3, v6, vcc
	v_cndmask_b32_e32 v6, v2, v2, vcc
	v_cmp_ngt_f64_e32 vcc, v[4:5], v[6:7]
                                        ; implicit-def: $vgpr22_vgpr23
	s_and_saveexec_b64 s[50:51], vcc
	s_xor_b64 s[50:51], exec, s[50:51]
	s_cbranch_execnz .LBB45_30
; %bb.28:                               ;   in Loop: Header=BB45_9 Depth=3
	s_andn2_saveexec_b64 s[50:51], s[50:51]
	s_cbranch_execnz .LBB45_33
.LBB45_29:                              ;   in Loop: Header=BB45_9 Depth=3
	s_or_b64 exec, exec, s[50:51]
	v_cmp_class_f64_e64 s[52:53], v[22:23], s72
	s_and_saveexec_b64 s[50:51], s[52:53]
	s_cbranch_execz .LBB45_8
	s_branch .LBB45_34
.LBB45_30:                              ;   in Loop: Header=BB45_9 Depth=3
	v_cmp_neq_f64_e32 vcc, 0, v[2:3]
	v_pk_mov_b32 v[22:23], 0, 0
	s_and_saveexec_b64 s[52:53], vcc
	s_cbranch_execz .LBB45_32
; %bb.31:                               ;   in Loop: Header=BB45_9 Depth=3
	v_div_scale_f64 v[22:23], s[54:55], v[6:7], v[6:7], v[4:5]
	v_rcp_f64_e32 v[24:25], v[22:23]
	v_div_scale_f64 v[26:27], vcc, v[4:5], v[6:7], v[4:5]
	v_fma_f64 v[40:41], -v[22:23], v[24:25], 1.0
	v_fmac_f64_e32 v[24:25], v[24:25], v[40:41]
	v_fma_f64 v[40:41], -v[22:23], v[24:25], 1.0
	v_fmac_f64_e32 v[24:25], v[24:25], v[40:41]
	v_mul_f64 v[40:41], v[26:27], v[24:25]
	v_fma_f64 v[22:23], -v[22:23], v[40:41], v[26:27]
	v_div_fmas_f64 v[22:23], v[22:23], v[24:25], v[40:41]
	v_div_fixup_f64 v[4:5], v[22:23], v[6:7], v[4:5]
	v_fma_f64 v[4:5], v[4:5], v[4:5], 1.0
	v_cmp_gt_f64_e32 vcc, s[44:45], v[4:5]
	v_cndmask_b32_e64 v13, 0, 1, vcc
	v_lshlrev_b32_e32 v13, 8, v13
	v_ldexp_f64 v[4:5], v[4:5], v13
	v_rsq_f64_e32 v[22:23], v[4:5]
	v_cndmask_b32_e32 v13, 0, v33, vcc
	v_cmp_class_f64_e32 vcc, v[4:5], v32
	v_mul_f64 v[24:25], v[4:5], v[22:23]
	v_mul_f64 v[22:23], v[22:23], 0.5
	v_fma_f64 v[26:27], -v[22:23], v[24:25], 0.5
	v_fmac_f64_e32 v[24:25], v[24:25], v[26:27]
	v_fma_f64 v[40:41], -v[24:25], v[24:25], v[4:5]
	v_fmac_f64_e32 v[22:23], v[22:23], v[26:27]
	v_fmac_f64_e32 v[24:25], v[40:41], v[22:23]
	v_fma_f64 v[26:27], -v[24:25], v[24:25], v[4:5]
	v_fmac_f64_e32 v[24:25], v[26:27], v[22:23]
	v_ldexp_f64 v[22:23], v[24:25], v13
	v_cndmask_b32_e32 v5, v23, v5, vcc
	v_cndmask_b32_e32 v4, v22, v4, vcc
	v_mul_f64 v[22:23], v[6:7], v[4:5]
.LBB45_32:                              ;   in Loop: Header=BB45_9 Depth=3
	s_or_b64 exec, exec, s[52:53]
                                        ; implicit-def: $vgpr4_vgpr5
                                        ; implicit-def: $vgpr6_vgpr7
	s_andn2_saveexec_b64 s[50:51], s[50:51]
	s_cbranch_execz .LBB45_29
.LBB45_33:                              ;   in Loop: Header=BB45_9 Depth=3
	v_div_scale_f64 v[22:23], s[52:53], v[4:5], v[4:5], v[6:7]
	v_rcp_f64_e32 v[24:25], v[22:23]
	v_div_scale_f64 v[26:27], vcc, v[6:7], v[4:5], v[6:7]
	v_fma_f64 v[40:41], -v[22:23], v[24:25], 1.0
	v_fmac_f64_e32 v[24:25], v[24:25], v[40:41]
	v_fma_f64 v[40:41], -v[22:23], v[24:25], 1.0
	v_fmac_f64_e32 v[24:25], v[24:25], v[40:41]
	v_mul_f64 v[40:41], v[26:27], v[24:25]
	v_fma_f64 v[22:23], -v[22:23], v[40:41], v[26:27]
	v_div_fmas_f64 v[22:23], v[22:23], v[24:25], v[40:41]
	v_div_fixup_f64 v[6:7], v[22:23], v[4:5], v[6:7]
	v_fma_f64 v[6:7], v[6:7], v[6:7], 1.0
	v_cmp_gt_f64_e32 vcc, s[44:45], v[6:7]
	v_cndmask_b32_e64 v13, 0, 1, vcc
	v_lshlrev_b32_e32 v13, 8, v13
	v_ldexp_f64 v[6:7], v[6:7], v13
	v_rsq_f64_e32 v[22:23], v[6:7]
	v_cndmask_b32_e32 v13, 0, v33, vcc
	v_cmp_class_f64_e32 vcc, v[6:7], v32
	v_mul_f64 v[24:25], v[6:7], v[22:23]
	v_mul_f64 v[22:23], v[22:23], 0.5
	v_fma_f64 v[26:27], -v[22:23], v[24:25], 0.5
	v_fmac_f64_e32 v[24:25], v[24:25], v[26:27]
	v_fma_f64 v[40:41], -v[24:25], v[24:25], v[6:7]
	v_fmac_f64_e32 v[22:23], v[22:23], v[26:27]
	v_fmac_f64_e32 v[24:25], v[40:41], v[22:23]
	v_fma_f64 v[26:27], -v[24:25], v[24:25], v[6:7]
	v_fmac_f64_e32 v[24:25], v[26:27], v[22:23]
	v_ldexp_f64 v[22:23], v[24:25], v13
	v_cndmask_b32_e32 v7, v23, v7, vcc
	v_cndmask_b32_e32 v6, v22, v6, vcc
	v_mul_f64 v[22:23], v[4:5], v[6:7]
	s_or_b64 exec, exec, s[50:51]
	v_cmp_class_f64_e64 s[52:53], v[22:23], s72
	s_and_saveexec_b64 s[50:51], s[52:53]
	s_cbranch_execz .LBB45_8
.LBB45_34:                              ;   in Loop: Header=BB45_9 Depth=3
	s_mov_b64 s[52:53], 0
                                        ; implicit-def: $vgpr4_vgpr5
	s_and_saveexec_b64 s[54:55], s[6:7]
	s_xor_b64 s[6:7], exec, s[54:55]
	s_cbranch_execnz .LBB45_37
; %bb.35:                               ;   in Loop: Header=BB45_9 Depth=3
	s_andn2_saveexec_b64 s[6:7], s[6:7]
	s_cbranch_execnz .LBB45_50
.LBB45_36:                              ;   in Loop: Header=BB45_9 Depth=3
	s_or_b64 exec, exec, s[6:7]
	s_and_b64 exec, exec, s[52:53]
	s_cbranch_execz .LBB45_8
	s_branch .LBB45_59
.LBB45_37:                              ;   in Loop: Header=BB45_9 Depth=3
	v_cmp_ge_i32_e32 vcc, v10, v16
                                        ; implicit-def: $vgpr4_vgpr5
	s_and_saveexec_b64 s[54:55], vcc
	s_xor_b64 s[54:55], exec, s[54:55]
; %bb.38:                               ;   in Loop: Header=BB45_9 Depth=3
	v_lshlrev_b64 v[4:5], 4, v[16:17]
	v_mov_b32_e32 v6, s39
	v_add_co_u32_e32 v4, vcc, s38, v4
	s_mov_b64 s[52:53], exec
	v_addc_co_u32_e32 v5, vcc, v6, v5, vcc
                                        ; implicit-def: $vgpr20
                                        ; implicit-def: $vgpr38
                                        ; implicit-def: $vgpr18
; %bb.39:                               ;   in Loop: Header=BB45_9 Depth=3
	s_andn2_saveexec_b64 s[54:55], s[54:55]
	s_cbranch_execz .LBB45_49
; %bb.40:                               ;   in Loop: Header=BB45_9 Depth=3
	v_cmp_lt_i32_e32 vcc, v20, v38
	s_mov_b64 s[58:59], s[52:53]
                                        ; implicit-def: $vgpr4_vgpr5
	s_and_saveexec_b64 s[56:57], vcc
	s_cbranch_execz .LBB45_48
; %bb.41:                               ;   in Loop: Header=BB45_9 Depth=3
	s_mov_b64 s[60:61], 0
                                        ; implicit-def: $sgpr58_sgpr59
                                        ; implicit-def: $sgpr64_sgpr65
                                        ; implicit-def: $sgpr62_sgpr63
	s_branch .LBB45_43
.LBB45_42:                              ;   in Loop: Header=BB45_43 Depth=4
	s_or_b64 exec, exec, s[66:67]
	s_and_b64 s[66:67], exec, s[64:65]
	s_or_b64 s[60:61], s[66:67], s[60:61]
	s_andn2_b64 s[58:59], s[58:59], exec
	s_and_b64 s[66:67], s[62:63], exec
	s_or_b64 s[58:59], s[58:59], s[66:67]
	s_andn2_b64 exec, exec, s[60:61]
	s_cbranch_execz .LBB45_45
.LBB45_43:                              ;   Parent Loop BB45_3 Depth=1
                                        ;     Parent Loop BB45_5 Depth=2
                                        ;       Parent Loop BB45_9 Depth=3
                                        ; =>      This Inner Loop Header: Depth=4
	v_add_u32_e32 v6, v18, v20
	v_ashrrev_i32_e32 v7, 31, v6
	v_lshlrev_b64 v[4:5], 2, v[6:7]
	v_mov_b32_e32 v8, s13
	v_add_co_u32_e32 v4, vcc, s12, v4
	v_addc_co_u32_e32 v5, vcc, v8, v5, vcc
	global_load_dword v4, v[4:5], off
	s_or_b64 s[62:63], s[62:63], exec
	s_or_b64 s[64:65], s[64:65], exec
	s_waitcnt vmcnt(0)
	v_subrev_u32_e32 v4, s70, v4
	v_cmp_ne_u32_e32 vcc, v4, v10
	s_and_saveexec_b64 s[66:67], vcc
	s_cbranch_execz .LBB45_42
; %bb.44:                               ;   in Loop: Header=BB45_43 Depth=4
	v_add_u32_e32 v20, 1, v20
	v_cmp_ge_i32_e32 vcc, v20, v38
	s_andn2_b64 s[64:65], s[64:65], exec
	s_and_b64 s[74:75], vcc, exec
	s_andn2_b64 s[62:63], s[62:63], exec
	s_or_b64 s[64:65], s[64:65], s[74:75]
	s_branch .LBB45_42
.LBB45_45:                              ;   in Loop: Header=BB45_9 Depth=3
	s_or_b64 exec, exec, s[60:61]
	s_mov_b64 s[60:61], s[52:53]
                                        ; implicit-def: $vgpr4_vgpr5
	s_and_saveexec_b64 s[62:63], s[58:59]
	s_xor_b64 s[58:59], exec, s[62:63]
; %bb.46:                               ;   in Loop: Header=BB45_9 Depth=3
	v_lshlrev_b64 v[4:5], 4, v[6:7]
	v_mov_b32_e32 v6, s43
	v_add_co_u32_e32 v4, vcc, s42, v4
	v_addc_co_u32_e32 v5, vcc, v6, v5, vcc
	s_or_b64 s[60:61], s[52:53], exec
; %bb.47:                               ;   in Loop: Header=BB45_9 Depth=3
	s_or_b64 exec, exec, s[58:59]
	s_andn2_b64 s[58:59], s[52:53], exec
	s_and_b64 s[60:61], s[60:61], exec
	s_or_b64 s[58:59], s[58:59], s[60:61]
.LBB45_48:                              ;   in Loop: Header=BB45_9 Depth=3
	s_or_b64 exec, exec, s[56:57]
	s_andn2_b64 s[52:53], s[52:53], exec
	s_and_b64 s[56:57], s[58:59], exec
	s_or_b64 s[52:53], s[52:53], s[56:57]
.LBB45_49:                              ;   in Loop: Header=BB45_9 Depth=3
	s_or_b64 exec, exec, s[54:55]
	s_and_b64 s[52:53], s[52:53], exec
                                        ; implicit-def: $vgpr16_vgpr17
	s_andn2_saveexec_b64 s[6:7], s[6:7]
	s_cbranch_execz .LBB45_36
.LBB45_50:                              ;   in Loop: Header=BB45_9 Depth=3
	v_cmp_lt_i32_e32 vcc, v8, v34
	s_mov_b64 s[56:57], s[52:53]
                                        ; implicit-def: $vgpr4_vgpr5
	s_and_saveexec_b64 s[54:55], vcc
	s_cbranch_execz .LBB45_58
; %bb.51:                               ;   in Loop: Header=BB45_9 Depth=3
	s_mov_b64 s[58:59], 0
                                        ; implicit-def: $sgpr56_sgpr57
                                        ; implicit-def: $sgpr62_sgpr63
                                        ; implicit-def: $sgpr60_sgpr61
	s_branch .LBB45_53
.LBB45_52:                              ;   in Loop: Header=BB45_53 Depth=4
	s_or_b64 exec, exec, s[64:65]
	s_and_b64 s[64:65], exec, s[62:63]
	s_or_b64 s[58:59], s[64:65], s[58:59]
	s_andn2_b64 s[56:57], s[56:57], exec
	s_and_b64 s[64:65], s[60:61], exec
	s_or_b64 s[56:57], s[56:57], s[64:65]
	s_andn2_b64 exec, exec, s[58:59]
	s_cbranch_execz .LBB45_55
.LBB45_53:                              ;   Parent Loop BB45_3 Depth=1
                                        ;     Parent Loop BB45_5 Depth=2
                                        ;       Parent Loop BB45_9 Depth=3
                                        ; =>      This Inner Loop Header: Depth=4
	v_add_u32_e32 v6, v14, v8
	v_ashrrev_i32_e32 v7, 31, v6
	v_lshlrev_b64 v[4:5], 2, v[6:7]
	v_mov_b32_e32 v13, s21
	v_add_co_u32_e32 v4, vcc, s20, v4
	v_addc_co_u32_e32 v5, vcc, v13, v5, vcc
	global_load_dword v4, v[4:5], off
	s_or_b64 s[60:61], s[60:61], exec
	s_or_b64 s[62:63], s[62:63], exec
	s_waitcnt vmcnt(0)
	v_subrev_u32_e32 v4, s69, v4
	v_cmp_ne_u32_e32 vcc, v4, v16
	s_and_saveexec_b64 s[64:65], vcc
	s_cbranch_execz .LBB45_52
; %bb.54:                               ;   in Loop: Header=BB45_53 Depth=4
	v_add_u32_e32 v8, 1, v8
	v_cmp_ge_i32_e32 vcc, v8, v34
	s_andn2_b64 s[62:63], s[62:63], exec
	s_and_b64 s[66:67], vcc, exec
	s_andn2_b64 s[60:61], s[60:61], exec
	s_or_b64 s[62:63], s[62:63], s[66:67]
	s_branch .LBB45_52
.LBB45_55:                              ;   in Loop: Header=BB45_9 Depth=3
	s_or_b64 exec, exec, s[58:59]
	s_mov_b64 s[58:59], s[52:53]
                                        ; implicit-def: $vgpr4_vgpr5
	s_and_saveexec_b64 s[60:61], s[56:57]
	s_xor_b64 s[56:57], exec, s[60:61]
; %bb.56:                               ;   in Loop: Header=BB45_9 Depth=3
	v_lshlrev_b64 v[4:5], 4, v[6:7]
	v_mov_b32_e32 v6, s41
	v_add_co_u32_e32 v4, vcc, s40, v4
	v_addc_co_u32_e32 v5, vcc, v6, v5, vcc
	s_or_b64 s[58:59], s[52:53], exec
; %bb.57:                               ;   in Loop: Header=BB45_9 Depth=3
	s_or_b64 exec, exec, s[56:57]
	s_andn2_b64 s[56:57], s[52:53], exec
	s_and_b64 s[58:59], s[58:59], exec
	s_or_b64 s[56:57], s[56:57], s[58:59]
.LBB45_58:                              ;   in Loop: Header=BB45_9 Depth=3
	s_or_b64 exec, exec, s[54:55]
	s_andn2_b64 s[52:53], s[52:53], exec
	s_and_b64 s[54:55], s[56:57], exec
	s_or_b64 s[52:53], s[52:53], s[54:55]
	s_or_b64 exec, exec, s[6:7]
	s_and_b64 exec, exec, s[52:53]
	s_cbranch_execz .LBB45_8
.LBB45_59:                              ;   in Loop: Header=BB45_9 Depth=3
	global_store_dwordx4 v[4:5], v[0:3], off
	s_branch .LBB45_8
.LBB45_60:                              ;   in Loop: Header=BB45_3 Depth=1
	s_and_saveexec_b64 s[4:5], s[0:1]
	s_cbranch_execz .LBB45_2
; %bb.61:                               ;   in Loop: Header=BB45_3 Depth=1
	s_mov_b64 s[6:7], 0
	v_mov_b32_e32 v0, v28
	s_branch .LBB45_63
.LBB45_62:                              ;   in Loop: Header=BB45_63 Depth=2
	s_or_b64 exec, exec, s[46:47]
	v_add_u32_e32 v0, 0x80, v0
	v_cmp_le_u32_e32 vcc, s71, v0
	s_or_b64 s[6:7], vcc, s[6:7]
	s_andn2_b64 exec, exec, s[6:7]
	s_cbranch_execz .LBB45_2
.LBB45_63:                              ;   Parent Loop BB45_3 Depth=1
                                        ; =>  This Loop Header: Depth=2
                                        ;       Child Loop BB45_66 Depth 3
                                        ;       Child Loop BB45_69 Depth 3
	v_cmp_gt_i32_e32 vcc, s35, v0
	s_and_saveexec_b64 s[46:47], vcc
	s_cbranch_execz .LBB45_62
; %bb.64:                               ;   in Loop: Header=BB45_63 Depth=2
	v_ashrrev_i32_e32 v1, 31, v0
	v_lshlrev_b64 v[2:3], 2, v[0:1]
	v_mov_b32_e32 v5, s17
	v_add_co_u32_e32 v4, vcc, s16, v2
	v_addc_co_u32_e32 v5, vcc, v5, v3, vcc
	global_load_dword v6, v[4:5], off
	v_mov_b32_e32 v5, s19
	v_add_co_u32_e32 v4, vcc, s18, v2
	v_addc_co_u32_e32 v5, vcc, v5, v3, vcc
	global_load_dword v5, v[4:5], off
	s_waitcnt vmcnt(1)
	v_add_u32_e32 v4, v30, v6
	s_waitcnt vmcnt(0)
	v_subrev_u32_e32 v8, s69, v5
	v_cmp_lt_i32_e32 vcc, v4, v8
	s_and_saveexec_b64 s[48:49], vcc
	s_cbranch_execz .LBB45_67
; %bb.65:                               ;   in Loop: Header=BB45_63 Depth=2
	v_ashrrev_i32_e32 v5, 31, v4
	v_lshlrev_b64 v[10:11], 4, v[4:5]
	v_mov_b32_e32 v5, s23
	v_add_co_u32_e32 v6, vcc, s22, v10
	v_addc_co_u32_e32 v7, vcc, v5, v11, vcc
	v_mov_b32_e32 v5, s41
	v_add_co_u32_e32 v10, vcc, s40, v10
	v_addc_co_u32_e32 v11, vcc, v5, v11, vcc
	s_mov_b64 s[50:51], 0
.LBB45_66:                              ;   Parent Loop BB45_3 Depth=1
                                        ;     Parent Loop BB45_63 Depth=2
                                        ; =>    This Inner Loop Header: Depth=3
	global_load_dwordx4 v[12:15], v[10:11], off
	v_add_u32_e32 v4, 8, v4
	v_cmp_ge_i32_e32 vcc, v4, v8
	s_or_b64 s[50:51], vcc, s[50:51]
	s_waitcnt vmcnt(0)
	global_store_dwordx4 v[6:7], v[12:15], off
	v_add_co_u32_e32 v6, vcc, 0x80, v6
	v_addc_co_u32_e32 v7, vcc, 0, v7, vcc
	v_add_co_u32_e32 v10, vcc, 0x80, v10
	v_addc_co_u32_e32 v11, vcc, 0, v11, vcc
	s_andn2_b64 exec, exec, s[50:51]
	s_cbranch_execnz .LBB45_66
.LBB45_67:                              ;   in Loop: Header=BB45_63 Depth=2
	s_or_b64 exec, exec, s[48:49]
	v_mov_b32_e32 v5, s9
	v_add_co_u32_e32 v4, vcc, s8, v2
	v_addc_co_u32_e32 v5, vcc, v5, v3, vcc
	global_load_dword v4, v[4:5], off
	v_mov_b32_e32 v5, s11
	v_add_co_u32_e32 v2, vcc, s10, v2
	v_addc_co_u32_e32 v3, vcc, v5, v3, vcc
	global_load_dword v3, v[2:3], off
	s_waitcnt vmcnt(1)
	v_add_u32_e32 v2, v31, v4
	s_waitcnt vmcnt(0)
	v_subrev_u32_e32 v8, s70, v3
	v_cmp_lt_i32_e32 vcc, v2, v8
	s_and_saveexec_b64 s[48:49], vcc
	s_cbranch_execz .LBB45_70
; %bb.68:                               ;   in Loop: Header=BB45_63 Depth=2
	v_ashrrev_i32_e32 v3, 31, v2
	v_lshlrev_b64 v[6:7], 4, v[2:3]
	v_mov_b32_e32 v3, s15
	v_add_co_u32_e32 v4, vcc, s14, v6
	v_addc_co_u32_e32 v5, vcc, v3, v7, vcc
	v_mov_b32_e32 v3, s43
	v_add_co_u32_e32 v6, vcc, s42, v6
	v_addc_co_u32_e32 v7, vcc, v3, v7, vcc
	s_mov_b64 s[50:51], 0
.LBB45_69:                              ;   Parent Loop BB45_3 Depth=1
                                        ;     Parent Loop BB45_63 Depth=2
                                        ; =>    This Inner Loop Header: Depth=3
	global_load_dwordx4 v[10:13], v[6:7], off
	v_add_u32_e32 v2, 8, v2
	v_cmp_ge_i32_e32 vcc, v2, v8
	s_or_b64 s[50:51], vcc, s[50:51]
	s_waitcnt vmcnt(0)
	global_store_dwordx4 v[4:5], v[10:13], off
	v_add_co_u32_e32 v4, vcc, 0x80, v4
	v_addc_co_u32_e32 v5, vcc, 0, v5, vcc
	v_add_co_u32_e32 v6, vcc, 0x80, v6
	v_addc_co_u32_e32 v7, vcc, 0, v7, vcc
	s_andn2_b64 exec, exec, s[50:51]
	s_cbranch_execnz .LBB45_69
.LBB45_70:                              ;   in Loop: Header=BB45_63 Depth=2
	s_or_b64 exec, exec, s[48:49]
	s_and_b64 exec, exec, s[2:3]
	s_cbranch_execz .LBB45_62
; %bb.71:                               ;   in Loop: Header=BB45_63 Depth=2
	v_lshlrev_b64 v[6:7], 4, v[0:1]
	v_mov_b32_e32 v1, s39
	v_add_co_u32_e32 v2, vcc, s38, v6
	v_addc_co_u32_e32 v3, vcc, v1, v7, vcc
	global_load_dwordx4 v[2:5], v[2:3], off
	v_mov_b32_e32 v1, s37
	v_add_co_u32_e32 v6, vcc, s36, v6
	v_addc_co_u32_e32 v7, vcc, v1, v7, vcc
	s_waitcnt vmcnt(0)
	global_store_dwordx4 v[6:7], v[2:5], off
	s_branch .LBB45_62
.LBB45_72:
	s_endpgm
	.section	.rodata,"a",@progbits
	.p2align	6, 0x0
	.amdhsa_kernel _ZN9rocsparseL14kernel_freerunILi1024ELi8E21rocsparse_complex_numIdEiiEEvT3_S3_T2_PKS4_S6_PKS3_PKT1_21rocsparse_index_base_S6_S6_S8_PS9_SD_SC_S6_S6_S8_SD_SD_SC_SD_SD_
		.amdhsa_group_segment_fixed_size 0
		.amdhsa_private_segment_fixed_size 0
		.amdhsa_kernarg_size 168
		.amdhsa_user_sgpr_count 6
		.amdhsa_user_sgpr_private_segment_buffer 1
		.amdhsa_user_sgpr_dispatch_ptr 0
		.amdhsa_user_sgpr_queue_ptr 0
		.amdhsa_user_sgpr_kernarg_segment_ptr 1
		.amdhsa_user_sgpr_dispatch_id 0
		.amdhsa_user_sgpr_flat_scratch_init 0
		.amdhsa_user_sgpr_kernarg_preload_length 0
		.amdhsa_user_sgpr_kernarg_preload_offset 0
		.amdhsa_user_sgpr_private_segment_size 0
		.amdhsa_uses_dynamic_stack 0
		.amdhsa_system_sgpr_private_segment_wavefront_offset 0
		.amdhsa_system_sgpr_workgroup_id_x 1
		.amdhsa_system_sgpr_workgroup_id_y 0
		.amdhsa_system_sgpr_workgroup_id_z 0
		.amdhsa_system_sgpr_workgroup_info 0
		.amdhsa_system_vgpr_workitem_id 0
		.amdhsa_next_free_vgpr 46
		.amdhsa_next_free_sgpr 76
		.amdhsa_accum_offset 48
		.amdhsa_reserve_vcc 1
		.amdhsa_reserve_flat_scratch 0
		.amdhsa_float_round_mode_32 0
		.amdhsa_float_round_mode_16_64 0
		.amdhsa_float_denorm_mode_32 3
		.amdhsa_float_denorm_mode_16_64 3
		.amdhsa_dx10_clamp 1
		.amdhsa_ieee_mode 1
		.amdhsa_fp16_overflow 0
		.amdhsa_tg_split 0
		.amdhsa_exception_fp_ieee_invalid_op 0
		.amdhsa_exception_fp_denorm_src 0
		.amdhsa_exception_fp_ieee_div_zero 0
		.amdhsa_exception_fp_ieee_overflow 0
		.amdhsa_exception_fp_ieee_underflow 0
		.amdhsa_exception_fp_ieee_inexact 0
		.amdhsa_exception_int_div_zero 0
	.end_amdhsa_kernel
	.section	.text._ZN9rocsparseL14kernel_freerunILi1024ELi8E21rocsparse_complex_numIdEiiEEvT3_S3_T2_PKS4_S6_PKS3_PKT1_21rocsparse_index_base_S6_S6_S8_PS9_SD_SC_S6_S6_S8_SD_SD_SC_SD_SD_,"axG",@progbits,_ZN9rocsparseL14kernel_freerunILi1024ELi8E21rocsparse_complex_numIdEiiEEvT3_S3_T2_PKS4_S6_PKS3_PKT1_21rocsparse_index_base_S6_S6_S8_PS9_SD_SC_S6_S6_S8_SD_SD_SC_SD_SD_,comdat
.Lfunc_end45:
	.size	_ZN9rocsparseL14kernel_freerunILi1024ELi8E21rocsparse_complex_numIdEiiEEvT3_S3_T2_PKS4_S6_PKS3_PKT1_21rocsparse_index_base_S6_S6_S8_PS9_SD_SC_S6_S6_S8_SD_SD_SC_SD_SD_, .Lfunc_end45-_ZN9rocsparseL14kernel_freerunILi1024ELi8E21rocsparse_complex_numIdEiiEEvT3_S3_T2_PKS4_S6_PKS3_PKT1_21rocsparse_index_base_S6_S6_S8_PS9_SD_SC_S6_S6_S8_SD_SD_SC_SD_SD_
                                        ; -- End function
	.section	.AMDGPU.csdata,"",@progbits
; Kernel info:
; codeLenInByte = 3308
; NumSgprs: 80
; NumVgprs: 46
; NumAgprs: 0
; TotalNumVgprs: 46
; ScratchSize: 0
; MemoryBound: 1
; FloatMode: 240
; IeeeMode: 1
; LDSByteSize: 0 bytes/workgroup (compile time only)
; SGPRBlocks: 9
; VGPRBlocks: 5
; NumSGPRsForWavesPerEU: 80
; NumVGPRsForWavesPerEU: 46
; AccumOffset: 48
; Occupancy: 8
; WaveLimiterHint : 1
; COMPUTE_PGM_RSRC2:SCRATCH_EN: 0
; COMPUTE_PGM_RSRC2:USER_SGPR: 6
; COMPUTE_PGM_RSRC2:TRAP_HANDLER: 0
; COMPUTE_PGM_RSRC2:TGID_X_EN: 1
; COMPUTE_PGM_RSRC2:TGID_Y_EN: 0
; COMPUTE_PGM_RSRC2:TGID_Z_EN: 0
; COMPUTE_PGM_RSRC2:TIDIG_COMP_CNT: 0
; COMPUTE_PGM_RSRC3_GFX90A:ACCUM_OFFSET: 11
; COMPUTE_PGM_RSRC3_GFX90A:TG_SPLIT: 0
	.section	.text._ZN9rocsparseL14kernel_freerunILi1024ELi16E21rocsparse_complex_numIdEiiEEvT3_S3_T2_PKS4_S6_PKS3_PKT1_21rocsparse_index_base_S6_S6_S8_PS9_SD_SC_S6_S6_S8_SD_SD_SC_SD_SD_,"axG",@progbits,_ZN9rocsparseL14kernel_freerunILi1024ELi16E21rocsparse_complex_numIdEiiEEvT3_S3_T2_PKS4_S6_PKS3_PKT1_21rocsparse_index_base_S6_S6_S8_PS9_SD_SC_S6_S6_S8_SD_SD_SC_SD_SD_,comdat
	.globl	_ZN9rocsparseL14kernel_freerunILi1024ELi16E21rocsparse_complex_numIdEiiEEvT3_S3_T2_PKS4_S6_PKS3_PKT1_21rocsparse_index_base_S6_S6_S8_PS9_SD_SC_S6_S6_S8_SD_SD_SC_SD_SD_ ; -- Begin function _ZN9rocsparseL14kernel_freerunILi1024ELi16E21rocsparse_complex_numIdEiiEEvT3_S3_T2_PKS4_S6_PKS3_PKT1_21rocsparse_index_base_S6_S6_S8_PS9_SD_SC_S6_S6_S8_SD_SD_SC_SD_SD_
	.p2align	8
	.type	_ZN9rocsparseL14kernel_freerunILi1024ELi16E21rocsparse_complex_numIdEiiEEvT3_S3_T2_PKS4_S6_PKS3_PKT1_21rocsparse_index_base_S6_S6_S8_PS9_SD_SC_S6_S6_S8_SD_SD_SC_SD_SD_,@function
_ZN9rocsparseL14kernel_freerunILi1024ELi16E21rocsparse_complex_numIdEiiEEvT3_S3_T2_PKS4_S6_PKS3_PKT1_21rocsparse_index_base_S6_S6_S8_PS9_SD_SC_S6_S6_S8_SD_SD_SC_SD_SD_: ; @_ZN9rocsparseL14kernel_freerunILi1024ELi16E21rocsparse_complex_numIdEiiEEvT3_S3_T2_PKS4_S6_PKS3_PKT1_21rocsparse_index_base_S6_S6_S8_PS9_SD_SC_S6_S6_S8_SD_SD_SC_SD_SD_
; %bb.0:
	s_load_dwordx2 s[34:35], s[4:5], 0x0
	v_lshrrev_b32_e32 v1, 4, v0
	s_lshl_b32 s71, s6, 10
	v_or_b32_e32 v28, s71, v1
	s_mov_b32 s33, 0
	s_waitcnt lgkmcnt(0)
	s_cmp_gt_i32 s34, 0
	v_cmp_gt_i32_e32 vcc, s35, v28
	s_cselect_b64 s[0:1], -1, 0
	s_and_b64 s[0:1], vcc, s[0:1]
	s_and_saveexec_b64 s[2:3], s[0:1]
	s_cbranch_execz .LBB46_72
; %bb.1:
	s_load_dwordx4 s[36:39], s[4:5], 0x98
	s_load_dwordx8 s[8:15], s[4:5], 0x68
	s_load_dwordx8 s[16:23], s[4:5], 0x38
	;; [unrolled: 1-line block ×3, first 2 shown]
	s_load_dword s68, s[4:5], 0x30
	s_load_dwordx2 s[40:41], s[4:5], 0x58
	s_load_dword s69, s[4:5], 0x60
	s_load_dwordx2 s[42:43], s[4:5], 0x88
	s_load_dword s70, s[4:5], 0x90
	v_and_b32_e32 v0, 15, v0
	s_addk_i32 s71, 0x400
	s_mov_b32 s44, 0
	s_waitcnt lgkmcnt(0)
	v_subrev_u32_e32 v29, s68, v0
	v_cmp_gt_u32_e64 s[0:1], s71, v28
	v_subrev_u32_e32 v30, s69, v0
	v_subrev_u32_e32 v31, s70, v0
	v_cmp_eq_u32_e64 s[2:3], 0, v0
	s_brev_b32 s45, 8
	v_mov_b32_e32 v32, 0x260
	s_movk_i32 s72, 0x1f8
	v_mov_b32_e32 v9, 0
	v_mov_b32_e32 v33, 0xffffff80
	s_branch .LBB46_3
.LBB46_2:                               ;   in Loop: Header=BB46_3 Depth=1
	s_or_b64 exec, exec, s[4:5]
	s_add_i32 s33, s33, 1
	s_cmp_eq_u32 s33, s34
	s_cbranch_scc1 .LBB46_72
.LBB46_3:                               ; =>This Loop Header: Depth=1
                                        ;     Child Loop BB46_5 Depth 2
                                        ;       Child Loop BB46_9 Depth 3
                                        ;         Child Loop BB46_13 Depth 4
                                        ;         Child Loop BB46_43 Depth 4
	;; [unrolled: 1-line block ×3, first 2 shown]
                                        ;     Child Loop BB46_63 Depth 2
                                        ;       Child Loop BB46_66 Depth 3
                                        ;       Child Loop BB46_69 Depth 3
	s_mov_b32 s73, 0
	s_branch .LBB46_5
.LBB46_4:                               ;   in Loop: Header=BB46_5 Depth=2
	s_or_b64 exec, exec, s[46:47]
	s_add_i32 s73, s73, 1
	s_cmp_eq_u32 s73, 16
	s_cbranch_scc1 .LBB46_60
.LBB46_5:                               ;   Parent Loop BB46_3 Depth=1
                                        ; =>  This Loop Header: Depth=2
                                        ;       Child Loop BB46_9 Depth 3
                                        ;         Child Loop BB46_13 Depth 4
                                        ;         Child Loop BB46_43 Depth 4
                                        ;         Child Loop BB46_53 Depth 4
	v_lshl_add_u32 v10, s73, 6, v28
	v_cmp_gt_i32_e32 vcc, s35, v10
	s_and_saveexec_b64 s[46:47], vcc
	s_cbranch_execz .LBB46_4
; %bb.6:                                ;   in Loop: Header=BB46_5 Depth=2
	v_ashrrev_i32_e32 v11, 31, v10
	v_lshlrev_b64 v[0:1], 2, v[10:11]
	v_mov_b32_e32 v3, s25
	v_add_co_u32_e32 v2, vcc, s24, v0
	v_addc_co_u32_e32 v3, vcc, v3, v1, vcc
	global_load_dword v4, v[2:3], off
	v_mov_b32_e32 v3, s27
	v_add_co_u32_e32 v2, vcc, s26, v0
	v_addc_co_u32_e32 v3, vcc, v3, v1, vcc
	global_load_dword v2, v[2:3], off
	s_waitcnt vmcnt(1)
	v_add_u32_e32 v12, v29, v4
	s_waitcnt vmcnt(0)
	v_subrev_u32_e32 v11, s68, v2
	v_cmp_lt_i32_e32 vcc, v12, v11
	s_and_b64 exec, exec, vcc
	s_cbranch_execz .LBB46_4
; %bb.7:                                ;   in Loop: Header=BB46_5 Depth=2
	v_mov_b32_e32 v3, s19
	v_add_co_u32_e32 v2, vcc, s18, v0
	v_addc_co_u32_e32 v3, vcc, v3, v1, vcc
	v_mov_b32_e32 v4, s17
	v_add_co_u32_e32 v0, vcc, s16, v0
	v_addc_co_u32_e32 v1, vcc, v4, v1, vcc
	global_load_dword v0, v[0:1], off
	s_nop 0
	global_load_dword v1, v[2:3], off
	v_mov_b32_e32 v4, s21
	v_mov_b32_e32 v5, s23
	s_mov_b64 s[48:49], 0
	s_waitcnt vmcnt(1)
	v_subrev_u32_e32 v14, s69, v0
	v_ashrrev_i32_e32 v15, 31, v14
	s_waitcnt vmcnt(0)
	v_sub_u32_e32 v34, v1, v0
	v_lshlrev_b64 v[0:1], 2, v[14:15]
	v_lshlrev_b64 v[2:3], 4, v[14:15]
	v_add_co_u32_e32 v15, vcc, s20, v0
	v_addc_co_u32_e32 v35, vcc, v4, v1, vcc
	v_add_co_u32_e32 v36, vcc, s22, v2
	v_cmp_lt_i32_e64 s[4:5], 0, v34
	v_addc_co_u32_e32 v37, vcc, v5, v3, vcc
	s_branch .LBB46_9
.LBB46_8:                               ;   in Loop: Header=BB46_9 Depth=3
	s_or_b64 exec, exec, s[50:51]
	v_add_u32_e32 v12, 16, v12
	v_cmp_ge_i32_e32 vcc, v12, v11
	s_or_b64 s[48:49], vcc, s[48:49]
	s_andn2_b64 exec, exec, s[48:49]
	s_cbranch_execz .LBB46_4
.LBB46_9:                               ;   Parent Loop BB46_3 Depth=1
                                        ;     Parent Loop BB46_5 Depth=2
                                        ; =>    This Loop Header: Depth=3
                                        ;         Child Loop BB46_13 Depth 4
                                        ;         Child Loop BB46_43 Depth 4
	;; [unrolled: 1-line block ×3, first 2 shown]
	v_ashrrev_i32_e32 v13, 31, v12
	v_lshlrev_b64 v[0:1], 2, v[12:13]
	v_mov_b32_e32 v2, s29
	v_add_co_u32_e32 v0, vcc, s28, v0
	v_addc_co_u32_e32 v1, vcc, v2, v1, vcc
	global_load_dword v0, v[0:1], off
	v_mov_b32_e32 v3, s9
	v_mov_b32_e32 v4, s11
	;; [unrolled: 1-line block ×4, first 2 shown]
	s_waitcnt vmcnt(0)
	v_subrev_u32_e32 v16, s68, v0
	v_ashrrev_i32_e32 v17, 31, v16
	v_lshlrev_b64 v[0:1], 2, v[16:17]
	v_add_co_u32_e32 v2, vcc, s8, v0
	v_addc_co_u32_e32 v3, vcc, v3, v1, vcc
	v_add_co_u32_e32 v0, vcc, s10, v0
	v_addc_co_u32_e32 v1, vcc, v4, v1, vcc
	global_load_dword v4, v[2:3], off
	global_load_dword v5, v[0:1], off
	v_pk_mov_b32 v[0:1], 0, 0
	v_pk_mov_b32 v[2:3], v[0:1], v[0:1] op_sel:[0,1]
	s_waitcnt vmcnt(1)
	v_subrev_u32_e32 v18, s70, v4
	s_waitcnt vmcnt(0)
	v_sub_u32_e32 v38, v5, v4
	s_and_saveexec_b64 s[6:7], s[4:5]
	s_cbranch_execz .LBB46_17
; %bb.10:                               ;   in Loop: Header=BB46_9 Depth=3
	v_ashrrev_i32_e32 v19, 31, v18
	v_lshlrev_b64 v[0:1], 2, v[18:19]
	v_mov_b32_e32 v2, s13
	v_add_co_u32_e32 v4, vcc, s12, v0
	v_addc_co_u32_e32 v5, vcc, v2, v1, vcc
	v_lshlrev_b64 v[0:1], 4, v[18:19]
	v_mov_b32_e32 v2, s15
	v_add_co_u32_e32 v6, vcc, s14, v0
	v_addc_co_u32_e32 v7, vcc, v2, v1, vcc
	v_mov_b32_e32 v20, 0
	v_pk_mov_b32 v[0:1], 0, 0
	s_mov_b64 s[50:51], 0
	v_mov_b32_e32 v8, v20
	v_pk_mov_b32 v[2:3], v[0:1], v[0:1] op_sel:[0,1]
                                        ; implicit-def: $sgpr52_sgpr53
	s_branch .LBB46_13
.LBB46_11:                              ;   in Loop: Header=BB46_13 Depth=4
	s_or_b64 exec, exec, s[56:57]
	v_cmp_le_i32_e32 vcc, v19, v22
	v_addc_co_u32_e32 v8, vcc, 0, v8, vcc
	v_cmp_ge_i32_e32 vcc, v19, v22
	v_addc_co_u32_e32 v20, vcc, 0, v20, vcc
	v_cmp_ge_i32_e32 vcc, v8, v34
	s_andn2_b64 s[52:53], s[52:53], exec
	s_and_b64 s[56:57], vcc, exec
	s_or_b64 s[52:53], s[52:53], s[56:57]
.LBB46_12:                              ;   in Loop: Header=BB46_13 Depth=4
	s_or_b64 exec, exec, s[54:55]
	s_and_b64 s[54:55], exec, s[52:53]
	s_or_b64 s[50:51], s[54:55], s[50:51]
	s_andn2_b64 exec, exec, s[50:51]
	s_cbranch_execz .LBB46_16
.LBB46_13:                              ;   Parent Loop BB46_3 Depth=1
                                        ;     Parent Loop BB46_5 Depth=2
                                        ;       Parent Loop BB46_9 Depth=3
                                        ; =>      This Inner Loop Header: Depth=4
	v_cmp_lt_i32_e32 vcc, v20, v38
	s_or_b64 s[52:53], s[52:53], exec
	s_and_saveexec_b64 s[54:55], vcc
	s_cbranch_execz .LBB46_12
; %bb.14:                               ;   in Loop: Header=BB46_13 Depth=4
	v_lshlrev_b64 v[22:23], 2, v[8:9]
	v_add_co_u32_e32 v22, vcc, v15, v22
	v_addc_co_u32_e32 v23, vcc, v35, v23, vcc
	v_mov_b32_e32 v21, v9
	global_load_dword v19, v[22:23], off
	v_lshlrev_b64 v[22:23], 2, v[20:21]
	v_add_co_u32_e32 v22, vcc, v4, v22
	v_addc_co_u32_e32 v23, vcc, v5, v23, vcc
	global_load_dword v22, v[22:23], off
	s_waitcnt vmcnt(1)
	v_subrev_u32_e32 v19, s69, v19
	s_waitcnt vmcnt(0)
	v_subrev_u32_e32 v22, s70, v22
	v_cmp_eq_u32_e32 vcc, v19, v22
	s_and_saveexec_b64 s[56:57], vcc
	s_cbranch_execz .LBB46_11
; %bb.15:                               ;   in Loop: Header=BB46_13 Depth=4
	v_lshlrev_b64 v[24:25], 4, v[8:9]
	v_add_co_u32_e32 v24, vcc, v36, v24
	v_addc_co_u32_e32 v25, vcc, v37, v25, vcc
	v_lshlrev_b64 v[40:41], 4, v[20:21]
	v_add_co_u32_e32 v40, vcc, v6, v40
	v_addc_co_u32_e32 v41, vcc, v7, v41, vcc
	global_load_dwordx4 v[24:27], v[24:25], off
	s_nop 0
	global_load_dwordx4 v[40:43], v[40:41], off
	s_waitcnt vmcnt(0)
	v_fmac_f64_e32 v[0:1], v[24:25], v[40:41]
	v_fmac_f64_e32 v[2:3], v[26:27], v[40:41]
	v_fma_f64 v[0:1], -v[26:27], v[42:43], v[0:1]
	v_fmac_f64_e32 v[2:3], v[24:25], v[42:43]
	s_branch .LBB46_11
.LBB46_16:                              ;   in Loop: Header=BB46_9 Depth=3
	s_or_b64 exec, exec, s[50:51]
.LBB46_17:                              ;   in Loop: Header=BB46_9 Depth=3
	s_or_b64 exec, exec, s[6:7]
	v_lshlrev_b64 v[4:5], 4, v[12:13]
	v_mov_b32_e32 v6, s31
	v_add_co_u32_e32 v4, vcc, s30, v4
	v_addc_co_u32_e32 v5, vcc, v6, v5, vcc
	global_load_dwordx4 v[4:7], v[4:5], off
	v_cmp_le_i32_e64 s[6:7], v10, v16
	v_cmp_gt_i32_e32 vcc, v10, v16
	s_waitcnt vmcnt(0)
	v_add_f64 v[0:1], v[4:5], -v[0:1]
	v_add_f64 v[2:3], v[6:7], -v[2:3]
	s_and_saveexec_b64 s[50:51], vcc
	s_cbranch_execz .LBB46_27
; %bb.18:                               ;   in Loop: Header=BB46_9 Depth=3
	v_lshlrev_b64 v[4:5], 4, v[16:17]
	v_mov_b32_e32 v6, s37
	v_add_co_u32_e32 v4, vcc, s36, v4
	v_addc_co_u32_e32 v5, vcc, v6, v5, vcc
	global_load_dwordx4 v[4:7], v[4:5], off
                                        ; implicit-def: $vgpr26_vgpr27
	s_waitcnt vmcnt(0)
	v_xor_b32_e32 v13, 0x80000000, v5
	v_cmp_gt_f64_e32 vcc, 0, v[4:5]
	v_xor_b32_e32 v19, 0x80000000, v7
	v_cndmask_b32_e32 v23, v5, v13, vcc
	v_cmp_gt_f64_e32 vcc, 0, v[6:7]
	v_mov_b32_e32 v22, v4
	v_cndmask_b32_e32 v25, v7, v19, vcc
	v_mov_b32_e32 v24, v6
	v_cmp_ngt_f64_e32 vcc, v[22:23], v[24:25]
	s_and_saveexec_b64 s[52:53], vcc
	s_xor_b64 s[52:53], exec, s[52:53]
	s_cbranch_execz .LBB46_22
; %bb.19:                               ;   in Loop: Header=BB46_9 Depth=3
	v_cmp_neq_f64_e32 vcc, 0, v[6:7]
	v_pk_mov_b32 v[26:27], 0, 0
	s_and_saveexec_b64 s[54:55], vcc
	s_cbranch_execz .LBB46_21
; %bb.20:                               ;   in Loop: Header=BB46_9 Depth=3
	v_div_scale_f64 v[26:27], s[56:57], v[24:25], v[24:25], v[22:23]
	v_rcp_f64_e32 v[40:41], v[26:27]
	v_div_scale_f64 v[42:43], vcc, v[22:23], v[24:25], v[22:23]
	v_fma_f64 v[44:45], -v[26:27], v[40:41], 1.0
	v_fmac_f64_e32 v[40:41], v[40:41], v[44:45]
	v_fma_f64 v[44:45], -v[26:27], v[40:41], 1.0
	v_fmac_f64_e32 v[40:41], v[40:41], v[44:45]
	v_mul_f64 v[44:45], v[42:43], v[40:41]
	v_fma_f64 v[26:27], -v[26:27], v[44:45], v[42:43]
	v_div_fmas_f64 v[26:27], v[26:27], v[40:41], v[44:45]
	v_div_fixup_f64 v[22:23], v[26:27], v[24:25], v[22:23]
	v_fma_f64 v[22:23], v[22:23], v[22:23], 1.0
	v_cmp_gt_f64_e32 vcc, s[44:45], v[22:23]
	v_cndmask_b32_e64 v13, 0, 1, vcc
	v_lshlrev_b32_e32 v13, 8, v13
	v_ldexp_f64 v[22:23], v[22:23], v13
	v_rsq_f64_e32 v[26:27], v[22:23]
	v_cndmask_b32_e32 v13, 0, v33, vcc
	v_cmp_class_f64_e32 vcc, v[22:23], v32
	v_mul_f64 v[40:41], v[22:23], v[26:27]
	v_mul_f64 v[26:27], v[26:27], 0.5
	v_fma_f64 v[42:43], -v[26:27], v[40:41], 0.5
	v_fmac_f64_e32 v[40:41], v[40:41], v[42:43]
	v_fma_f64 v[44:45], -v[40:41], v[40:41], v[22:23]
	v_fmac_f64_e32 v[26:27], v[26:27], v[42:43]
	v_fmac_f64_e32 v[40:41], v[44:45], v[26:27]
	v_fma_f64 v[42:43], -v[40:41], v[40:41], v[22:23]
	v_fmac_f64_e32 v[40:41], v[42:43], v[26:27]
	v_ldexp_f64 v[26:27], v[40:41], v13
	v_cndmask_b32_e32 v23, v27, v23, vcc
	v_cndmask_b32_e32 v22, v26, v22, vcc
	v_mul_f64 v[26:27], v[24:25], v[22:23]
.LBB46_21:                              ;   in Loop: Header=BB46_9 Depth=3
	s_or_b64 exec, exec, s[54:55]
                                        ; implicit-def: $vgpr22_vgpr23
                                        ; implicit-def: $vgpr24_vgpr25
.LBB46_22:                              ;   in Loop: Header=BB46_9 Depth=3
	s_andn2_saveexec_b64 s[52:53], s[52:53]
	s_cbranch_execz .LBB46_24
; %bb.23:                               ;   in Loop: Header=BB46_9 Depth=3
	v_div_scale_f64 v[26:27], s[54:55], v[22:23], v[22:23], v[24:25]
	v_rcp_f64_e32 v[40:41], v[26:27]
	v_div_scale_f64 v[42:43], vcc, v[24:25], v[22:23], v[24:25]
	v_fma_f64 v[44:45], -v[26:27], v[40:41], 1.0
	v_fmac_f64_e32 v[40:41], v[40:41], v[44:45]
	v_fma_f64 v[44:45], -v[26:27], v[40:41], 1.0
	v_fmac_f64_e32 v[40:41], v[40:41], v[44:45]
	v_mul_f64 v[44:45], v[42:43], v[40:41]
	v_fma_f64 v[26:27], -v[26:27], v[44:45], v[42:43]
	v_div_fmas_f64 v[26:27], v[26:27], v[40:41], v[44:45]
	v_div_fixup_f64 v[24:25], v[26:27], v[22:23], v[24:25]
	v_fma_f64 v[24:25], v[24:25], v[24:25], 1.0
	v_cmp_gt_f64_e32 vcc, s[44:45], v[24:25]
	v_cndmask_b32_e64 v13, 0, 1, vcc
	v_lshlrev_b32_e32 v13, 8, v13
	v_ldexp_f64 v[24:25], v[24:25], v13
	v_rsq_f64_e32 v[26:27], v[24:25]
	v_cndmask_b32_e32 v13, 0, v33, vcc
	v_cmp_class_f64_e32 vcc, v[24:25], v32
	v_mul_f64 v[40:41], v[24:25], v[26:27]
	v_mul_f64 v[26:27], v[26:27], 0.5
	v_fma_f64 v[42:43], -v[26:27], v[40:41], 0.5
	v_fmac_f64_e32 v[40:41], v[40:41], v[42:43]
	v_fma_f64 v[44:45], -v[40:41], v[40:41], v[24:25]
	v_fmac_f64_e32 v[26:27], v[26:27], v[42:43]
	v_fmac_f64_e32 v[40:41], v[44:45], v[26:27]
	v_fma_f64 v[42:43], -v[40:41], v[40:41], v[24:25]
	v_fmac_f64_e32 v[40:41], v[42:43], v[26:27]
	v_ldexp_f64 v[26:27], v[40:41], v13
	v_cndmask_b32_e32 v25, v27, v25, vcc
	v_cndmask_b32_e32 v24, v26, v24, vcc
	v_mul_f64 v[26:27], v[22:23], v[24:25]
.LBB46_24:                              ;   in Loop: Header=BB46_9 Depth=3
	s_or_b64 exec, exec, s[52:53]
	v_pk_mov_b32 v[22:23], 0, 0
	v_cmp_lt_f64_e32 vcc, 0, v[26:27]
	v_pk_mov_b32 v[24:25], v[22:23], v[22:23] op_sel:[0,1]
	s_and_saveexec_b64 s[52:53], vcc
	s_cbranch_execz .LBB46_26
; %bb.25:                               ;   in Loop: Header=BB46_9 Depth=3
	v_mul_f64 v[22:23], v[6:7], v[6:7]
	v_fmac_f64_e32 v[22:23], v[4:5], v[4:5]
	v_div_scale_f64 v[24:25], s[54:55], v[22:23], v[22:23], 1.0
	v_rcp_f64_e32 v[26:27], v[24:25]
	v_div_scale_f64 v[40:41], vcc, 1.0, v[22:23], 1.0
	v_fma_f64 v[42:43], -v[24:25], v[26:27], 1.0
	v_fmac_f64_e32 v[26:27], v[26:27], v[42:43]
	v_fma_f64 v[42:43], -v[24:25], v[26:27], 1.0
	v_fmac_f64_e32 v[26:27], v[26:27], v[42:43]
	v_mul_f64 v[42:43], v[40:41], v[26:27]
	v_fma_f64 v[24:25], -v[24:25], v[42:43], v[40:41]
	v_div_fmas_f64 v[24:25], v[24:25], v[26:27], v[42:43]
	v_div_fixup_f64 v[24:25], v[24:25], v[22:23], 1.0
	v_mul_f64 v[22:23], v[2:3], v[6:7]
	v_fmac_f64_e32 v[22:23], v[0:1], v[4:5]
	v_mul_f64 v[0:1], v[6:7], -v[0:1]
	v_fmac_f64_e32 v[0:1], v[2:3], v[4:5]
	v_mul_f64 v[22:23], v[22:23], v[24:25]
	v_mul_f64 v[24:25], v[0:1], v[24:25]
.LBB46_26:                              ;   in Loop: Header=BB46_9 Depth=3
	s_or_b64 exec, exec, s[52:53]
	v_pk_mov_b32 v[0:1], v[22:23], v[22:23] op_sel:[0,1]
	v_pk_mov_b32 v[2:3], v[24:25], v[24:25] op_sel:[0,1]
.LBB46_27:                              ;   in Loop: Header=BB46_9 Depth=3
	s_or_b64 exec, exec, s[50:51]
	v_xor_b32_e32 v4, 0x80000000, v1
	v_cmp_gt_f64_e32 vcc, 0, v[0:1]
	v_cndmask_b32_e32 v5, v1, v4, vcc
	v_cndmask_b32_e32 v4, v0, v0, vcc
	v_xor_b32_e32 v6, 0x80000000, v3
	v_cmp_gt_f64_e32 vcc, 0, v[2:3]
	v_cndmask_b32_e32 v7, v3, v6, vcc
	v_cndmask_b32_e32 v6, v2, v2, vcc
	v_cmp_ngt_f64_e32 vcc, v[4:5], v[6:7]
                                        ; implicit-def: $vgpr22_vgpr23
	s_and_saveexec_b64 s[50:51], vcc
	s_xor_b64 s[50:51], exec, s[50:51]
	s_cbranch_execnz .LBB46_30
; %bb.28:                               ;   in Loop: Header=BB46_9 Depth=3
	s_andn2_saveexec_b64 s[50:51], s[50:51]
	s_cbranch_execnz .LBB46_33
.LBB46_29:                              ;   in Loop: Header=BB46_9 Depth=3
	s_or_b64 exec, exec, s[50:51]
	v_cmp_class_f64_e64 s[52:53], v[22:23], s72
	s_and_saveexec_b64 s[50:51], s[52:53]
	s_cbranch_execz .LBB46_8
	s_branch .LBB46_34
.LBB46_30:                              ;   in Loop: Header=BB46_9 Depth=3
	v_cmp_neq_f64_e32 vcc, 0, v[2:3]
	v_pk_mov_b32 v[22:23], 0, 0
	s_and_saveexec_b64 s[52:53], vcc
	s_cbranch_execz .LBB46_32
; %bb.31:                               ;   in Loop: Header=BB46_9 Depth=3
	v_div_scale_f64 v[22:23], s[54:55], v[6:7], v[6:7], v[4:5]
	v_rcp_f64_e32 v[24:25], v[22:23]
	v_div_scale_f64 v[26:27], vcc, v[4:5], v[6:7], v[4:5]
	v_fma_f64 v[40:41], -v[22:23], v[24:25], 1.0
	v_fmac_f64_e32 v[24:25], v[24:25], v[40:41]
	v_fma_f64 v[40:41], -v[22:23], v[24:25], 1.0
	v_fmac_f64_e32 v[24:25], v[24:25], v[40:41]
	v_mul_f64 v[40:41], v[26:27], v[24:25]
	v_fma_f64 v[22:23], -v[22:23], v[40:41], v[26:27]
	v_div_fmas_f64 v[22:23], v[22:23], v[24:25], v[40:41]
	v_div_fixup_f64 v[4:5], v[22:23], v[6:7], v[4:5]
	v_fma_f64 v[4:5], v[4:5], v[4:5], 1.0
	v_cmp_gt_f64_e32 vcc, s[44:45], v[4:5]
	v_cndmask_b32_e64 v13, 0, 1, vcc
	v_lshlrev_b32_e32 v13, 8, v13
	v_ldexp_f64 v[4:5], v[4:5], v13
	v_rsq_f64_e32 v[22:23], v[4:5]
	v_cndmask_b32_e32 v13, 0, v33, vcc
	v_cmp_class_f64_e32 vcc, v[4:5], v32
	v_mul_f64 v[24:25], v[4:5], v[22:23]
	v_mul_f64 v[22:23], v[22:23], 0.5
	v_fma_f64 v[26:27], -v[22:23], v[24:25], 0.5
	v_fmac_f64_e32 v[24:25], v[24:25], v[26:27]
	v_fma_f64 v[40:41], -v[24:25], v[24:25], v[4:5]
	v_fmac_f64_e32 v[22:23], v[22:23], v[26:27]
	v_fmac_f64_e32 v[24:25], v[40:41], v[22:23]
	v_fma_f64 v[26:27], -v[24:25], v[24:25], v[4:5]
	v_fmac_f64_e32 v[24:25], v[26:27], v[22:23]
	v_ldexp_f64 v[22:23], v[24:25], v13
	v_cndmask_b32_e32 v5, v23, v5, vcc
	v_cndmask_b32_e32 v4, v22, v4, vcc
	v_mul_f64 v[22:23], v[6:7], v[4:5]
.LBB46_32:                              ;   in Loop: Header=BB46_9 Depth=3
	s_or_b64 exec, exec, s[52:53]
                                        ; implicit-def: $vgpr4_vgpr5
                                        ; implicit-def: $vgpr6_vgpr7
	s_andn2_saveexec_b64 s[50:51], s[50:51]
	s_cbranch_execz .LBB46_29
.LBB46_33:                              ;   in Loop: Header=BB46_9 Depth=3
	v_div_scale_f64 v[22:23], s[52:53], v[4:5], v[4:5], v[6:7]
	v_rcp_f64_e32 v[24:25], v[22:23]
	v_div_scale_f64 v[26:27], vcc, v[6:7], v[4:5], v[6:7]
	v_fma_f64 v[40:41], -v[22:23], v[24:25], 1.0
	v_fmac_f64_e32 v[24:25], v[24:25], v[40:41]
	v_fma_f64 v[40:41], -v[22:23], v[24:25], 1.0
	v_fmac_f64_e32 v[24:25], v[24:25], v[40:41]
	v_mul_f64 v[40:41], v[26:27], v[24:25]
	v_fma_f64 v[22:23], -v[22:23], v[40:41], v[26:27]
	v_div_fmas_f64 v[22:23], v[22:23], v[24:25], v[40:41]
	v_div_fixup_f64 v[6:7], v[22:23], v[4:5], v[6:7]
	v_fma_f64 v[6:7], v[6:7], v[6:7], 1.0
	v_cmp_gt_f64_e32 vcc, s[44:45], v[6:7]
	v_cndmask_b32_e64 v13, 0, 1, vcc
	v_lshlrev_b32_e32 v13, 8, v13
	v_ldexp_f64 v[6:7], v[6:7], v13
	v_rsq_f64_e32 v[22:23], v[6:7]
	v_cndmask_b32_e32 v13, 0, v33, vcc
	v_cmp_class_f64_e32 vcc, v[6:7], v32
	v_mul_f64 v[24:25], v[6:7], v[22:23]
	v_mul_f64 v[22:23], v[22:23], 0.5
	v_fma_f64 v[26:27], -v[22:23], v[24:25], 0.5
	v_fmac_f64_e32 v[24:25], v[24:25], v[26:27]
	v_fma_f64 v[40:41], -v[24:25], v[24:25], v[6:7]
	v_fmac_f64_e32 v[22:23], v[22:23], v[26:27]
	v_fmac_f64_e32 v[24:25], v[40:41], v[22:23]
	v_fma_f64 v[26:27], -v[24:25], v[24:25], v[6:7]
	v_fmac_f64_e32 v[24:25], v[26:27], v[22:23]
	v_ldexp_f64 v[22:23], v[24:25], v13
	v_cndmask_b32_e32 v7, v23, v7, vcc
	v_cndmask_b32_e32 v6, v22, v6, vcc
	v_mul_f64 v[22:23], v[4:5], v[6:7]
	s_or_b64 exec, exec, s[50:51]
	v_cmp_class_f64_e64 s[52:53], v[22:23], s72
	s_and_saveexec_b64 s[50:51], s[52:53]
	s_cbranch_execz .LBB46_8
.LBB46_34:                              ;   in Loop: Header=BB46_9 Depth=3
	s_mov_b64 s[52:53], 0
                                        ; implicit-def: $vgpr4_vgpr5
	s_and_saveexec_b64 s[54:55], s[6:7]
	s_xor_b64 s[6:7], exec, s[54:55]
	s_cbranch_execnz .LBB46_37
; %bb.35:                               ;   in Loop: Header=BB46_9 Depth=3
	s_andn2_saveexec_b64 s[6:7], s[6:7]
	s_cbranch_execnz .LBB46_50
.LBB46_36:                              ;   in Loop: Header=BB46_9 Depth=3
	s_or_b64 exec, exec, s[6:7]
	s_and_b64 exec, exec, s[52:53]
	s_cbranch_execz .LBB46_8
	s_branch .LBB46_59
.LBB46_37:                              ;   in Loop: Header=BB46_9 Depth=3
	v_cmp_ge_i32_e32 vcc, v10, v16
                                        ; implicit-def: $vgpr4_vgpr5
	s_and_saveexec_b64 s[54:55], vcc
	s_xor_b64 s[54:55], exec, s[54:55]
; %bb.38:                               ;   in Loop: Header=BB46_9 Depth=3
	v_lshlrev_b64 v[4:5], 4, v[16:17]
	v_mov_b32_e32 v6, s39
	v_add_co_u32_e32 v4, vcc, s38, v4
	s_mov_b64 s[52:53], exec
	v_addc_co_u32_e32 v5, vcc, v6, v5, vcc
                                        ; implicit-def: $vgpr20
                                        ; implicit-def: $vgpr38
                                        ; implicit-def: $vgpr18
; %bb.39:                               ;   in Loop: Header=BB46_9 Depth=3
	s_andn2_saveexec_b64 s[54:55], s[54:55]
	s_cbranch_execz .LBB46_49
; %bb.40:                               ;   in Loop: Header=BB46_9 Depth=3
	v_cmp_lt_i32_e32 vcc, v20, v38
	s_mov_b64 s[58:59], s[52:53]
                                        ; implicit-def: $vgpr4_vgpr5
	s_and_saveexec_b64 s[56:57], vcc
	s_cbranch_execz .LBB46_48
; %bb.41:                               ;   in Loop: Header=BB46_9 Depth=3
	s_mov_b64 s[60:61], 0
                                        ; implicit-def: $sgpr58_sgpr59
                                        ; implicit-def: $sgpr64_sgpr65
                                        ; implicit-def: $sgpr62_sgpr63
	s_branch .LBB46_43
.LBB46_42:                              ;   in Loop: Header=BB46_43 Depth=4
	s_or_b64 exec, exec, s[66:67]
	s_and_b64 s[66:67], exec, s[64:65]
	s_or_b64 s[60:61], s[66:67], s[60:61]
	s_andn2_b64 s[58:59], s[58:59], exec
	s_and_b64 s[66:67], s[62:63], exec
	s_or_b64 s[58:59], s[58:59], s[66:67]
	s_andn2_b64 exec, exec, s[60:61]
	s_cbranch_execz .LBB46_45
.LBB46_43:                              ;   Parent Loop BB46_3 Depth=1
                                        ;     Parent Loop BB46_5 Depth=2
                                        ;       Parent Loop BB46_9 Depth=3
                                        ; =>      This Inner Loop Header: Depth=4
	v_add_u32_e32 v6, v18, v20
	v_ashrrev_i32_e32 v7, 31, v6
	v_lshlrev_b64 v[4:5], 2, v[6:7]
	v_mov_b32_e32 v8, s13
	v_add_co_u32_e32 v4, vcc, s12, v4
	v_addc_co_u32_e32 v5, vcc, v8, v5, vcc
	global_load_dword v4, v[4:5], off
	s_or_b64 s[62:63], s[62:63], exec
	s_or_b64 s[64:65], s[64:65], exec
	s_waitcnt vmcnt(0)
	v_subrev_u32_e32 v4, s70, v4
	v_cmp_ne_u32_e32 vcc, v4, v10
	s_and_saveexec_b64 s[66:67], vcc
	s_cbranch_execz .LBB46_42
; %bb.44:                               ;   in Loop: Header=BB46_43 Depth=4
	v_add_u32_e32 v20, 1, v20
	v_cmp_ge_i32_e32 vcc, v20, v38
	s_andn2_b64 s[64:65], s[64:65], exec
	s_and_b64 s[74:75], vcc, exec
	s_andn2_b64 s[62:63], s[62:63], exec
	s_or_b64 s[64:65], s[64:65], s[74:75]
	s_branch .LBB46_42
.LBB46_45:                              ;   in Loop: Header=BB46_9 Depth=3
	s_or_b64 exec, exec, s[60:61]
	s_mov_b64 s[60:61], s[52:53]
                                        ; implicit-def: $vgpr4_vgpr5
	s_and_saveexec_b64 s[62:63], s[58:59]
	s_xor_b64 s[58:59], exec, s[62:63]
; %bb.46:                               ;   in Loop: Header=BB46_9 Depth=3
	v_lshlrev_b64 v[4:5], 4, v[6:7]
	v_mov_b32_e32 v6, s43
	v_add_co_u32_e32 v4, vcc, s42, v4
	v_addc_co_u32_e32 v5, vcc, v6, v5, vcc
	s_or_b64 s[60:61], s[52:53], exec
; %bb.47:                               ;   in Loop: Header=BB46_9 Depth=3
	s_or_b64 exec, exec, s[58:59]
	s_andn2_b64 s[58:59], s[52:53], exec
	s_and_b64 s[60:61], s[60:61], exec
	s_or_b64 s[58:59], s[58:59], s[60:61]
.LBB46_48:                              ;   in Loop: Header=BB46_9 Depth=3
	s_or_b64 exec, exec, s[56:57]
	s_andn2_b64 s[52:53], s[52:53], exec
	s_and_b64 s[56:57], s[58:59], exec
	s_or_b64 s[52:53], s[52:53], s[56:57]
.LBB46_49:                              ;   in Loop: Header=BB46_9 Depth=3
	s_or_b64 exec, exec, s[54:55]
	s_and_b64 s[52:53], s[52:53], exec
                                        ; implicit-def: $vgpr16_vgpr17
	s_andn2_saveexec_b64 s[6:7], s[6:7]
	s_cbranch_execz .LBB46_36
.LBB46_50:                              ;   in Loop: Header=BB46_9 Depth=3
	v_cmp_lt_i32_e32 vcc, v8, v34
	s_mov_b64 s[56:57], s[52:53]
                                        ; implicit-def: $vgpr4_vgpr5
	s_and_saveexec_b64 s[54:55], vcc
	s_cbranch_execz .LBB46_58
; %bb.51:                               ;   in Loop: Header=BB46_9 Depth=3
	s_mov_b64 s[58:59], 0
                                        ; implicit-def: $sgpr56_sgpr57
                                        ; implicit-def: $sgpr62_sgpr63
                                        ; implicit-def: $sgpr60_sgpr61
	s_branch .LBB46_53
.LBB46_52:                              ;   in Loop: Header=BB46_53 Depth=4
	s_or_b64 exec, exec, s[64:65]
	s_and_b64 s[64:65], exec, s[62:63]
	s_or_b64 s[58:59], s[64:65], s[58:59]
	s_andn2_b64 s[56:57], s[56:57], exec
	s_and_b64 s[64:65], s[60:61], exec
	s_or_b64 s[56:57], s[56:57], s[64:65]
	s_andn2_b64 exec, exec, s[58:59]
	s_cbranch_execz .LBB46_55
.LBB46_53:                              ;   Parent Loop BB46_3 Depth=1
                                        ;     Parent Loop BB46_5 Depth=2
                                        ;       Parent Loop BB46_9 Depth=3
                                        ; =>      This Inner Loop Header: Depth=4
	v_add_u32_e32 v6, v14, v8
	v_ashrrev_i32_e32 v7, 31, v6
	v_lshlrev_b64 v[4:5], 2, v[6:7]
	v_mov_b32_e32 v13, s21
	v_add_co_u32_e32 v4, vcc, s20, v4
	v_addc_co_u32_e32 v5, vcc, v13, v5, vcc
	global_load_dword v4, v[4:5], off
	s_or_b64 s[60:61], s[60:61], exec
	s_or_b64 s[62:63], s[62:63], exec
	s_waitcnt vmcnt(0)
	v_subrev_u32_e32 v4, s69, v4
	v_cmp_ne_u32_e32 vcc, v4, v16
	s_and_saveexec_b64 s[64:65], vcc
	s_cbranch_execz .LBB46_52
; %bb.54:                               ;   in Loop: Header=BB46_53 Depth=4
	v_add_u32_e32 v8, 1, v8
	v_cmp_ge_i32_e32 vcc, v8, v34
	s_andn2_b64 s[62:63], s[62:63], exec
	s_and_b64 s[66:67], vcc, exec
	s_andn2_b64 s[60:61], s[60:61], exec
	s_or_b64 s[62:63], s[62:63], s[66:67]
	s_branch .LBB46_52
.LBB46_55:                              ;   in Loop: Header=BB46_9 Depth=3
	s_or_b64 exec, exec, s[58:59]
	s_mov_b64 s[58:59], s[52:53]
                                        ; implicit-def: $vgpr4_vgpr5
	s_and_saveexec_b64 s[60:61], s[56:57]
	s_xor_b64 s[56:57], exec, s[60:61]
; %bb.56:                               ;   in Loop: Header=BB46_9 Depth=3
	v_lshlrev_b64 v[4:5], 4, v[6:7]
	v_mov_b32_e32 v6, s41
	v_add_co_u32_e32 v4, vcc, s40, v4
	v_addc_co_u32_e32 v5, vcc, v6, v5, vcc
	s_or_b64 s[58:59], s[52:53], exec
; %bb.57:                               ;   in Loop: Header=BB46_9 Depth=3
	s_or_b64 exec, exec, s[56:57]
	s_andn2_b64 s[56:57], s[52:53], exec
	s_and_b64 s[58:59], s[58:59], exec
	s_or_b64 s[56:57], s[56:57], s[58:59]
.LBB46_58:                              ;   in Loop: Header=BB46_9 Depth=3
	s_or_b64 exec, exec, s[54:55]
	s_andn2_b64 s[52:53], s[52:53], exec
	s_and_b64 s[54:55], s[56:57], exec
	s_or_b64 s[52:53], s[52:53], s[54:55]
	s_or_b64 exec, exec, s[6:7]
	s_and_b64 exec, exec, s[52:53]
	s_cbranch_execz .LBB46_8
.LBB46_59:                              ;   in Loop: Header=BB46_9 Depth=3
	global_store_dwordx4 v[4:5], v[0:3], off
	s_branch .LBB46_8
.LBB46_60:                              ;   in Loop: Header=BB46_3 Depth=1
	s_and_saveexec_b64 s[4:5], s[0:1]
	s_cbranch_execz .LBB46_2
; %bb.61:                               ;   in Loop: Header=BB46_3 Depth=1
	s_mov_b64 s[6:7], 0
	v_mov_b32_e32 v0, v28
	s_branch .LBB46_63
.LBB46_62:                              ;   in Loop: Header=BB46_63 Depth=2
	s_or_b64 exec, exec, s[46:47]
	v_add_u32_e32 v0, 64, v0
	v_cmp_le_u32_e32 vcc, s71, v0
	s_or_b64 s[6:7], vcc, s[6:7]
	s_andn2_b64 exec, exec, s[6:7]
	s_cbranch_execz .LBB46_2
.LBB46_63:                              ;   Parent Loop BB46_3 Depth=1
                                        ; =>  This Loop Header: Depth=2
                                        ;       Child Loop BB46_66 Depth 3
                                        ;       Child Loop BB46_69 Depth 3
	v_cmp_gt_i32_e32 vcc, s35, v0
	s_and_saveexec_b64 s[46:47], vcc
	s_cbranch_execz .LBB46_62
; %bb.64:                               ;   in Loop: Header=BB46_63 Depth=2
	v_ashrrev_i32_e32 v1, 31, v0
	v_lshlrev_b64 v[2:3], 2, v[0:1]
	v_mov_b32_e32 v5, s17
	v_add_co_u32_e32 v4, vcc, s16, v2
	v_addc_co_u32_e32 v5, vcc, v5, v3, vcc
	global_load_dword v6, v[4:5], off
	v_mov_b32_e32 v5, s19
	v_add_co_u32_e32 v4, vcc, s18, v2
	v_addc_co_u32_e32 v5, vcc, v5, v3, vcc
	global_load_dword v5, v[4:5], off
	s_waitcnt vmcnt(1)
	v_add_u32_e32 v4, v30, v6
	s_waitcnt vmcnt(0)
	v_subrev_u32_e32 v8, s69, v5
	v_cmp_lt_i32_e32 vcc, v4, v8
	s_and_saveexec_b64 s[48:49], vcc
	s_cbranch_execz .LBB46_67
; %bb.65:                               ;   in Loop: Header=BB46_63 Depth=2
	v_ashrrev_i32_e32 v5, 31, v4
	v_lshlrev_b64 v[10:11], 4, v[4:5]
	v_mov_b32_e32 v5, s23
	v_add_co_u32_e32 v6, vcc, s22, v10
	v_addc_co_u32_e32 v7, vcc, v5, v11, vcc
	v_mov_b32_e32 v5, s41
	v_add_co_u32_e32 v10, vcc, s40, v10
	v_addc_co_u32_e32 v11, vcc, v5, v11, vcc
	s_mov_b64 s[50:51], 0
.LBB46_66:                              ;   Parent Loop BB46_3 Depth=1
                                        ;     Parent Loop BB46_63 Depth=2
                                        ; =>    This Inner Loop Header: Depth=3
	global_load_dwordx4 v[12:15], v[10:11], off
	v_add_u32_e32 v4, 16, v4
	v_cmp_ge_i32_e32 vcc, v4, v8
	s_or_b64 s[50:51], vcc, s[50:51]
	s_waitcnt vmcnt(0)
	global_store_dwordx4 v[6:7], v[12:15], off
	v_add_co_u32_e32 v6, vcc, 0x100, v6
	v_addc_co_u32_e32 v7, vcc, 0, v7, vcc
	v_add_co_u32_e32 v10, vcc, 0x100, v10
	v_addc_co_u32_e32 v11, vcc, 0, v11, vcc
	s_andn2_b64 exec, exec, s[50:51]
	s_cbranch_execnz .LBB46_66
.LBB46_67:                              ;   in Loop: Header=BB46_63 Depth=2
	s_or_b64 exec, exec, s[48:49]
	v_mov_b32_e32 v5, s9
	v_add_co_u32_e32 v4, vcc, s8, v2
	v_addc_co_u32_e32 v5, vcc, v5, v3, vcc
	global_load_dword v4, v[4:5], off
	v_mov_b32_e32 v5, s11
	v_add_co_u32_e32 v2, vcc, s10, v2
	v_addc_co_u32_e32 v3, vcc, v5, v3, vcc
	global_load_dword v3, v[2:3], off
	s_waitcnt vmcnt(1)
	v_add_u32_e32 v2, v31, v4
	s_waitcnt vmcnt(0)
	v_subrev_u32_e32 v8, s70, v3
	v_cmp_lt_i32_e32 vcc, v2, v8
	s_and_saveexec_b64 s[48:49], vcc
	s_cbranch_execz .LBB46_70
; %bb.68:                               ;   in Loop: Header=BB46_63 Depth=2
	v_ashrrev_i32_e32 v3, 31, v2
	v_lshlrev_b64 v[6:7], 4, v[2:3]
	v_mov_b32_e32 v3, s15
	v_add_co_u32_e32 v4, vcc, s14, v6
	v_addc_co_u32_e32 v5, vcc, v3, v7, vcc
	v_mov_b32_e32 v3, s43
	v_add_co_u32_e32 v6, vcc, s42, v6
	v_addc_co_u32_e32 v7, vcc, v3, v7, vcc
	s_mov_b64 s[50:51], 0
.LBB46_69:                              ;   Parent Loop BB46_3 Depth=1
                                        ;     Parent Loop BB46_63 Depth=2
                                        ; =>    This Inner Loop Header: Depth=3
	global_load_dwordx4 v[10:13], v[6:7], off
	v_add_u32_e32 v2, 16, v2
	v_cmp_ge_i32_e32 vcc, v2, v8
	s_or_b64 s[50:51], vcc, s[50:51]
	s_waitcnt vmcnt(0)
	global_store_dwordx4 v[4:5], v[10:13], off
	v_add_co_u32_e32 v4, vcc, 0x100, v4
	v_addc_co_u32_e32 v5, vcc, 0, v5, vcc
	v_add_co_u32_e32 v6, vcc, 0x100, v6
	v_addc_co_u32_e32 v7, vcc, 0, v7, vcc
	s_andn2_b64 exec, exec, s[50:51]
	s_cbranch_execnz .LBB46_69
.LBB46_70:                              ;   in Loop: Header=BB46_63 Depth=2
	s_or_b64 exec, exec, s[48:49]
	s_and_b64 exec, exec, s[2:3]
	s_cbranch_execz .LBB46_62
; %bb.71:                               ;   in Loop: Header=BB46_63 Depth=2
	v_lshlrev_b64 v[6:7], 4, v[0:1]
	v_mov_b32_e32 v1, s39
	v_add_co_u32_e32 v2, vcc, s38, v6
	v_addc_co_u32_e32 v3, vcc, v1, v7, vcc
	global_load_dwordx4 v[2:5], v[2:3], off
	v_mov_b32_e32 v1, s37
	v_add_co_u32_e32 v6, vcc, s36, v6
	v_addc_co_u32_e32 v7, vcc, v1, v7, vcc
	s_waitcnt vmcnt(0)
	global_store_dwordx4 v[6:7], v[2:5], off
	s_branch .LBB46_62
.LBB46_72:
	s_endpgm
	.section	.rodata,"a",@progbits
	.p2align	6, 0x0
	.amdhsa_kernel _ZN9rocsparseL14kernel_freerunILi1024ELi16E21rocsparse_complex_numIdEiiEEvT3_S3_T2_PKS4_S6_PKS3_PKT1_21rocsparse_index_base_S6_S6_S8_PS9_SD_SC_S6_S6_S8_SD_SD_SC_SD_SD_
		.amdhsa_group_segment_fixed_size 0
		.amdhsa_private_segment_fixed_size 0
		.amdhsa_kernarg_size 168
		.amdhsa_user_sgpr_count 6
		.amdhsa_user_sgpr_private_segment_buffer 1
		.amdhsa_user_sgpr_dispatch_ptr 0
		.amdhsa_user_sgpr_queue_ptr 0
		.amdhsa_user_sgpr_kernarg_segment_ptr 1
		.amdhsa_user_sgpr_dispatch_id 0
		.amdhsa_user_sgpr_flat_scratch_init 0
		.amdhsa_user_sgpr_kernarg_preload_length 0
		.amdhsa_user_sgpr_kernarg_preload_offset 0
		.amdhsa_user_sgpr_private_segment_size 0
		.amdhsa_uses_dynamic_stack 0
		.amdhsa_system_sgpr_private_segment_wavefront_offset 0
		.amdhsa_system_sgpr_workgroup_id_x 1
		.amdhsa_system_sgpr_workgroup_id_y 0
		.amdhsa_system_sgpr_workgroup_id_z 0
		.amdhsa_system_sgpr_workgroup_info 0
		.amdhsa_system_vgpr_workitem_id 0
		.amdhsa_next_free_vgpr 46
		.amdhsa_next_free_sgpr 76
		.amdhsa_accum_offset 48
		.amdhsa_reserve_vcc 1
		.amdhsa_reserve_flat_scratch 0
		.amdhsa_float_round_mode_32 0
		.amdhsa_float_round_mode_16_64 0
		.amdhsa_float_denorm_mode_32 3
		.amdhsa_float_denorm_mode_16_64 3
		.amdhsa_dx10_clamp 1
		.amdhsa_ieee_mode 1
		.amdhsa_fp16_overflow 0
		.amdhsa_tg_split 0
		.amdhsa_exception_fp_ieee_invalid_op 0
		.amdhsa_exception_fp_denorm_src 0
		.amdhsa_exception_fp_ieee_div_zero 0
		.amdhsa_exception_fp_ieee_overflow 0
		.amdhsa_exception_fp_ieee_underflow 0
		.amdhsa_exception_fp_ieee_inexact 0
		.amdhsa_exception_int_div_zero 0
	.end_amdhsa_kernel
	.section	.text._ZN9rocsparseL14kernel_freerunILi1024ELi16E21rocsparse_complex_numIdEiiEEvT3_S3_T2_PKS4_S6_PKS3_PKT1_21rocsparse_index_base_S6_S6_S8_PS9_SD_SC_S6_S6_S8_SD_SD_SC_SD_SD_,"axG",@progbits,_ZN9rocsparseL14kernel_freerunILi1024ELi16E21rocsparse_complex_numIdEiiEEvT3_S3_T2_PKS4_S6_PKS3_PKT1_21rocsparse_index_base_S6_S6_S8_PS9_SD_SC_S6_S6_S8_SD_SD_SC_SD_SD_,comdat
.Lfunc_end46:
	.size	_ZN9rocsparseL14kernel_freerunILi1024ELi16E21rocsparse_complex_numIdEiiEEvT3_S3_T2_PKS4_S6_PKS3_PKT1_21rocsparse_index_base_S6_S6_S8_PS9_SD_SC_S6_S6_S8_SD_SD_SC_SD_SD_, .Lfunc_end46-_ZN9rocsparseL14kernel_freerunILi1024ELi16E21rocsparse_complex_numIdEiiEEvT3_S3_T2_PKS4_S6_PKS3_PKT1_21rocsparse_index_base_S6_S6_S8_PS9_SD_SC_S6_S6_S8_SD_SD_SC_SD_SD_
                                        ; -- End function
	.section	.AMDGPU.csdata,"",@progbits
; Kernel info:
; codeLenInByte = 3304
; NumSgprs: 80
; NumVgprs: 46
; NumAgprs: 0
; TotalNumVgprs: 46
; ScratchSize: 0
; MemoryBound: 1
; FloatMode: 240
; IeeeMode: 1
; LDSByteSize: 0 bytes/workgroup (compile time only)
; SGPRBlocks: 9
; VGPRBlocks: 5
; NumSGPRsForWavesPerEU: 80
; NumVGPRsForWavesPerEU: 46
; AccumOffset: 48
; Occupancy: 8
; WaveLimiterHint : 1
; COMPUTE_PGM_RSRC2:SCRATCH_EN: 0
; COMPUTE_PGM_RSRC2:USER_SGPR: 6
; COMPUTE_PGM_RSRC2:TRAP_HANDLER: 0
; COMPUTE_PGM_RSRC2:TGID_X_EN: 1
; COMPUTE_PGM_RSRC2:TGID_Y_EN: 0
; COMPUTE_PGM_RSRC2:TGID_Z_EN: 0
; COMPUTE_PGM_RSRC2:TIDIG_COMP_CNT: 0
; COMPUTE_PGM_RSRC3_GFX90A:ACCUM_OFFSET: 11
; COMPUTE_PGM_RSRC3_GFX90A:TG_SPLIT: 0
	.section	.text._ZN9rocsparseL14kernel_freerunILi1024ELi32E21rocsparse_complex_numIdEiiEEvT3_S3_T2_PKS4_S6_PKS3_PKT1_21rocsparse_index_base_S6_S6_S8_PS9_SD_SC_S6_S6_S8_SD_SD_SC_SD_SD_,"axG",@progbits,_ZN9rocsparseL14kernel_freerunILi1024ELi32E21rocsparse_complex_numIdEiiEEvT3_S3_T2_PKS4_S6_PKS3_PKT1_21rocsparse_index_base_S6_S6_S8_PS9_SD_SC_S6_S6_S8_SD_SD_SC_SD_SD_,comdat
	.globl	_ZN9rocsparseL14kernel_freerunILi1024ELi32E21rocsparse_complex_numIdEiiEEvT3_S3_T2_PKS4_S6_PKS3_PKT1_21rocsparse_index_base_S6_S6_S8_PS9_SD_SC_S6_S6_S8_SD_SD_SC_SD_SD_ ; -- Begin function _ZN9rocsparseL14kernel_freerunILi1024ELi32E21rocsparse_complex_numIdEiiEEvT3_S3_T2_PKS4_S6_PKS3_PKT1_21rocsparse_index_base_S6_S6_S8_PS9_SD_SC_S6_S6_S8_SD_SD_SC_SD_SD_
	.p2align	8
	.type	_ZN9rocsparseL14kernel_freerunILi1024ELi32E21rocsparse_complex_numIdEiiEEvT3_S3_T2_PKS4_S6_PKS3_PKT1_21rocsparse_index_base_S6_S6_S8_PS9_SD_SC_S6_S6_S8_SD_SD_SC_SD_SD_,@function
_ZN9rocsparseL14kernel_freerunILi1024ELi32E21rocsparse_complex_numIdEiiEEvT3_S3_T2_PKS4_S6_PKS3_PKT1_21rocsparse_index_base_S6_S6_S8_PS9_SD_SC_S6_S6_S8_SD_SD_SC_SD_SD_: ; @_ZN9rocsparseL14kernel_freerunILi1024ELi32E21rocsparse_complex_numIdEiiEEvT3_S3_T2_PKS4_S6_PKS3_PKT1_21rocsparse_index_base_S6_S6_S8_PS9_SD_SC_S6_S6_S8_SD_SD_SC_SD_SD_
; %bb.0:
	s_load_dwordx2 s[34:35], s[4:5], 0x0
	v_lshrrev_b32_e32 v1, 5, v0
	s_lshl_b32 s71, s6, 10
	v_or_b32_e32 v28, s71, v1
	s_mov_b32 s33, 0
	s_waitcnt lgkmcnt(0)
	s_cmp_gt_i32 s34, 0
	v_cmp_gt_i32_e32 vcc, s35, v28
	s_cselect_b64 s[0:1], -1, 0
	s_and_b64 s[0:1], vcc, s[0:1]
	s_and_saveexec_b64 s[2:3], s[0:1]
	s_cbranch_execz .LBB47_72
; %bb.1:
	s_load_dwordx4 s[36:39], s[4:5], 0x98
	s_load_dwordx8 s[8:15], s[4:5], 0x68
	s_load_dwordx8 s[16:23], s[4:5], 0x38
	s_load_dwordx8 s[24:31], s[4:5], 0x10
	s_load_dword s68, s[4:5], 0x30
	s_load_dwordx2 s[40:41], s[4:5], 0x58
	s_load_dword s69, s[4:5], 0x60
	s_load_dwordx2 s[42:43], s[4:5], 0x88
	s_load_dword s70, s[4:5], 0x90
	v_and_b32_e32 v0, 31, v0
	s_addk_i32 s71, 0x400
	s_mov_b32 s44, 0
	s_waitcnt lgkmcnt(0)
	v_subrev_u32_e32 v29, s68, v0
	v_cmp_gt_u32_e64 s[0:1], s71, v28
	v_subrev_u32_e32 v30, s69, v0
	v_subrev_u32_e32 v31, s70, v0
	v_cmp_eq_u32_e64 s[2:3], 0, v0
	s_brev_b32 s45, 8
	v_mov_b32_e32 v32, 0x260
	s_movk_i32 s72, 0x1f8
	v_mov_b32_e32 v9, 0
	v_mov_b32_e32 v33, 0xffffff80
	s_branch .LBB47_3
.LBB47_2:                               ;   in Loop: Header=BB47_3 Depth=1
	s_or_b64 exec, exec, s[4:5]
	s_add_i32 s33, s33, 1
	s_cmp_eq_u32 s33, s34
	s_cbranch_scc1 .LBB47_72
.LBB47_3:                               ; =>This Loop Header: Depth=1
                                        ;     Child Loop BB47_5 Depth 2
                                        ;       Child Loop BB47_9 Depth 3
                                        ;         Child Loop BB47_13 Depth 4
                                        ;         Child Loop BB47_43 Depth 4
	;; [unrolled: 1-line block ×3, first 2 shown]
                                        ;     Child Loop BB47_63 Depth 2
                                        ;       Child Loop BB47_66 Depth 3
                                        ;       Child Loop BB47_69 Depth 3
	s_mov_b32 s73, 0
	s_branch .LBB47_5
.LBB47_4:                               ;   in Loop: Header=BB47_5 Depth=2
	s_or_b64 exec, exec, s[46:47]
	s_add_i32 s73, s73, 1
	s_cmp_eq_u32 s73, 32
	s_cbranch_scc1 .LBB47_60
.LBB47_5:                               ;   Parent Loop BB47_3 Depth=1
                                        ; =>  This Loop Header: Depth=2
                                        ;       Child Loop BB47_9 Depth 3
                                        ;         Child Loop BB47_13 Depth 4
                                        ;         Child Loop BB47_43 Depth 4
	;; [unrolled: 1-line block ×3, first 2 shown]
	v_lshl_add_u32 v10, s73, 5, v28
	v_cmp_gt_i32_e32 vcc, s35, v10
	s_and_saveexec_b64 s[46:47], vcc
	s_cbranch_execz .LBB47_4
; %bb.6:                                ;   in Loop: Header=BB47_5 Depth=2
	v_ashrrev_i32_e32 v11, 31, v10
	v_lshlrev_b64 v[0:1], 2, v[10:11]
	v_mov_b32_e32 v3, s25
	v_add_co_u32_e32 v2, vcc, s24, v0
	v_addc_co_u32_e32 v3, vcc, v3, v1, vcc
	global_load_dword v4, v[2:3], off
	v_mov_b32_e32 v3, s27
	v_add_co_u32_e32 v2, vcc, s26, v0
	v_addc_co_u32_e32 v3, vcc, v3, v1, vcc
	global_load_dword v2, v[2:3], off
	s_waitcnt vmcnt(1)
	v_add_u32_e32 v12, v29, v4
	s_waitcnt vmcnt(0)
	v_subrev_u32_e32 v11, s68, v2
	v_cmp_lt_i32_e32 vcc, v12, v11
	s_and_b64 exec, exec, vcc
	s_cbranch_execz .LBB47_4
; %bb.7:                                ;   in Loop: Header=BB47_5 Depth=2
	v_mov_b32_e32 v3, s19
	v_add_co_u32_e32 v2, vcc, s18, v0
	v_addc_co_u32_e32 v3, vcc, v3, v1, vcc
	v_mov_b32_e32 v4, s17
	v_add_co_u32_e32 v0, vcc, s16, v0
	v_addc_co_u32_e32 v1, vcc, v4, v1, vcc
	global_load_dword v0, v[0:1], off
	s_nop 0
	global_load_dword v1, v[2:3], off
	v_mov_b32_e32 v4, s21
	v_mov_b32_e32 v5, s23
	s_mov_b64 s[48:49], 0
	s_waitcnt vmcnt(1)
	v_subrev_u32_e32 v14, s69, v0
	v_ashrrev_i32_e32 v15, 31, v14
	s_waitcnt vmcnt(0)
	v_sub_u32_e32 v34, v1, v0
	v_lshlrev_b64 v[0:1], 2, v[14:15]
	v_lshlrev_b64 v[2:3], 4, v[14:15]
	v_add_co_u32_e32 v15, vcc, s20, v0
	v_addc_co_u32_e32 v35, vcc, v4, v1, vcc
	v_add_co_u32_e32 v36, vcc, s22, v2
	v_cmp_lt_i32_e64 s[4:5], 0, v34
	v_addc_co_u32_e32 v37, vcc, v5, v3, vcc
	s_branch .LBB47_9
.LBB47_8:                               ;   in Loop: Header=BB47_9 Depth=3
	s_or_b64 exec, exec, s[50:51]
	v_add_u32_e32 v12, 32, v12
	v_cmp_ge_i32_e32 vcc, v12, v11
	s_or_b64 s[48:49], vcc, s[48:49]
	s_andn2_b64 exec, exec, s[48:49]
	s_cbranch_execz .LBB47_4
.LBB47_9:                               ;   Parent Loop BB47_3 Depth=1
                                        ;     Parent Loop BB47_5 Depth=2
                                        ; =>    This Loop Header: Depth=3
                                        ;         Child Loop BB47_13 Depth 4
                                        ;         Child Loop BB47_43 Depth 4
	;; [unrolled: 1-line block ×3, first 2 shown]
	v_ashrrev_i32_e32 v13, 31, v12
	v_lshlrev_b64 v[0:1], 2, v[12:13]
	v_mov_b32_e32 v2, s29
	v_add_co_u32_e32 v0, vcc, s28, v0
	v_addc_co_u32_e32 v1, vcc, v2, v1, vcc
	global_load_dword v0, v[0:1], off
	v_mov_b32_e32 v3, s9
	v_mov_b32_e32 v4, s11
	v_mov_b32_e32 v8, 0
	v_mov_b32_e32 v20, 0
	s_waitcnt vmcnt(0)
	v_subrev_u32_e32 v16, s68, v0
	v_ashrrev_i32_e32 v17, 31, v16
	v_lshlrev_b64 v[0:1], 2, v[16:17]
	v_add_co_u32_e32 v2, vcc, s8, v0
	v_addc_co_u32_e32 v3, vcc, v3, v1, vcc
	v_add_co_u32_e32 v0, vcc, s10, v0
	v_addc_co_u32_e32 v1, vcc, v4, v1, vcc
	global_load_dword v4, v[2:3], off
	global_load_dword v5, v[0:1], off
	v_pk_mov_b32 v[0:1], 0, 0
	v_pk_mov_b32 v[2:3], v[0:1], v[0:1] op_sel:[0,1]
	s_waitcnt vmcnt(1)
	v_subrev_u32_e32 v18, s70, v4
	s_waitcnt vmcnt(0)
	v_sub_u32_e32 v38, v5, v4
	s_and_saveexec_b64 s[6:7], s[4:5]
	s_cbranch_execz .LBB47_17
; %bb.10:                               ;   in Loop: Header=BB47_9 Depth=3
	v_ashrrev_i32_e32 v19, 31, v18
	v_lshlrev_b64 v[0:1], 2, v[18:19]
	v_mov_b32_e32 v2, s13
	v_add_co_u32_e32 v4, vcc, s12, v0
	v_addc_co_u32_e32 v5, vcc, v2, v1, vcc
	v_lshlrev_b64 v[0:1], 4, v[18:19]
	v_mov_b32_e32 v2, s15
	v_add_co_u32_e32 v6, vcc, s14, v0
	v_addc_co_u32_e32 v7, vcc, v2, v1, vcc
	v_mov_b32_e32 v20, 0
	v_pk_mov_b32 v[0:1], 0, 0
	s_mov_b64 s[50:51], 0
	v_mov_b32_e32 v8, v20
	v_pk_mov_b32 v[2:3], v[0:1], v[0:1] op_sel:[0,1]
                                        ; implicit-def: $sgpr52_sgpr53
	s_branch .LBB47_13
.LBB47_11:                              ;   in Loop: Header=BB47_13 Depth=4
	s_or_b64 exec, exec, s[56:57]
	v_cmp_le_i32_e32 vcc, v19, v22
	v_addc_co_u32_e32 v8, vcc, 0, v8, vcc
	v_cmp_ge_i32_e32 vcc, v19, v22
	v_addc_co_u32_e32 v20, vcc, 0, v20, vcc
	v_cmp_ge_i32_e32 vcc, v8, v34
	s_andn2_b64 s[52:53], s[52:53], exec
	s_and_b64 s[56:57], vcc, exec
	s_or_b64 s[52:53], s[52:53], s[56:57]
.LBB47_12:                              ;   in Loop: Header=BB47_13 Depth=4
	s_or_b64 exec, exec, s[54:55]
	s_and_b64 s[54:55], exec, s[52:53]
	s_or_b64 s[50:51], s[54:55], s[50:51]
	s_andn2_b64 exec, exec, s[50:51]
	s_cbranch_execz .LBB47_16
.LBB47_13:                              ;   Parent Loop BB47_3 Depth=1
                                        ;     Parent Loop BB47_5 Depth=2
                                        ;       Parent Loop BB47_9 Depth=3
                                        ; =>      This Inner Loop Header: Depth=4
	v_cmp_lt_i32_e32 vcc, v20, v38
	s_or_b64 s[52:53], s[52:53], exec
	s_and_saveexec_b64 s[54:55], vcc
	s_cbranch_execz .LBB47_12
; %bb.14:                               ;   in Loop: Header=BB47_13 Depth=4
	v_lshlrev_b64 v[22:23], 2, v[8:9]
	v_add_co_u32_e32 v22, vcc, v15, v22
	v_addc_co_u32_e32 v23, vcc, v35, v23, vcc
	v_mov_b32_e32 v21, v9
	global_load_dword v19, v[22:23], off
	v_lshlrev_b64 v[22:23], 2, v[20:21]
	v_add_co_u32_e32 v22, vcc, v4, v22
	v_addc_co_u32_e32 v23, vcc, v5, v23, vcc
	global_load_dword v22, v[22:23], off
	s_waitcnt vmcnt(1)
	v_subrev_u32_e32 v19, s69, v19
	s_waitcnt vmcnt(0)
	v_subrev_u32_e32 v22, s70, v22
	v_cmp_eq_u32_e32 vcc, v19, v22
	s_and_saveexec_b64 s[56:57], vcc
	s_cbranch_execz .LBB47_11
; %bb.15:                               ;   in Loop: Header=BB47_13 Depth=4
	v_lshlrev_b64 v[24:25], 4, v[8:9]
	v_add_co_u32_e32 v24, vcc, v36, v24
	v_addc_co_u32_e32 v25, vcc, v37, v25, vcc
	v_lshlrev_b64 v[40:41], 4, v[20:21]
	v_add_co_u32_e32 v40, vcc, v6, v40
	v_addc_co_u32_e32 v41, vcc, v7, v41, vcc
	global_load_dwordx4 v[24:27], v[24:25], off
	s_nop 0
	global_load_dwordx4 v[40:43], v[40:41], off
	s_waitcnt vmcnt(0)
	v_fmac_f64_e32 v[0:1], v[24:25], v[40:41]
	v_fmac_f64_e32 v[2:3], v[26:27], v[40:41]
	v_fma_f64 v[0:1], -v[26:27], v[42:43], v[0:1]
	v_fmac_f64_e32 v[2:3], v[24:25], v[42:43]
	s_branch .LBB47_11
.LBB47_16:                              ;   in Loop: Header=BB47_9 Depth=3
	s_or_b64 exec, exec, s[50:51]
.LBB47_17:                              ;   in Loop: Header=BB47_9 Depth=3
	s_or_b64 exec, exec, s[6:7]
	v_lshlrev_b64 v[4:5], 4, v[12:13]
	v_mov_b32_e32 v6, s31
	v_add_co_u32_e32 v4, vcc, s30, v4
	v_addc_co_u32_e32 v5, vcc, v6, v5, vcc
	global_load_dwordx4 v[4:7], v[4:5], off
	v_cmp_le_i32_e64 s[6:7], v10, v16
	v_cmp_gt_i32_e32 vcc, v10, v16
	s_waitcnt vmcnt(0)
	v_add_f64 v[0:1], v[4:5], -v[0:1]
	v_add_f64 v[2:3], v[6:7], -v[2:3]
	s_and_saveexec_b64 s[50:51], vcc
	s_cbranch_execz .LBB47_27
; %bb.18:                               ;   in Loop: Header=BB47_9 Depth=3
	v_lshlrev_b64 v[4:5], 4, v[16:17]
	v_mov_b32_e32 v6, s37
	v_add_co_u32_e32 v4, vcc, s36, v4
	v_addc_co_u32_e32 v5, vcc, v6, v5, vcc
	global_load_dwordx4 v[4:7], v[4:5], off
                                        ; implicit-def: $vgpr26_vgpr27
	s_waitcnt vmcnt(0)
	v_xor_b32_e32 v13, 0x80000000, v5
	v_cmp_gt_f64_e32 vcc, 0, v[4:5]
	v_xor_b32_e32 v19, 0x80000000, v7
	v_cndmask_b32_e32 v23, v5, v13, vcc
	v_cmp_gt_f64_e32 vcc, 0, v[6:7]
	v_mov_b32_e32 v22, v4
	v_cndmask_b32_e32 v25, v7, v19, vcc
	v_mov_b32_e32 v24, v6
	v_cmp_ngt_f64_e32 vcc, v[22:23], v[24:25]
	s_and_saveexec_b64 s[52:53], vcc
	s_xor_b64 s[52:53], exec, s[52:53]
	s_cbranch_execz .LBB47_22
; %bb.19:                               ;   in Loop: Header=BB47_9 Depth=3
	v_cmp_neq_f64_e32 vcc, 0, v[6:7]
	v_pk_mov_b32 v[26:27], 0, 0
	s_and_saveexec_b64 s[54:55], vcc
	s_cbranch_execz .LBB47_21
; %bb.20:                               ;   in Loop: Header=BB47_9 Depth=3
	v_div_scale_f64 v[26:27], s[56:57], v[24:25], v[24:25], v[22:23]
	v_rcp_f64_e32 v[40:41], v[26:27]
	v_div_scale_f64 v[42:43], vcc, v[22:23], v[24:25], v[22:23]
	v_fma_f64 v[44:45], -v[26:27], v[40:41], 1.0
	v_fmac_f64_e32 v[40:41], v[40:41], v[44:45]
	v_fma_f64 v[44:45], -v[26:27], v[40:41], 1.0
	v_fmac_f64_e32 v[40:41], v[40:41], v[44:45]
	v_mul_f64 v[44:45], v[42:43], v[40:41]
	v_fma_f64 v[26:27], -v[26:27], v[44:45], v[42:43]
	v_div_fmas_f64 v[26:27], v[26:27], v[40:41], v[44:45]
	v_div_fixup_f64 v[22:23], v[26:27], v[24:25], v[22:23]
	v_fma_f64 v[22:23], v[22:23], v[22:23], 1.0
	v_cmp_gt_f64_e32 vcc, s[44:45], v[22:23]
	v_cndmask_b32_e64 v13, 0, 1, vcc
	v_lshlrev_b32_e32 v13, 8, v13
	v_ldexp_f64 v[22:23], v[22:23], v13
	v_rsq_f64_e32 v[26:27], v[22:23]
	v_cndmask_b32_e32 v13, 0, v33, vcc
	v_cmp_class_f64_e32 vcc, v[22:23], v32
	v_mul_f64 v[40:41], v[22:23], v[26:27]
	v_mul_f64 v[26:27], v[26:27], 0.5
	v_fma_f64 v[42:43], -v[26:27], v[40:41], 0.5
	v_fmac_f64_e32 v[40:41], v[40:41], v[42:43]
	v_fma_f64 v[44:45], -v[40:41], v[40:41], v[22:23]
	v_fmac_f64_e32 v[26:27], v[26:27], v[42:43]
	v_fmac_f64_e32 v[40:41], v[44:45], v[26:27]
	v_fma_f64 v[42:43], -v[40:41], v[40:41], v[22:23]
	v_fmac_f64_e32 v[40:41], v[42:43], v[26:27]
	v_ldexp_f64 v[26:27], v[40:41], v13
	v_cndmask_b32_e32 v23, v27, v23, vcc
	v_cndmask_b32_e32 v22, v26, v22, vcc
	v_mul_f64 v[26:27], v[24:25], v[22:23]
.LBB47_21:                              ;   in Loop: Header=BB47_9 Depth=3
	s_or_b64 exec, exec, s[54:55]
                                        ; implicit-def: $vgpr22_vgpr23
                                        ; implicit-def: $vgpr24_vgpr25
.LBB47_22:                              ;   in Loop: Header=BB47_9 Depth=3
	s_andn2_saveexec_b64 s[52:53], s[52:53]
	s_cbranch_execz .LBB47_24
; %bb.23:                               ;   in Loop: Header=BB47_9 Depth=3
	v_div_scale_f64 v[26:27], s[54:55], v[22:23], v[22:23], v[24:25]
	v_rcp_f64_e32 v[40:41], v[26:27]
	v_div_scale_f64 v[42:43], vcc, v[24:25], v[22:23], v[24:25]
	v_fma_f64 v[44:45], -v[26:27], v[40:41], 1.0
	v_fmac_f64_e32 v[40:41], v[40:41], v[44:45]
	v_fma_f64 v[44:45], -v[26:27], v[40:41], 1.0
	v_fmac_f64_e32 v[40:41], v[40:41], v[44:45]
	v_mul_f64 v[44:45], v[42:43], v[40:41]
	v_fma_f64 v[26:27], -v[26:27], v[44:45], v[42:43]
	v_div_fmas_f64 v[26:27], v[26:27], v[40:41], v[44:45]
	v_div_fixup_f64 v[24:25], v[26:27], v[22:23], v[24:25]
	v_fma_f64 v[24:25], v[24:25], v[24:25], 1.0
	v_cmp_gt_f64_e32 vcc, s[44:45], v[24:25]
	v_cndmask_b32_e64 v13, 0, 1, vcc
	v_lshlrev_b32_e32 v13, 8, v13
	v_ldexp_f64 v[24:25], v[24:25], v13
	v_rsq_f64_e32 v[26:27], v[24:25]
	v_cndmask_b32_e32 v13, 0, v33, vcc
	v_cmp_class_f64_e32 vcc, v[24:25], v32
	v_mul_f64 v[40:41], v[24:25], v[26:27]
	v_mul_f64 v[26:27], v[26:27], 0.5
	v_fma_f64 v[42:43], -v[26:27], v[40:41], 0.5
	v_fmac_f64_e32 v[40:41], v[40:41], v[42:43]
	v_fma_f64 v[44:45], -v[40:41], v[40:41], v[24:25]
	v_fmac_f64_e32 v[26:27], v[26:27], v[42:43]
	v_fmac_f64_e32 v[40:41], v[44:45], v[26:27]
	v_fma_f64 v[42:43], -v[40:41], v[40:41], v[24:25]
	v_fmac_f64_e32 v[40:41], v[42:43], v[26:27]
	v_ldexp_f64 v[26:27], v[40:41], v13
	v_cndmask_b32_e32 v25, v27, v25, vcc
	v_cndmask_b32_e32 v24, v26, v24, vcc
	v_mul_f64 v[26:27], v[22:23], v[24:25]
.LBB47_24:                              ;   in Loop: Header=BB47_9 Depth=3
	s_or_b64 exec, exec, s[52:53]
	v_pk_mov_b32 v[22:23], 0, 0
	v_cmp_lt_f64_e32 vcc, 0, v[26:27]
	v_pk_mov_b32 v[24:25], v[22:23], v[22:23] op_sel:[0,1]
	s_and_saveexec_b64 s[52:53], vcc
	s_cbranch_execz .LBB47_26
; %bb.25:                               ;   in Loop: Header=BB47_9 Depth=3
	v_mul_f64 v[22:23], v[6:7], v[6:7]
	v_fmac_f64_e32 v[22:23], v[4:5], v[4:5]
	v_div_scale_f64 v[24:25], s[54:55], v[22:23], v[22:23], 1.0
	v_rcp_f64_e32 v[26:27], v[24:25]
	v_div_scale_f64 v[40:41], vcc, 1.0, v[22:23], 1.0
	v_fma_f64 v[42:43], -v[24:25], v[26:27], 1.0
	v_fmac_f64_e32 v[26:27], v[26:27], v[42:43]
	v_fma_f64 v[42:43], -v[24:25], v[26:27], 1.0
	v_fmac_f64_e32 v[26:27], v[26:27], v[42:43]
	v_mul_f64 v[42:43], v[40:41], v[26:27]
	v_fma_f64 v[24:25], -v[24:25], v[42:43], v[40:41]
	v_div_fmas_f64 v[24:25], v[24:25], v[26:27], v[42:43]
	v_div_fixup_f64 v[24:25], v[24:25], v[22:23], 1.0
	v_mul_f64 v[22:23], v[2:3], v[6:7]
	v_fmac_f64_e32 v[22:23], v[0:1], v[4:5]
	v_mul_f64 v[0:1], v[6:7], -v[0:1]
	v_fmac_f64_e32 v[0:1], v[2:3], v[4:5]
	v_mul_f64 v[22:23], v[22:23], v[24:25]
	v_mul_f64 v[24:25], v[0:1], v[24:25]
.LBB47_26:                              ;   in Loop: Header=BB47_9 Depth=3
	s_or_b64 exec, exec, s[52:53]
	v_pk_mov_b32 v[0:1], v[22:23], v[22:23] op_sel:[0,1]
	v_pk_mov_b32 v[2:3], v[24:25], v[24:25] op_sel:[0,1]
.LBB47_27:                              ;   in Loop: Header=BB47_9 Depth=3
	s_or_b64 exec, exec, s[50:51]
	v_xor_b32_e32 v4, 0x80000000, v1
	v_cmp_gt_f64_e32 vcc, 0, v[0:1]
	v_cndmask_b32_e32 v5, v1, v4, vcc
	v_cndmask_b32_e32 v4, v0, v0, vcc
	v_xor_b32_e32 v6, 0x80000000, v3
	v_cmp_gt_f64_e32 vcc, 0, v[2:3]
	v_cndmask_b32_e32 v7, v3, v6, vcc
	v_cndmask_b32_e32 v6, v2, v2, vcc
	v_cmp_ngt_f64_e32 vcc, v[4:5], v[6:7]
                                        ; implicit-def: $vgpr22_vgpr23
	s_and_saveexec_b64 s[50:51], vcc
	s_xor_b64 s[50:51], exec, s[50:51]
	s_cbranch_execnz .LBB47_30
; %bb.28:                               ;   in Loop: Header=BB47_9 Depth=3
	s_andn2_saveexec_b64 s[50:51], s[50:51]
	s_cbranch_execnz .LBB47_33
.LBB47_29:                              ;   in Loop: Header=BB47_9 Depth=3
	s_or_b64 exec, exec, s[50:51]
	v_cmp_class_f64_e64 s[52:53], v[22:23], s72
	s_and_saveexec_b64 s[50:51], s[52:53]
	s_cbranch_execz .LBB47_8
	s_branch .LBB47_34
.LBB47_30:                              ;   in Loop: Header=BB47_9 Depth=3
	v_cmp_neq_f64_e32 vcc, 0, v[2:3]
	v_pk_mov_b32 v[22:23], 0, 0
	s_and_saveexec_b64 s[52:53], vcc
	s_cbranch_execz .LBB47_32
; %bb.31:                               ;   in Loop: Header=BB47_9 Depth=3
	v_div_scale_f64 v[22:23], s[54:55], v[6:7], v[6:7], v[4:5]
	v_rcp_f64_e32 v[24:25], v[22:23]
	v_div_scale_f64 v[26:27], vcc, v[4:5], v[6:7], v[4:5]
	v_fma_f64 v[40:41], -v[22:23], v[24:25], 1.0
	v_fmac_f64_e32 v[24:25], v[24:25], v[40:41]
	v_fma_f64 v[40:41], -v[22:23], v[24:25], 1.0
	v_fmac_f64_e32 v[24:25], v[24:25], v[40:41]
	v_mul_f64 v[40:41], v[26:27], v[24:25]
	v_fma_f64 v[22:23], -v[22:23], v[40:41], v[26:27]
	v_div_fmas_f64 v[22:23], v[22:23], v[24:25], v[40:41]
	v_div_fixup_f64 v[4:5], v[22:23], v[6:7], v[4:5]
	v_fma_f64 v[4:5], v[4:5], v[4:5], 1.0
	v_cmp_gt_f64_e32 vcc, s[44:45], v[4:5]
	v_cndmask_b32_e64 v13, 0, 1, vcc
	v_lshlrev_b32_e32 v13, 8, v13
	v_ldexp_f64 v[4:5], v[4:5], v13
	v_rsq_f64_e32 v[22:23], v[4:5]
	v_cndmask_b32_e32 v13, 0, v33, vcc
	v_cmp_class_f64_e32 vcc, v[4:5], v32
	v_mul_f64 v[24:25], v[4:5], v[22:23]
	v_mul_f64 v[22:23], v[22:23], 0.5
	v_fma_f64 v[26:27], -v[22:23], v[24:25], 0.5
	v_fmac_f64_e32 v[24:25], v[24:25], v[26:27]
	v_fma_f64 v[40:41], -v[24:25], v[24:25], v[4:5]
	v_fmac_f64_e32 v[22:23], v[22:23], v[26:27]
	v_fmac_f64_e32 v[24:25], v[40:41], v[22:23]
	v_fma_f64 v[26:27], -v[24:25], v[24:25], v[4:5]
	v_fmac_f64_e32 v[24:25], v[26:27], v[22:23]
	v_ldexp_f64 v[22:23], v[24:25], v13
	v_cndmask_b32_e32 v5, v23, v5, vcc
	v_cndmask_b32_e32 v4, v22, v4, vcc
	v_mul_f64 v[22:23], v[6:7], v[4:5]
.LBB47_32:                              ;   in Loop: Header=BB47_9 Depth=3
	s_or_b64 exec, exec, s[52:53]
                                        ; implicit-def: $vgpr4_vgpr5
                                        ; implicit-def: $vgpr6_vgpr7
	s_andn2_saveexec_b64 s[50:51], s[50:51]
	s_cbranch_execz .LBB47_29
.LBB47_33:                              ;   in Loop: Header=BB47_9 Depth=3
	v_div_scale_f64 v[22:23], s[52:53], v[4:5], v[4:5], v[6:7]
	v_rcp_f64_e32 v[24:25], v[22:23]
	v_div_scale_f64 v[26:27], vcc, v[6:7], v[4:5], v[6:7]
	v_fma_f64 v[40:41], -v[22:23], v[24:25], 1.0
	v_fmac_f64_e32 v[24:25], v[24:25], v[40:41]
	v_fma_f64 v[40:41], -v[22:23], v[24:25], 1.0
	v_fmac_f64_e32 v[24:25], v[24:25], v[40:41]
	v_mul_f64 v[40:41], v[26:27], v[24:25]
	v_fma_f64 v[22:23], -v[22:23], v[40:41], v[26:27]
	v_div_fmas_f64 v[22:23], v[22:23], v[24:25], v[40:41]
	v_div_fixup_f64 v[6:7], v[22:23], v[4:5], v[6:7]
	v_fma_f64 v[6:7], v[6:7], v[6:7], 1.0
	v_cmp_gt_f64_e32 vcc, s[44:45], v[6:7]
	v_cndmask_b32_e64 v13, 0, 1, vcc
	v_lshlrev_b32_e32 v13, 8, v13
	v_ldexp_f64 v[6:7], v[6:7], v13
	v_rsq_f64_e32 v[22:23], v[6:7]
	v_cndmask_b32_e32 v13, 0, v33, vcc
	v_cmp_class_f64_e32 vcc, v[6:7], v32
	v_mul_f64 v[24:25], v[6:7], v[22:23]
	v_mul_f64 v[22:23], v[22:23], 0.5
	v_fma_f64 v[26:27], -v[22:23], v[24:25], 0.5
	v_fmac_f64_e32 v[24:25], v[24:25], v[26:27]
	v_fma_f64 v[40:41], -v[24:25], v[24:25], v[6:7]
	v_fmac_f64_e32 v[22:23], v[22:23], v[26:27]
	v_fmac_f64_e32 v[24:25], v[40:41], v[22:23]
	v_fma_f64 v[26:27], -v[24:25], v[24:25], v[6:7]
	v_fmac_f64_e32 v[24:25], v[26:27], v[22:23]
	v_ldexp_f64 v[22:23], v[24:25], v13
	v_cndmask_b32_e32 v7, v23, v7, vcc
	v_cndmask_b32_e32 v6, v22, v6, vcc
	v_mul_f64 v[22:23], v[4:5], v[6:7]
	s_or_b64 exec, exec, s[50:51]
	v_cmp_class_f64_e64 s[52:53], v[22:23], s72
	s_and_saveexec_b64 s[50:51], s[52:53]
	s_cbranch_execz .LBB47_8
.LBB47_34:                              ;   in Loop: Header=BB47_9 Depth=3
	s_mov_b64 s[52:53], 0
                                        ; implicit-def: $vgpr4_vgpr5
	s_and_saveexec_b64 s[54:55], s[6:7]
	s_xor_b64 s[6:7], exec, s[54:55]
	s_cbranch_execnz .LBB47_37
; %bb.35:                               ;   in Loop: Header=BB47_9 Depth=3
	s_andn2_saveexec_b64 s[6:7], s[6:7]
	s_cbranch_execnz .LBB47_50
.LBB47_36:                              ;   in Loop: Header=BB47_9 Depth=3
	s_or_b64 exec, exec, s[6:7]
	s_and_b64 exec, exec, s[52:53]
	s_cbranch_execz .LBB47_8
	s_branch .LBB47_59
.LBB47_37:                              ;   in Loop: Header=BB47_9 Depth=3
	v_cmp_ge_i32_e32 vcc, v10, v16
                                        ; implicit-def: $vgpr4_vgpr5
	s_and_saveexec_b64 s[54:55], vcc
	s_xor_b64 s[54:55], exec, s[54:55]
; %bb.38:                               ;   in Loop: Header=BB47_9 Depth=3
	v_lshlrev_b64 v[4:5], 4, v[16:17]
	v_mov_b32_e32 v6, s39
	v_add_co_u32_e32 v4, vcc, s38, v4
	s_mov_b64 s[52:53], exec
	v_addc_co_u32_e32 v5, vcc, v6, v5, vcc
                                        ; implicit-def: $vgpr20
                                        ; implicit-def: $vgpr38
                                        ; implicit-def: $vgpr18
; %bb.39:                               ;   in Loop: Header=BB47_9 Depth=3
	s_andn2_saveexec_b64 s[54:55], s[54:55]
	s_cbranch_execz .LBB47_49
; %bb.40:                               ;   in Loop: Header=BB47_9 Depth=3
	v_cmp_lt_i32_e32 vcc, v20, v38
	s_mov_b64 s[58:59], s[52:53]
                                        ; implicit-def: $vgpr4_vgpr5
	s_and_saveexec_b64 s[56:57], vcc
	s_cbranch_execz .LBB47_48
; %bb.41:                               ;   in Loop: Header=BB47_9 Depth=3
	s_mov_b64 s[60:61], 0
                                        ; implicit-def: $sgpr58_sgpr59
                                        ; implicit-def: $sgpr64_sgpr65
                                        ; implicit-def: $sgpr62_sgpr63
	s_branch .LBB47_43
.LBB47_42:                              ;   in Loop: Header=BB47_43 Depth=4
	s_or_b64 exec, exec, s[66:67]
	s_and_b64 s[66:67], exec, s[64:65]
	s_or_b64 s[60:61], s[66:67], s[60:61]
	s_andn2_b64 s[58:59], s[58:59], exec
	s_and_b64 s[66:67], s[62:63], exec
	s_or_b64 s[58:59], s[58:59], s[66:67]
	s_andn2_b64 exec, exec, s[60:61]
	s_cbranch_execz .LBB47_45
.LBB47_43:                              ;   Parent Loop BB47_3 Depth=1
                                        ;     Parent Loop BB47_5 Depth=2
                                        ;       Parent Loop BB47_9 Depth=3
                                        ; =>      This Inner Loop Header: Depth=4
	v_add_u32_e32 v6, v18, v20
	v_ashrrev_i32_e32 v7, 31, v6
	v_lshlrev_b64 v[4:5], 2, v[6:7]
	v_mov_b32_e32 v8, s13
	v_add_co_u32_e32 v4, vcc, s12, v4
	v_addc_co_u32_e32 v5, vcc, v8, v5, vcc
	global_load_dword v4, v[4:5], off
	s_or_b64 s[62:63], s[62:63], exec
	s_or_b64 s[64:65], s[64:65], exec
	s_waitcnt vmcnt(0)
	v_subrev_u32_e32 v4, s70, v4
	v_cmp_ne_u32_e32 vcc, v4, v10
	s_and_saveexec_b64 s[66:67], vcc
	s_cbranch_execz .LBB47_42
; %bb.44:                               ;   in Loop: Header=BB47_43 Depth=4
	v_add_u32_e32 v20, 1, v20
	v_cmp_ge_i32_e32 vcc, v20, v38
	s_andn2_b64 s[64:65], s[64:65], exec
	s_and_b64 s[74:75], vcc, exec
	s_andn2_b64 s[62:63], s[62:63], exec
	s_or_b64 s[64:65], s[64:65], s[74:75]
	s_branch .LBB47_42
.LBB47_45:                              ;   in Loop: Header=BB47_9 Depth=3
	s_or_b64 exec, exec, s[60:61]
	s_mov_b64 s[60:61], s[52:53]
                                        ; implicit-def: $vgpr4_vgpr5
	s_and_saveexec_b64 s[62:63], s[58:59]
	s_xor_b64 s[58:59], exec, s[62:63]
; %bb.46:                               ;   in Loop: Header=BB47_9 Depth=3
	v_lshlrev_b64 v[4:5], 4, v[6:7]
	v_mov_b32_e32 v6, s43
	v_add_co_u32_e32 v4, vcc, s42, v4
	v_addc_co_u32_e32 v5, vcc, v6, v5, vcc
	s_or_b64 s[60:61], s[52:53], exec
; %bb.47:                               ;   in Loop: Header=BB47_9 Depth=3
	s_or_b64 exec, exec, s[58:59]
	s_andn2_b64 s[58:59], s[52:53], exec
	s_and_b64 s[60:61], s[60:61], exec
	s_or_b64 s[58:59], s[58:59], s[60:61]
.LBB47_48:                              ;   in Loop: Header=BB47_9 Depth=3
	s_or_b64 exec, exec, s[56:57]
	s_andn2_b64 s[52:53], s[52:53], exec
	s_and_b64 s[56:57], s[58:59], exec
	s_or_b64 s[52:53], s[52:53], s[56:57]
.LBB47_49:                              ;   in Loop: Header=BB47_9 Depth=3
	s_or_b64 exec, exec, s[54:55]
	s_and_b64 s[52:53], s[52:53], exec
                                        ; implicit-def: $vgpr16_vgpr17
	s_andn2_saveexec_b64 s[6:7], s[6:7]
	s_cbranch_execz .LBB47_36
.LBB47_50:                              ;   in Loop: Header=BB47_9 Depth=3
	v_cmp_lt_i32_e32 vcc, v8, v34
	s_mov_b64 s[56:57], s[52:53]
                                        ; implicit-def: $vgpr4_vgpr5
	s_and_saveexec_b64 s[54:55], vcc
	s_cbranch_execz .LBB47_58
; %bb.51:                               ;   in Loop: Header=BB47_9 Depth=3
	s_mov_b64 s[58:59], 0
                                        ; implicit-def: $sgpr56_sgpr57
                                        ; implicit-def: $sgpr62_sgpr63
                                        ; implicit-def: $sgpr60_sgpr61
	s_branch .LBB47_53
.LBB47_52:                              ;   in Loop: Header=BB47_53 Depth=4
	s_or_b64 exec, exec, s[64:65]
	s_and_b64 s[64:65], exec, s[62:63]
	s_or_b64 s[58:59], s[64:65], s[58:59]
	s_andn2_b64 s[56:57], s[56:57], exec
	s_and_b64 s[64:65], s[60:61], exec
	s_or_b64 s[56:57], s[56:57], s[64:65]
	s_andn2_b64 exec, exec, s[58:59]
	s_cbranch_execz .LBB47_55
.LBB47_53:                              ;   Parent Loop BB47_3 Depth=1
                                        ;     Parent Loop BB47_5 Depth=2
                                        ;       Parent Loop BB47_9 Depth=3
                                        ; =>      This Inner Loop Header: Depth=4
	v_add_u32_e32 v6, v14, v8
	v_ashrrev_i32_e32 v7, 31, v6
	v_lshlrev_b64 v[4:5], 2, v[6:7]
	v_mov_b32_e32 v13, s21
	v_add_co_u32_e32 v4, vcc, s20, v4
	v_addc_co_u32_e32 v5, vcc, v13, v5, vcc
	global_load_dword v4, v[4:5], off
	s_or_b64 s[60:61], s[60:61], exec
	s_or_b64 s[62:63], s[62:63], exec
	s_waitcnt vmcnt(0)
	v_subrev_u32_e32 v4, s69, v4
	v_cmp_ne_u32_e32 vcc, v4, v16
	s_and_saveexec_b64 s[64:65], vcc
	s_cbranch_execz .LBB47_52
; %bb.54:                               ;   in Loop: Header=BB47_53 Depth=4
	v_add_u32_e32 v8, 1, v8
	v_cmp_ge_i32_e32 vcc, v8, v34
	s_andn2_b64 s[62:63], s[62:63], exec
	s_and_b64 s[66:67], vcc, exec
	s_andn2_b64 s[60:61], s[60:61], exec
	s_or_b64 s[62:63], s[62:63], s[66:67]
	s_branch .LBB47_52
.LBB47_55:                              ;   in Loop: Header=BB47_9 Depth=3
	s_or_b64 exec, exec, s[58:59]
	s_mov_b64 s[58:59], s[52:53]
                                        ; implicit-def: $vgpr4_vgpr5
	s_and_saveexec_b64 s[60:61], s[56:57]
	s_xor_b64 s[56:57], exec, s[60:61]
; %bb.56:                               ;   in Loop: Header=BB47_9 Depth=3
	v_lshlrev_b64 v[4:5], 4, v[6:7]
	v_mov_b32_e32 v6, s41
	v_add_co_u32_e32 v4, vcc, s40, v4
	v_addc_co_u32_e32 v5, vcc, v6, v5, vcc
	s_or_b64 s[58:59], s[52:53], exec
; %bb.57:                               ;   in Loop: Header=BB47_9 Depth=3
	s_or_b64 exec, exec, s[56:57]
	s_andn2_b64 s[56:57], s[52:53], exec
	s_and_b64 s[58:59], s[58:59], exec
	s_or_b64 s[56:57], s[56:57], s[58:59]
.LBB47_58:                              ;   in Loop: Header=BB47_9 Depth=3
	s_or_b64 exec, exec, s[54:55]
	s_andn2_b64 s[52:53], s[52:53], exec
	s_and_b64 s[54:55], s[56:57], exec
	s_or_b64 s[52:53], s[52:53], s[54:55]
	s_or_b64 exec, exec, s[6:7]
	s_and_b64 exec, exec, s[52:53]
	s_cbranch_execz .LBB47_8
.LBB47_59:                              ;   in Loop: Header=BB47_9 Depth=3
	global_store_dwordx4 v[4:5], v[0:3], off
	s_branch .LBB47_8
.LBB47_60:                              ;   in Loop: Header=BB47_3 Depth=1
	s_and_saveexec_b64 s[4:5], s[0:1]
	s_cbranch_execz .LBB47_2
; %bb.61:                               ;   in Loop: Header=BB47_3 Depth=1
	s_mov_b64 s[6:7], 0
	v_mov_b32_e32 v0, v28
	s_branch .LBB47_63
.LBB47_62:                              ;   in Loop: Header=BB47_63 Depth=2
	s_or_b64 exec, exec, s[46:47]
	v_add_u32_e32 v0, 32, v0
	v_cmp_le_u32_e32 vcc, s71, v0
	s_or_b64 s[6:7], vcc, s[6:7]
	s_andn2_b64 exec, exec, s[6:7]
	s_cbranch_execz .LBB47_2
.LBB47_63:                              ;   Parent Loop BB47_3 Depth=1
                                        ; =>  This Loop Header: Depth=2
                                        ;       Child Loop BB47_66 Depth 3
                                        ;       Child Loop BB47_69 Depth 3
	v_cmp_gt_i32_e32 vcc, s35, v0
	s_and_saveexec_b64 s[46:47], vcc
	s_cbranch_execz .LBB47_62
; %bb.64:                               ;   in Loop: Header=BB47_63 Depth=2
	v_ashrrev_i32_e32 v1, 31, v0
	v_lshlrev_b64 v[2:3], 2, v[0:1]
	v_mov_b32_e32 v5, s17
	v_add_co_u32_e32 v4, vcc, s16, v2
	v_addc_co_u32_e32 v5, vcc, v5, v3, vcc
	global_load_dword v6, v[4:5], off
	v_mov_b32_e32 v5, s19
	v_add_co_u32_e32 v4, vcc, s18, v2
	v_addc_co_u32_e32 v5, vcc, v5, v3, vcc
	global_load_dword v5, v[4:5], off
	s_waitcnt vmcnt(1)
	v_add_u32_e32 v4, v30, v6
	s_waitcnt vmcnt(0)
	v_subrev_u32_e32 v8, s69, v5
	v_cmp_lt_i32_e32 vcc, v4, v8
	s_and_saveexec_b64 s[48:49], vcc
	s_cbranch_execz .LBB47_67
; %bb.65:                               ;   in Loop: Header=BB47_63 Depth=2
	v_ashrrev_i32_e32 v5, 31, v4
	v_lshlrev_b64 v[10:11], 4, v[4:5]
	v_mov_b32_e32 v5, s23
	v_add_co_u32_e32 v6, vcc, s22, v10
	v_addc_co_u32_e32 v7, vcc, v5, v11, vcc
	v_mov_b32_e32 v5, s41
	v_add_co_u32_e32 v10, vcc, s40, v10
	v_addc_co_u32_e32 v11, vcc, v5, v11, vcc
	s_mov_b64 s[50:51], 0
.LBB47_66:                              ;   Parent Loop BB47_3 Depth=1
                                        ;     Parent Loop BB47_63 Depth=2
                                        ; =>    This Inner Loop Header: Depth=3
	global_load_dwordx4 v[12:15], v[10:11], off
	v_add_u32_e32 v4, 32, v4
	v_cmp_ge_i32_e32 vcc, v4, v8
	s_or_b64 s[50:51], vcc, s[50:51]
	s_waitcnt vmcnt(0)
	global_store_dwordx4 v[6:7], v[12:15], off
	v_add_co_u32_e32 v6, vcc, 0x200, v6
	v_addc_co_u32_e32 v7, vcc, 0, v7, vcc
	v_add_co_u32_e32 v10, vcc, 0x200, v10
	v_addc_co_u32_e32 v11, vcc, 0, v11, vcc
	s_andn2_b64 exec, exec, s[50:51]
	s_cbranch_execnz .LBB47_66
.LBB47_67:                              ;   in Loop: Header=BB47_63 Depth=2
	s_or_b64 exec, exec, s[48:49]
	v_mov_b32_e32 v5, s9
	v_add_co_u32_e32 v4, vcc, s8, v2
	v_addc_co_u32_e32 v5, vcc, v5, v3, vcc
	global_load_dword v4, v[4:5], off
	v_mov_b32_e32 v5, s11
	v_add_co_u32_e32 v2, vcc, s10, v2
	v_addc_co_u32_e32 v3, vcc, v5, v3, vcc
	global_load_dword v3, v[2:3], off
	s_waitcnt vmcnt(1)
	v_add_u32_e32 v2, v31, v4
	s_waitcnt vmcnt(0)
	v_subrev_u32_e32 v8, s70, v3
	v_cmp_lt_i32_e32 vcc, v2, v8
	s_and_saveexec_b64 s[48:49], vcc
	s_cbranch_execz .LBB47_70
; %bb.68:                               ;   in Loop: Header=BB47_63 Depth=2
	v_ashrrev_i32_e32 v3, 31, v2
	v_lshlrev_b64 v[6:7], 4, v[2:3]
	v_mov_b32_e32 v3, s15
	v_add_co_u32_e32 v4, vcc, s14, v6
	v_addc_co_u32_e32 v5, vcc, v3, v7, vcc
	v_mov_b32_e32 v3, s43
	v_add_co_u32_e32 v6, vcc, s42, v6
	v_addc_co_u32_e32 v7, vcc, v3, v7, vcc
	s_mov_b64 s[50:51], 0
.LBB47_69:                              ;   Parent Loop BB47_3 Depth=1
                                        ;     Parent Loop BB47_63 Depth=2
                                        ; =>    This Inner Loop Header: Depth=3
	global_load_dwordx4 v[10:13], v[6:7], off
	v_add_u32_e32 v2, 32, v2
	v_cmp_ge_i32_e32 vcc, v2, v8
	s_or_b64 s[50:51], vcc, s[50:51]
	s_waitcnt vmcnt(0)
	global_store_dwordx4 v[4:5], v[10:13], off
	v_add_co_u32_e32 v4, vcc, 0x200, v4
	v_addc_co_u32_e32 v5, vcc, 0, v5, vcc
	v_add_co_u32_e32 v6, vcc, 0x200, v6
	v_addc_co_u32_e32 v7, vcc, 0, v7, vcc
	s_andn2_b64 exec, exec, s[50:51]
	s_cbranch_execnz .LBB47_69
.LBB47_70:                              ;   in Loop: Header=BB47_63 Depth=2
	s_or_b64 exec, exec, s[48:49]
	s_and_b64 exec, exec, s[2:3]
	s_cbranch_execz .LBB47_62
; %bb.71:                               ;   in Loop: Header=BB47_63 Depth=2
	v_lshlrev_b64 v[6:7], 4, v[0:1]
	v_mov_b32_e32 v1, s39
	v_add_co_u32_e32 v2, vcc, s38, v6
	v_addc_co_u32_e32 v3, vcc, v1, v7, vcc
	global_load_dwordx4 v[2:5], v[2:3], off
	v_mov_b32_e32 v1, s37
	v_add_co_u32_e32 v6, vcc, s36, v6
	v_addc_co_u32_e32 v7, vcc, v1, v7, vcc
	s_waitcnt vmcnt(0)
	global_store_dwordx4 v[6:7], v[2:5], off
	s_branch .LBB47_62
.LBB47_72:
	s_endpgm
	.section	.rodata,"a",@progbits
	.p2align	6, 0x0
	.amdhsa_kernel _ZN9rocsparseL14kernel_freerunILi1024ELi32E21rocsparse_complex_numIdEiiEEvT3_S3_T2_PKS4_S6_PKS3_PKT1_21rocsparse_index_base_S6_S6_S8_PS9_SD_SC_S6_S6_S8_SD_SD_SC_SD_SD_
		.amdhsa_group_segment_fixed_size 0
		.amdhsa_private_segment_fixed_size 0
		.amdhsa_kernarg_size 168
		.amdhsa_user_sgpr_count 6
		.amdhsa_user_sgpr_private_segment_buffer 1
		.amdhsa_user_sgpr_dispatch_ptr 0
		.amdhsa_user_sgpr_queue_ptr 0
		.amdhsa_user_sgpr_kernarg_segment_ptr 1
		.amdhsa_user_sgpr_dispatch_id 0
		.amdhsa_user_sgpr_flat_scratch_init 0
		.amdhsa_user_sgpr_kernarg_preload_length 0
		.amdhsa_user_sgpr_kernarg_preload_offset 0
		.amdhsa_user_sgpr_private_segment_size 0
		.amdhsa_uses_dynamic_stack 0
		.amdhsa_system_sgpr_private_segment_wavefront_offset 0
		.amdhsa_system_sgpr_workgroup_id_x 1
		.amdhsa_system_sgpr_workgroup_id_y 0
		.amdhsa_system_sgpr_workgroup_id_z 0
		.amdhsa_system_sgpr_workgroup_info 0
		.amdhsa_system_vgpr_workitem_id 0
		.amdhsa_next_free_vgpr 46
		.amdhsa_next_free_sgpr 76
		.amdhsa_accum_offset 48
		.amdhsa_reserve_vcc 1
		.amdhsa_reserve_flat_scratch 0
		.amdhsa_float_round_mode_32 0
		.amdhsa_float_round_mode_16_64 0
		.amdhsa_float_denorm_mode_32 3
		.amdhsa_float_denorm_mode_16_64 3
		.amdhsa_dx10_clamp 1
		.amdhsa_ieee_mode 1
		.amdhsa_fp16_overflow 0
		.amdhsa_tg_split 0
		.amdhsa_exception_fp_ieee_invalid_op 0
		.amdhsa_exception_fp_denorm_src 0
		.amdhsa_exception_fp_ieee_div_zero 0
		.amdhsa_exception_fp_ieee_overflow 0
		.amdhsa_exception_fp_ieee_underflow 0
		.amdhsa_exception_fp_ieee_inexact 0
		.amdhsa_exception_int_div_zero 0
	.end_amdhsa_kernel
	.section	.text._ZN9rocsparseL14kernel_freerunILi1024ELi32E21rocsparse_complex_numIdEiiEEvT3_S3_T2_PKS4_S6_PKS3_PKT1_21rocsparse_index_base_S6_S6_S8_PS9_SD_SC_S6_S6_S8_SD_SD_SC_SD_SD_,"axG",@progbits,_ZN9rocsparseL14kernel_freerunILi1024ELi32E21rocsparse_complex_numIdEiiEEvT3_S3_T2_PKS4_S6_PKS3_PKT1_21rocsparse_index_base_S6_S6_S8_PS9_SD_SC_S6_S6_S8_SD_SD_SC_SD_SD_,comdat
.Lfunc_end47:
	.size	_ZN9rocsparseL14kernel_freerunILi1024ELi32E21rocsparse_complex_numIdEiiEEvT3_S3_T2_PKS4_S6_PKS3_PKT1_21rocsparse_index_base_S6_S6_S8_PS9_SD_SC_S6_S6_S8_SD_SD_SC_SD_SD_, .Lfunc_end47-_ZN9rocsparseL14kernel_freerunILi1024ELi32E21rocsparse_complex_numIdEiiEEvT3_S3_T2_PKS4_S6_PKS3_PKT1_21rocsparse_index_base_S6_S6_S8_PS9_SD_SC_S6_S6_S8_SD_SD_SC_SD_SD_
                                        ; -- End function
	.section	.AMDGPU.csdata,"",@progbits
; Kernel info:
; codeLenInByte = 3304
; NumSgprs: 80
; NumVgprs: 46
; NumAgprs: 0
; TotalNumVgprs: 46
; ScratchSize: 0
; MemoryBound: 1
; FloatMode: 240
; IeeeMode: 1
; LDSByteSize: 0 bytes/workgroup (compile time only)
; SGPRBlocks: 9
; VGPRBlocks: 5
; NumSGPRsForWavesPerEU: 80
; NumVGPRsForWavesPerEU: 46
; AccumOffset: 48
; Occupancy: 8
; WaveLimiterHint : 1
; COMPUTE_PGM_RSRC2:SCRATCH_EN: 0
; COMPUTE_PGM_RSRC2:USER_SGPR: 6
; COMPUTE_PGM_RSRC2:TRAP_HANDLER: 0
; COMPUTE_PGM_RSRC2:TGID_X_EN: 1
; COMPUTE_PGM_RSRC2:TGID_Y_EN: 0
; COMPUTE_PGM_RSRC2:TGID_Z_EN: 0
; COMPUTE_PGM_RSRC2:TIDIG_COMP_CNT: 0
; COMPUTE_PGM_RSRC3_GFX90A:ACCUM_OFFSET: 11
; COMPUTE_PGM_RSRC3_GFX90A:TG_SPLIT: 0
	.section	.text._ZN9rocsparseL14kernel_freerunILi1024ELi64E21rocsparse_complex_numIdEiiEEvT3_S3_T2_PKS4_S6_PKS3_PKT1_21rocsparse_index_base_S6_S6_S8_PS9_SD_SC_S6_S6_S8_SD_SD_SC_SD_SD_,"axG",@progbits,_ZN9rocsparseL14kernel_freerunILi1024ELi64E21rocsparse_complex_numIdEiiEEvT3_S3_T2_PKS4_S6_PKS3_PKT1_21rocsparse_index_base_S6_S6_S8_PS9_SD_SC_S6_S6_S8_SD_SD_SC_SD_SD_,comdat
	.globl	_ZN9rocsparseL14kernel_freerunILi1024ELi64E21rocsparse_complex_numIdEiiEEvT3_S3_T2_PKS4_S6_PKS3_PKT1_21rocsparse_index_base_S6_S6_S8_PS9_SD_SC_S6_S6_S8_SD_SD_SC_SD_SD_ ; -- Begin function _ZN9rocsparseL14kernel_freerunILi1024ELi64E21rocsparse_complex_numIdEiiEEvT3_S3_T2_PKS4_S6_PKS3_PKT1_21rocsparse_index_base_S6_S6_S8_PS9_SD_SC_S6_S6_S8_SD_SD_SC_SD_SD_
	.p2align	8
	.type	_ZN9rocsparseL14kernel_freerunILi1024ELi64E21rocsparse_complex_numIdEiiEEvT3_S3_T2_PKS4_S6_PKS3_PKT1_21rocsparse_index_base_S6_S6_S8_PS9_SD_SC_S6_S6_S8_SD_SD_SC_SD_SD_,@function
_ZN9rocsparseL14kernel_freerunILi1024ELi64E21rocsparse_complex_numIdEiiEEvT3_S3_T2_PKS4_S6_PKS3_PKT1_21rocsparse_index_base_S6_S6_S8_PS9_SD_SC_S6_S6_S8_SD_SD_SC_SD_SD_: ; @_ZN9rocsparseL14kernel_freerunILi1024ELi64E21rocsparse_complex_numIdEiiEEvT3_S3_T2_PKS4_S6_PKS3_PKT1_21rocsparse_index_base_S6_S6_S8_PS9_SD_SC_S6_S6_S8_SD_SD_SC_SD_SD_
; %bb.0:
	s_load_dwordx2 s[34:35], s[4:5], 0x0
	v_lshrrev_b32_e32 v1, 6, v0
	s_lshl_b32 s71, s6, 10
	v_or_b32_e32 v28, s71, v1
	s_mov_b32 s33, 0
	s_waitcnt lgkmcnt(0)
	s_cmp_gt_i32 s34, 0
	v_cmp_gt_i32_e32 vcc, s35, v28
	s_cselect_b64 s[0:1], -1, 0
	s_and_b64 s[0:1], vcc, s[0:1]
	s_and_saveexec_b64 s[2:3], s[0:1]
	s_cbranch_execz .LBB48_72
; %bb.1:
	s_load_dwordx4 s[36:39], s[4:5], 0x98
	s_load_dwordx8 s[8:15], s[4:5], 0x68
	s_load_dwordx8 s[16:23], s[4:5], 0x38
	;; [unrolled: 1-line block ×3, first 2 shown]
	s_load_dword s68, s[4:5], 0x30
	s_load_dwordx2 s[40:41], s[4:5], 0x58
	s_load_dword s69, s[4:5], 0x60
	s_load_dwordx2 s[42:43], s[4:5], 0x88
	s_load_dword s70, s[4:5], 0x90
	v_and_b32_e32 v0, 63, v0
	s_addk_i32 s71, 0x400
	s_mov_b32 s44, 0
	s_waitcnt lgkmcnt(0)
	v_subrev_u32_e32 v29, s68, v0
	v_cmp_gt_u32_e64 s[0:1], s71, v28
	v_subrev_u32_e32 v30, s69, v0
	v_subrev_u32_e32 v31, s70, v0
	v_cmp_eq_u32_e64 s[2:3], 0, v0
	s_brev_b32 s45, 8
	v_mov_b32_e32 v32, 0x260
	s_movk_i32 s72, 0x1f8
	v_mov_b32_e32 v9, 0
	v_mov_b32_e32 v33, 0xffffff80
	s_branch .LBB48_3
.LBB48_2:                               ;   in Loop: Header=BB48_3 Depth=1
	s_or_b64 exec, exec, s[4:5]
	s_add_i32 s33, s33, 1
	s_cmp_eq_u32 s33, s34
	s_cbranch_scc1 .LBB48_72
.LBB48_3:                               ; =>This Loop Header: Depth=1
                                        ;     Child Loop BB48_5 Depth 2
                                        ;       Child Loop BB48_9 Depth 3
                                        ;         Child Loop BB48_13 Depth 4
                                        ;         Child Loop BB48_43 Depth 4
                                        ;         Child Loop BB48_53 Depth 4
                                        ;     Child Loop BB48_63 Depth 2
                                        ;       Child Loop BB48_66 Depth 3
                                        ;       Child Loop BB48_69 Depth 3
	s_mov_b32 s73, 0
	s_branch .LBB48_5
.LBB48_4:                               ;   in Loop: Header=BB48_5 Depth=2
	s_or_b64 exec, exec, s[46:47]
	s_add_i32 s73, s73, 1
	s_cmp_eq_u32 s73, 64
	s_cbranch_scc1 .LBB48_60
.LBB48_5:                               ;   Parent Loop BB48_3 Depth=1
                                        ; =>  This Loop Header: Depth=2
                                        ;       Child Loop BB48_9 Depth 3
                                        ;         Child Loop BB48_13 Depth 4
                                        ;         Child Loop BB48_43 Depth 4
	;; [unrolled: 1-line block ×3, first 2 shown]
	v_lshl_add_u32 v10, s73, 4, v28
	v_cmp_gt_i32_e32 vcc, s35, v10
	s_and_saveexec_b64 s[46:47], vcc
	s_cbranch_execz .LBB48_4
; %bb.6:                                ;   in Loop: Header=BB48_5 Depth=2
	v_ashrrev_i32_e32 v11, 31, v10
	v_lshlrev_b64 v[0:1], 2, v[10:11]
	v_mov_b32_e32 v3, s25
	v_add_co_u32_e32 v2, vcc, s24, v0
	v_addc_co_u32_e32 v3, vcc, v3, v1, vcc
	global_load_dword v4, v[2:3], off
	v_mov_b32_e32 v3, s27
	v_add_co_u32_e32 v2, vcc, s26, v0
	v_addc_co_u32_e32 v3, vcc, v3, v1, vcc
	global_load_dword v2, v[2:3], off
	s_waitcnt vmcnt(1)
	v_add_u32_e32 v12, v29, v4
	s_waitcnt vmcnt(0)
	v_subrev_u32_e32 v11, s68, v2
	v_cmp_lt_i32_e32 vcc, v12, v11
	s_and_b64 exec, exec, vcc
	s_cbranch_execz .LBB48_4
; %bb.7:                                ;   in Loop: Header=BB48_5 Depth=2
	v_mov_b32_e32 v3, s19
	v_add_co_u32_e32 v2, vcc, s18, v0
	v_addc_co_u32_e32 v3, vcc, v3, v1, vcc
	v_mov_b32_e32 v4, s17
	v_add_co_u32_e32 v0, vcc, s16, v0
	v_addc_co_u32_e32 v1, vcc, v4, v1, vcc
	global_load_dword v0, v[0:1], off
	s_nop 0
	global_load_dword v1, v[2:3], off
	v_mov_b32_e32 v4, s21
	v_mov_b32_e32 v5, s23
	s_mov_b64 s[48:49], 0
	s_waitcnt vmcnt(1)
	v_subrev_u32_e32 v14, s69, v0
	v_ashrrev_i32_e32 v15, 31, v14
	s_waitcnt vmcnt(0)
	v_sub_u32_e32 v34, v1, v0
	v_lshlrev_b64 v[0:1], 2, v[14:15]
	v_lshlrev_b64 v[2:3], 4, v[14:15]
	v_add_co_u32_e32 v15, vcc, s20, v0
	v_addc_co_u32_e32 v35, vcc, v4, v1, vcc
	v_add_co_u32_e32 v36, vcc, s22, v2
	v_cmp_lt_i32_e64 s[4:5], 0, v34
	v_addc_co_u32_e32 v37, vcc, v5, v3, vcc
	s_branch .LBB48_9
.LBB48_8:                               ;   in Loop: Header=BB48_9 Depth=3
	s_or_b64 exec, exec, s[50:51]
	v_add_u32_e32 v12, 64, v12
	v_cmp_ge_i32_e32 vcc, v12, v11
	s_or_b64 s[48:49], vcc, s[48:49]
	s_andn2_b64 exec, exec, s[48:49]
	s_cbranch_execz .LBB48_4
.LBB48_9:                               ;   Parent Loop BB48_3 Depth=1
                                        ;     Parent Loop BB48_5 Depth=2
                                        ; =>    This Loop Header: Depth=3
                                        ;         Child Loop BB48_13 Depth 4
                                        ;         Child Loop BB48_43 Depth 4
	;; [unrolled: 1-line block ×3, first 2 shown]
	v_ashrrev_i32_e32 v13, 31, v12
	v_lshlrev_b64 v[0:1], 2, v[12:13]
	v_mov_b32_e32 v2, s29
	v_add_co_u32_e32 v0, vcc, s28, v0
	v_addc_co_u32_e32 v1, vcc, v2, v1, vcc
	global_load_dword v0, v[0:1], off
	v_mov_b32_e32 v3, s9
	v_mov_b32_e32 v4, s11
	;; [unrolled: 1-line block ×4, first 2 shown]
	s_waitcnt vmcnt(0)
	v_subrev_u32_e32 v16, s68, v0
	v_ashrrev_i32_e32 v17, 31, v16
	v_lshlrev_b64 v[0:1], 2, v[16:17]
	v_add_co_u32_e32 v2, vcc, s8, v0
	v_addc_co_u32_e32 v3, vcc, v3, v1, vcc
	v_add_co_u32_e32 v0, vcc, s10, v0
	v_addc_co_u32_e32 v1, vcc, v4, v1, vcc
	global_load_dword v4, v[2:3], off
	global_load_dword v5, v[0:1], off
	v_pk_mov_b32 v[0:1], 0, 0
	v_pk_mov_b32 v[2:3], v[0:1], v[0:1] op_sel:[0,1]
	s_waitcnt vmcnt(1)
	v_subrev_u32_e32 v18, s70, v4
	s_waitcnt vmcnt(0)
	v_sub_u32_e32 v38, v5, v4
	s_and_saveexec_b64 s[6:7], s[4:5]
	s_cbranch_execz .LBB48_17
; %bb.10:                               ;   in Loop: Header=BB48_9 Depth=3
	v_ashrrev_i32_e32 v19, 31, v18
	v_lshlrev_b64 v[0:1], 2, v[18:19]
	v_mov_b32_e32 v2, s13
	v_add_co_u32_e32 v4, vcc, s12, v0
	v_addc_co_u32_e32 v5, vcc, v2, v1, vcc
	v_lshlrev_b64 v[0:1], 4, v[18:19]
	v_mov_b32_e32 v2, s15
	v_add_co_u32_e32 v6, vcc, s14, v0
	v_addc_co_u32_e32 v7, vcc, v2, v1, vcc
	v_mov_b32_e32 v20, 0
	v_pk_mov_b32 v[0:1], 0, 0
	s_mov_b64 s[50:51], 0
	v_mov_b32_e32 v8, v20
	v_pk_mov_b32 v[2:3], v[0:1], v[0:1] op_sel:[0,1]
                                        ; implicit-def: $sgpr52_sgpr53
	s_branch .LBB48_13
.LBB48_11:                              ;   in Loop: Header=BB48_13 Depth=4
	s_or_b64 exec, exec, s[56:57]
	v_cmp_le_i32_e32 vcc, v19, v22
	v_addc_co_u32_e32 v8, vcc, 0, v8, vcc
	v_cmp_ge_i32_e32 vcc, v19, v22
	v_addc_co_u32_e32 v20, vcc, 0, v20, vcc
	v_cmp_ge_i32_e32 vcc, v8, v34
	s_andn2_b64 s[52:53], s[52:53], exec
	s_and_b64 s[56:57], vcc, exec
	s_or_b64 s[52:53], s[52:53], s[56:57]
.LBB48_12:                              ;   in Loop: Header=BB48_13 Depth=4
	s_or_b64 exec, exec, s[54:55]
	s_and_b64 s[54:55], exec, s[52:53]
	s_or_b64 s[50:51], s[54:55], s[50:51]
	s_andn2_b64 exec, exec, s[50:51]
	s_cbranch_execz .LBB48_16
.LBB48_13:                              ;   Parent Loop BB48_3 Depth=1
                                        ;     Parent Loop BB48_5 Depth=2
                                        ;       Parent Loop BB48_9 Depth=3
                                        ; =>      This Inner Loop Header: Depth=4
	v_cmp_lt_i32_e32 vcc, v20, v38
	s_or_b64 s[52:53], s[52:53], exec
	s_and_saveexec_b64 s[54:55], vcc
	s_cbranch_execz .LBB48_12
; %bb.14:                               ;   in Loop: Header=BB48_13 Depth=4
	v_lshlrev_b64 v[22:23], 2, v[8:9]
	v_add_co_u32_e32 v22, vcc, v15, v22
	v_addc_co_u32_e32 v23, vcc, v35, v23, vcc
	v_mov_b32_e32 v21, v9
	global_load_dword v19, v[22:23], off
	v_lshlrev_b64 v[22:23], 2, v[20:21]
	v_add_co_u32_e32 v22, vcc, v4, v22
	v_addc_co_u32_e32 v23, vcc, v5, v23, vcc
	global_load_dword v22, v[22:23], off
	s_waitcnt vmcnt(1)
	v_subrev_u32_e32 v19, s69, v19
	s_waitcnt vmcnt(0)
	v_subrev_u32_e32 v22, s70, v22
	v_cmp_eq_u32_e32 vcc, v19, v22
	s_and_saveexec_b64 s[56:57], vcc
	s_cbranch_execz .LBB48_11
; %bb.15:                               ;   in Loop: Header=BB48_13 Depth=4
	v_lshlrev_b64 v[24:25], 4, v[8:9]
	v_add_co_u32_e32 v24, vcc, v36, v24
	v_addc_co_u32_e32 v25, vcc, v37, v25, vcc
	v_lshlrev_b64 v[40:41], 4, v[20:21]
	v_add_co_u32_e32 v40, vcc, v6, v40
	v_addc_co_u32_e32 v41, vcc, v7, v41, vcc
	global_load_dwordx4 v[24:27], v[24:25], off
	s_nop 0
	global_load_dwordx4 v[40:43], v[40:41], off
	s_waitcnt vmcnt(0)
	v_fmac_f64_e32 v[0:1], v[24:25], v[40:41]
	v_fmac_f64_e32 v[2:3], v[26:27], v[40:41]
	v_fma_f64 v[0:1], -v[26:27], v[42:43], v[0:1]
	v_fmac_f64_e32 v[2:3], v[24:25], v[42:43]
	s_branch .LBB48_11
.LBB48_16:                              ;   in Loop: Header=BB48_9 Depth=3
	s_or_b64 exec, exec, s[50:51]
.LBB48_17:                              ;   in Loop: Header=BB48_9 Depth=3
	s_or_b64 exec, exec, s[6:7]
	v_lshlrev_b64 v[4:5], 4, v[12:13]
	v_mov_b32_e32 v6, s31
	v_add_co_u32_e32 v4, vcc, s30, v4
	v_addc_co_u32_e32 v5, vcc, v6, v5, vcc
	global_load_dwordx4 v[4:7], v[4:5], off
	v_cmp_le_i32_e64 s[6:7], v10, v16
	v_cmp_gt_i32_e32 vcc, v10, v16
	s_waitcnt vmcnt(0)
	v_add_f64 v[0:1], v[4:5], -v[0:1]
	v_add_f64 v[2:3], v[6:7], -v[2:3]
	s_and_saveexec_b64 s[50:51], vcc
	s_cbranch_execz .LBB48_27
; %bb.18:                               ;   in Loop: Header=BB48_9 Depth=3
	v_lshlrev_b64 v[4:5], 4, v[16:17]
	v_mov_b32_e32 v6, s37
	v_add_co_u32_e32 v4, vcc, s36, v4
	v_addc_co_u32_e32 v5, vcc, v6, v5, vcc
	global_load_dwordx4 v[4:7], v[4:5], off
                                        ; implicit-def: $vgpr26_vgpr27
	s_waitcnt vmcnt(0)
	v_xor_b32_e32 v13, 0x80000000, v5
	v_cmp_gt_f64_e32 vcc, 0, v[4:5]
	v_xor_b32_e32 v19, 0x80000000, v7
	v_cndmask_b32_e32 v23, v5, v13, vcc
	v_cmp_gt_f64_e32 vcc, 0, v[6:7]
	v_mov_b32_e32 v22, v4
	v_cndmask_b32_e32 v25, v7, v19, vcc
	v_mov_b32_e32 v24, v6
	v_cmp_ngt_f64_e32 vcc, v[22:23], v[24:25]
	s_and_saveexec_b64 s[52:53], vcc
	s_xor_b64 s[52:53], exec, s[52:53]
	s_cbranch_execz .LBB48_22
; %bb.19:                               ;   in Loop: Header=BB48_9 Depth=3
	v_cmp_neq_f64_e32 vcc, 0, v[6:7]
	v_pk_mov_b32 v[26:27], 0, 0
	s_and_saveexec_b64 s[54:55], vcc
	s_cbranch_execz .LBB48_21
; %bb.20:                               ;   in Loop: Header=BB48_9 Depth=3
	v_div_scale_f64 v[26:27], s[56:57], v[24:25], v[24:25], v[22:23]
	v_rcp_f64_e32 v[40:41], v[26:27]
	v_div_scale_f64 v[42:43], vcc, v[22:23], v[24:25], v[22:23]
	v_fma_f64 v[44:45], -v[26:27], v[40:41], 1.0
	v_fmac_f64_e32 v[40:41], v[40:41], v[44:45]
	v_fma_f64 v[44:45], -v[26:27], v[40:41], 1.0
	v_fmac_f64_e32 v[40:41], v[40:41], v[44:45]
	v_mul_f64 v[44:45], v[42:43], v[40:41]
	v_fma_f64 v[26:27], -v[26:27], v[44:45], v[42:43]
	v_div_fmas_f64 v[26:27], v[26:27], v[40:41], v[44:45]
	v_div_fixup_f64 v[22:23], v[26:27], v[24:25], v[22:23]
	v_fma_f64 v[22:23], v[22:23], v[22:23], 1.0
	v_cmp_gt_f64_e32 vcc, s[44:45], v[22:23]
	v_cndmask_b32_e64 v13, 0, 1, vcc
	v_lshlrev_b32_e32 v13, 8, v13
	v_ldexp_f64 v[22:23], v[22:23], v13
	v_rsq_f64_e32 v[26:27], v[22:23]
	v_cndmask_b32_e32 v13, 0, v33, vcc
	v_cmp_class_f64_e32 vcc, v[22:23], v32
	v_mul_f64 v[40:41], v[22:23], v[26:27]
	v_mul_f64 v[26:27], v[26:27], 0.5
	v_fma_f64 v[42:43], -v[26:27], v[40:41], 0.5
	v_fmac_f64_e32 v[40:41], v[40:41], v[42:43]
	v_fma_f64 v[44:45], -v[40:41], v[40:41], v[22:23]
	v_fmac_f64_e32 v[26:27], v[26:27], v[42:43]
	v_fmac_f64_e32 v[40:41], v[44:45], v[26:27]
	v_fma_f64 v[42:43], -v[40:41], v[40:41], v[22:23]
	v_fmac_f64_e32 v[40:41], v[42:43], v[26:27]
	v_ldexp_f64 v[26:27], v[40:41], v13
	v_cndmask_b32_e32 v23, v27, v23, vcc
	v_cndmask_b32_e32 v22, v26, v22, vcc
	v_mul_f64 v[26:27], v[24:25], v[22:23]
.LBB48_21:                              ;   in Loop: Header=BB48_9 Depth=3
	s_or_b64 exec, exec, s[54:55]
                                        ; implicit-def: $vgpr22_vgpr23
                                        ; implicit-def: $vgpr24_vgpr25
.LBB48_22:                              ;   in Loop: Header=BB48_9 Depth=3
	s_andn2_saveexec_b64 s[52:53], s[52:53]
	s_cbranch_execz .LBB48_24
; %bb.23:                               ;   in Loop: Header=BB48_9 Depth=3
	v_div_scale_f64 v[26:27], s[54:55], v[22:23], v[22:23], v[24:25]
	v_rcp_f64_e32 v[40:41], v[26:27]
	v_div_scale_f64 v[42:43], vcc, v[24:25], v[22:23], v[24:25]
	v_fma_f64 v[44:45], -v[26:27], v[40:41], 1.0
	v_fmac_f64_e32 v[40:41], v[40:41], v[44:45]
	v_fma_f64 v[44:45], -v[26:27], v[40:41], 1.0
	v_fmac_f64_e32 v[40:41], v[40:41], v[44:45]
	v_mul_f64 v[44:45], v[42:43], v[40:41]
	v_fma_f64 v[26:27], -v[26:27], v[44:45], v[42:43]
	v_div_fmas_f64 v[26:27], v[26:27], v[40:41], v[44:45]
	v_div_fixup_f64 v[24:25], v[26:27], v[22:23], v[24:25]
	v_fma_f64 v[24:25], v[24:25], v[24:25], 1.0
	v_cmp_gt_f64_e32 vcc, s[44:45], v[24:25]
	v_cndmask_b32_e64 v13, 0, 1, vcc
	v_lshlrev_b32_e32 v13, 8, v13
	v_ldexp_f64 v[24:25], v[24:25], v13
	v_rsq_f64_e32 v[26:27], v[24:25]
	v_cndmask_b32_e32 v13, 0, v33, vcc
	v_cmp_class_f64_e32 vcc, v[24:25], v32
	v_mul_f64 v[40:41], v[24:25], v[26:27]
	v_mul_f64 v[26:27], v[26:27], 0.5
	v_fma_f64 v[42:43], -v[26:27], v[40:41], 0.5
	v_fmac_f64_e32 v[40:41], v[40:41], v[42:43]
	v_fma_f64 v[44:45], -v[40:41], v[40:41], v[24:25]
	v_fmac_f64_e32 v[26:27], v[26:27], v[42:43]
	v_fmac_f64_e32 v[40:41], v[44:45], v[26:27]
	v_fma_f64 v[42:43], -v[40:41], v[40:41], v[24:25]
	v_fmac_f64_e32 v[40:41], v[42:43], v[26:27]
	v_ldexp_f64 v[26:27], v[40:41], v13
	v_cndmask_b32_e32 v25, v27, v25, vcc
	v_cndmask_b32_e32 v24, v26, v24, vcc
	v_mul_f64 v[26:27], v[22:23], v[24:25]
.LBB48_24:                              ;   in Loop: Header=BB48_9 Depth=3
	s_or_b64 exec, exec, s[52:53]
	v_pk_mov_b32 v[22:23], 0, 0
	v_cmp_lt_f64_e32 vcc, 0, v[26:27]
	v_pk_mov_b32 v[24:25], v[22:23], v[22:23] op_sel:[0,1]
	s_and_saveexec_b64 s[52:53], vcc
	s_cbranch_execz .LBB48_26
; %bb.25:                               ;   in Loop: Header=BB48_9 Depth=3
	v_mul_f64 v[22:23], v[6:7], v[6:7]
	v_fmac_f64_e32 v[22:23], v[4:5], v[4:5]
	v_div_scale_f64 v[24:25], s[54:55], v[22:23], v[22:23], 1.0
	v_rcp_f64_e32 v[26:27], v[24:25]
	v_div_scale_f64 v[40:41], vcc, 1.0, v[22:23], 1.0
	v_fma_f64 v[42:43], -v[24:25], v[26:27], 1.0
	v_fmac_f64_e32 v[26:27], v[26:27], v[42:43]
	v_fma_f64 v[42:43], -v[24:25], v[26:27], 1.0
	v_fmac_f64_e32 v[26:27], v[26:27], v[42:43]
	v_mul_f64 v[42:43], v[40:41], v[26:27]
	v_fma_f64 v[24:25], -v[24:25], v[42:43], v[40:41]
	v_div_fmas_f64 v[24:25], v[24:25], v[26:27], v[42:43]
	v_div_fixup_f64 v[24:25], v[24:25], v[22:23], 1.0
	v_mul_f64 v[22:23], v[2:3], v[6:7]
	v_fmac_f64_e32 v[22:23], v[0:1], v[4:5]
	v_mul_f64 v[0:1], v[6:7], -v[0:1]
	v_fmac_f64_e32 v[0:1], v[2:3], v[4:5]
	v_mul_f64 v[22:23], v[22:23], v[24:25]
	v_mul_f64 v[24:25], v[0:1], v[24:25]
.LBB48_26:                              ;   in Loop: Header=BB48_9 Depth=3
	s_or_b64 exec, exec, s[52:53]
	v_pk_mov_b32 v[0:1], v[22:23], v[22:23] op_sel:[0,1]
	v_pk_mov_b32 v[2:3], v[24:25], v[24:25] op_sel:[0,1]
.LBB48_27:                              ;   in Loop: Header=BB48_9 Depth=3
	s_or_b64 exec, exec, s[50:51]
	v_xor_b32_e32 v4, 0x80000000, v1
	v_cmp_gt_f64_e32 vcc, 0, v[0:1]
	v_cndmask_b32_e32 v5, v1, v4, vcc
	v_cndmask_b32_e32 v4, v0, v0, vcc
	v_xor_b32_e32 v6, 0x80000000, v3
	v_cmp_gt_f64_e32 vcc, 0, v[2:3]
	v_cndmask_b32_e32 v7, v3, v6, vcc
	v_cndmask_b32_e32 v6, v2, v2, vcc
	v_cmp_ngt_f64_e32 vcc, v[4:5], v[6:7]
                                        ; implicit-def: $vgpr22_vgpr23
	s_and_saveexec_b64 s[50:51], vcc
	s_xor_b64 s[50:51], exec, s[50:51]
	s_cbranch_execnz .LBB48_30
; %bb.28:                               ;   in Loop: Header=BB48_9 Depth=3
	s_andn2_saveexec_b64 s[50:51], s[50:51]
	s_cbranch_execnz .LBB48_33
.LBB48_29:                              ;   in Loop: Header=BB48_9 Depth=3
	s_or_b64 exec, exec, s[50:51]
	v_cmp_class_f64_e64 s[52:53], v[22:23], s72
	s_and_saveexec_b64 s[50:51], s[52:53]
	s_cbranch_execz .LBB48_8
	s_branch .LBB48_34
.LBB48_30:                              ;   in Loop: Header=BB48_9 Depth=3
	v_cmp_neq_f64_e32 vcc, 0, v[2:3]
	v_pk_mov_b32 v[22:23], 0, 0
	s_and_saveexec_b64 s[52:53], vcc
	s_cbranch_execz .LBB48_32
; %bb.31:                               ;   in Loop: Header=BB48_9 Depth=3
	v_div_scale_f64 v[22:23], s[54:55], v[6:7], v[6:7], v[4:5]
	v_rcp_f64_e32 v[24:25], v[22:23]
	v_div_scale_f64 v[26:27], vcc, v[4:5], v[6:7], v[4:5]
	v_fma_f64 v[40:41], -v[22:23], v[24:25], 1.0
	v_fmac_f64_e32 v[24:25], v[24:25], v[40:41]
	v_fma_f64 v[40:41], -v[22:23], v[24:25], 1.0
	v_fmac_f64_e32 v[24:25], v[24:25], v[40:41]
	v_mul_f64 v[40:41], v[26:27], v[24:25]
	v_fma_f64 v[22:23], -v[22:23], v[40:41], v[26:27]
	v_div_fmas_f64 v[22:23], v[22:23], v[24:25], v[40:41]
	v_div_fixup_f64 v[4:5], v[22:23], v[6:7], v[4:5]
	v_fma_f64 v[4:5], v[4:5], v[4:5], 1.0
	v_cmp_gt_f64_e32 vcc, s[44:45], v[4:5]
	v_cndmask_b32_e64 v13, 0, 1, vcc
	v_lshlrev_b32_e32 v13, 8, v13
	v_ldexp_f64 v[4:5], v[4:5], v13
	v_rsq_f64_e32 v[22:23], v[4:5]
	v_cndmask_b32_e32 v13, 0, v33, vcc
	v_cmp_class_f64_e32 vcc, v[4:5], v32
	v_mul_f64 v[24:25], v[4:5], v[22:23]
	v_mul_f64 v[22:23], v[22:23], 0.5
	v_fma_f64 v[26:27], -v[22:23], v[24:25], 0.5
	v_fmac_f64_e32 v[24:25], v[24:25], v[26:27]
	v_fma_f64 v[40:41], -v[24:25], v[24:25], v[4:5]
	v_fmac_f64_e32 v[22:23], v[22:23], v[26:27]
	v_fmac_f64_e32 v[24:25], v[40:41], v[22:23]
	v_fma_f64 v[26:27], -v[24:25], v[24:25], v[4:5]
	v_fmac_f64_e32 v[24:25], v[26:27], v[22:23]
	v_ldexp_f64 v[22:23], v[24:25], v13
	v_cndmask_b32_e32 v5, v23, v5, vcc
	v_cndmask_b32_e32 v4, v22, v4, vcc
	v_mul_f64 v[22:23], v[6:7], v[4:5]
.LBB48_32:                              ;   in Loop: Header=BB48_9 Depth=3
	s_or_b64 exec, exec, s[52:53]
                                        ; implicit-def: $vgpr4_vgpr5
                                        ; implicit-def: $vgpr6_vgpr7
	s_andn2_saveexec_b64 s[50:51], s[50:51]
	s_cbranch_execz .LBB48_29
.LBB48_33:                              ;   in Loop: Header=BB48_9 Depth=3
	v_div_scale_f64 v[22:23], s[52:53], v[4:5], v[4:5], v[6:7]
	v_rcp_f64_e32 v[24:25], v[22:23]
	v_div_scale_f64 v[26:27], vcc, v[6:7], v[4:5], v[6:7]
	v_fma_f64 v[40:41], -v[22:23], v[24:25], 1.0
	v_fmac_f64_e32 v[24:25], v[24:25], v[40:41]
	v_fma_f64 v[40:41], -v[22:23], v[24:25], 1.0
	v_fmac_f64_e32 v[24:25], v[24:25], v[40:41]
	v_mul_f64 v[40:41], v[26:27], v[24:25]
	v_fma_f64 v[22:23], -v[22:23], v[40:41], v[26:27]
	v_div_fmas_f64 v[22:23], v[22:23], v[24:25], v[40:41]
	v_div_fixup_f64 v[6:7], v[22:23], v[4:5], v[6:7]
	v_fma_f64 v[6:7], v[6:7], v[6:7], 1.0
	v_cmp_gt_f64_e32 vcc, s[44:45], v[6:7]
	v_cndmask_b32_e64 v13, 0, 1, vcc
	v_lshlrev_b32_e32 v13, 8, v13
	v_ldexp_f64 v[6:7], v[6:7], v13
	v_rsq_f64_e32 v[22:23], v[6:7]
	v_cndmask_b32_e32 v13, 0, v33, vcc
	v_cmp_class_f64_e32 vcc, v[6:7], v32
	v_mul_f64 v[24:25], v[6:7], v[22:23]
	v_mul_f64 v[22:23], v[22:23], 0.5
	v_fma_f64 v[26:27], -v[22:23], v[24:25], 0.5
	v_fmac_f64_e32 v[24:25], v[24:25], v[26:27]
	v_fma_f64 v[40:41], -v[24:25], v[24:25], v[6:7]
	v_fmac_f64_e32 v[22:23], v[22:23], v[26:27]
	v_fmac_f64_e32 v[24:25], v[40:41], v[22:23]
	v_fma_f64 v[26:27], -v[24:25], v[24:25], v[6:7]
	v_fmac_f64_e32 v[24:25], v[26:27], v[22:23]
	v_ldexp_f64 v[22:23], v[24:25], v13
	v_cndmask_b32_e32 v7, v23, v7, vcc
	v_cndmask_b32_e32 v6, v22, v6, vcc
	v_mul_f64 v[22:23], v[4:5], v[6:7]
	s_or_b64 exec, exec, s[50:51]
	v_cmp_class_f64_e64 s[52:53], v[22:23], s72
	s_and_saveexec_b64 s[50:51], s[52:53]
	s_cbranch_execz .LBB48_8
.LBB48_34:                              ;   in Loop: Header=BB48_9 Depth=3
	s_mov_b64 s[52:53], 0
                                        ; implicit-def: $vgpr4_vgpr5
	s_and_saveexec_b64 s[54:55], s[6:7]
	s_xor_b64 s[6:7], exec, s[54:55]
	s_cbranch_execnz .LBB48_37
; %bb.35:                               ;   in Loop: Header=BB48_9 Depth=3
	s_andn2_saveexec_b64 s[6:7], s[6:7]
	s_cbranch_execnz .LBB48_50
.LBB48_36:                              ;   in Loop: Header=BB48_9 Depth=3
	s_or_b64 exec, exec, s[6:7]
	s_and_b64 exec, exec, s[52:53]
	s_cbranch_execz .LBB48_8
	s_branch .LBB48_59
.LBB48_37:                              ;   in Loop: Header=BB48_9 Depth=3
	v_cmp_ge_i32_e32 vcc, v10, v16
                                        ; implicit-def: $vgpr4_vgpr5
	s_and_saveexec_b64 s[54:55], vcc
	s_xor_b64 s[54:55], exec, s[54:55]
; %bb.38:                               ;   in Loop: Header=BB48_9 Depth=3
	v_lshlrev_b64 v[4:5], 4, v[16:17]
	v_mov_b32_e32 v6, s39
	v_add_co_u32_e32 v4, vcc, s38, v4
	s_mov_b64 s[52:53], exec
	v_addc_co_u32_e32 v5, vcc, v6, v5, vcc
                                        ; implicit-def: $vgpr20
                                        ; implicit-def: $vgpr38
                                        ; implicit-def: $vgpr18
; %bb.39:                               ;   in Loop: Header=BB48_9 Depth=3
	s_andn2_saveexec_b64 s[54:55], s[54:55]
	s_cbranch_execz .LBB48_49
; %bb.40:                               ;   in Loop: Header=BB48_9 Depth=3
	v_cmp_lt_i32_e32 vcc, v20, v38
	s_mov_b64 s[58:59], s[52:53]
                                        ; implicit-def: $vgpr4_vgpr5
	s_and_saveexec_b64 s[56:57], vcc
	s_cbranch_execz .LBB48_48
; %bb.41:                               ;   in Loop: Header=BB48_9 Depth=3
	s_mov_b64 s[60:61], 0
                                        ; implicit-def: $sgpr58_sgpr59
                                        ; implicit-def: $sgpr64_sgpr65
                                        ; implicit-def: $sgpr62_sgpr63
	s_branch .LBB48_43
.LBB48_42:                              ;   in Loop: Header=BB48_43 Depth=4
	s_or_b64 exec, exec, s[66:67]
	s_and_b64 s[66:67], exec, s[64:65]
	s_or_b64 s[60:61], s[66:67], s[60:61]
	s_andn2_b64 s[58:59], s[58:59], exec
	s_and_b64 s[66:67], s[62:63], exec
	s_or_b64 s[58:59], s[58:59], s[66:67]
	s_andn2_b64 exec, exec, s[60:61]
	s_cbranch_execz .LBB48_45
.LBB48_43:                              ;   Parent Loop BB48_3 Depth=1
                                        ;     Parent Loop BB48_5 Depth=2
                                        ;       Parent Loop BB48_9 Depth=3
                                        ; =>      This Inner Loop Header: Depth=4
	v_add_u32_e32 v6, v18, v20
	v_ashrrev_i32_e32 v7, 31, v6
	v_lshlrev_b64 v[4:5], 2, v[6:7]
	v_mov_b32_e32 v8, s13
	v_add_co_u32_e32 v4, vcc, s12, v4
	v_addc_co_u32_e32 v5, vcc, v8, v5, vcc
	global_load_dword v4, v[4:5], off
	s_or_b64 s[62:63], s[62:63], exec
	s_or_b64 s[64:65], s[64:65], exec
	s_waitcnt vmcnt(0)
	v_subrev_u32_e32 v4, s70, v4
	v_cmp_ne_u32_e32 vcc, v4, v10
	s_and_saveexec_b64 s[66:67], vcc
	s_cbranch_execz .LBB48_42
; %bb.44:                               ;   in Loop: Header=BB48_43 Depth=4
	v_add_u32_e32 v20, 1, v20
	v_cmp_ge_i32_e32 vcc, v20, v38
	s_andn2_b64 s[64:65], s[64:65], exec
	s_and_b64 s[74:75], vcc, exec
	s_andn2_b64 s[62:63], s[62:63], exec
	s_or_b64 s[64:65], s[64:65], s[74:75]
	s_branch .LBB48_42
.LBB48_45:                              ;   in Loop: Header=BB48_9 Depth=3
	s_or_b64 exec, exec, s[60:61]
	s_mov_b64 s[60:61], s[52:53]
                                        ; implicit-def: $vgpr4_vgpr5
	s_and_saveexec_b64 s[62:63], s[58:59]
	s_xor_b64 s[58:59], exec, s[62:63]
; %bb.46:                               ;   in Loop: Header=BB48_9 Depth=3
	v_lshlrev_b64 v[4:5], 4, v[6:7]
	v_mov_b32_e32 v6, s43
	v_add_co_u32_e32 v4, vcc, s42, v4
	v_addc_co_u32_e32 v5, vcc, v6, v5, vcc
	s_or_b64 s[60:61], s[52:53], exec
; %bb.47:                               ;   in Loop: Header=BB48_9 Depth=3
	s_or_b64 exec, exec, s[58:59]
	s_andn2_b64 s[58:59], s[52:53], exec
	s_and_b64 s[60:61], s[60:61], exec
	s_or_b64 s[58:59], s[58:59], s[60:61]
.LBB48_48:                              ;   in Loop: Header=BB48_9 Depth=3
	s_or_b64 exec, exec, s[56:57]
	s_andn2_b64 s[52:53], s[52:53], exec
	s_and_b64 s[56:57], s[58:59], exec
	s_or_b64 s[52:53], s[52:53], s[56:57]
.LBB48_49:                              ;   in Loop: Header=BB48_9 Depth=3
	s_or_b64 exec, exec, s[54:55]
	s_and_b64 s[52:53], s[52:53], exec
                                        ; implicit-def: $vgpr16_vgpr17
	s_andn2_saveexec_b64 s[6:7], s[6:7]
	s_cbranch_execz .LBB48_36
.LBB48_50:                              ;   in Loop: Header=BB48_9 Depth=3
	v_cmp_lt_i32_e32 vcc, v8, v34
	s_mov_b64 s[56:57], s[52:53]
                                        ; implicit-def: $vgpr4_vgpr5
	s_and_saveexec_b64 s[54:55], vcc
	s_cbranch_execz .LBB48_58
; %bb.51:                               ;   in Loop: Header=BB48_9 Depth=3
	s_mov_b64 s[58:59], 0
                                        ; implicit-def: $sgpr56_sgpr57
                                        ; implicit-def: $sgpr62_sgpr63
                                        ; implicit-def: $sgpr60_sgpr61
	s_branch .LBB48_53
.LBB48_52:                              ;   in Loop: Header=BB48_53 Depth=4
	s_or_b64 exec, exec, s[64:65]
	s_and_b64 s[64:65], exec, s[62:63]
	s_or_b64 s[58:59], s[64:65], s[58:59]
	s_andn2_b64 s[56:57], s[56:57], exec
	s_and_b64 s[64:65], s[60:61], exec
	s_or_b64 s[56:57], s[56:57], s[64:65]
	s_andn2_b64 exec, exec, s[58:59]
	s_cbranch_execz .LBB48_55
.LBB48_53:                              ;   Parent Loop BB48_3 Depth=1
                                        ;     Parent Loop BB48_5 Depth=2
                                        ;       Parent Loop BB48_9 Depth=3
                                        ; =>      This Inner Loop Header: Depth=4
	v_add_u32_e32 v6, v14, v8
	v_ashrrev_i32_e32 v7, 31, v6
	v_lshlrev_b64 v[4:5], 2, v[6:7]
	v_mov_b32_e32 v13, s21
	v_add_co_u32_e32 v4, vcc, s20, v4
	v_addc_co_u32_e32 v5, vcc, v13, v5, vcc
	global_load_dword v4, v[4:5], off
	s_or_b64 s[60:61], s[60:61], exec
	s_or_b64 s[62:63], s[62:63], exec
	s_waitcnt vmcnt(0)
	v_subrev_u32_e32 v4, s69, v4
	v_cmp_ne_u32_e32 vcc, v4, v16
	s_and_saveexec_b64 s[64:65], vcc
	s_cbranch_execz .LBB48_52
; %bb.54:                               ;   in Loop: Header=BB48_53 Depth=4
	v_add_u32_e32 v8, 1, v8
	v_cmp_ge_i32_e32 vcc, v8, v34
	s_andn2_b64 s[62:63], s[62:63], exec
	s_and_b64 s[66:67], vcc, exec
	s_andn2_b64 s[60:61], s[60:61], exec
	s_or_b64 s[62:63], s[62:63], s[66:67]
	s_branch .LBB48_52
.LBB48_55:                              ;   in Loop: Header=BB48_9 Depth=3
	s_or_b64 exec, exec, s[58:59]
	s_mov_b64 s[58:59], s[52:53]
                                        ; implicit-def: $vgpr4_vgpr5
	s_and_saveexec_b64 s[60:61], s[56:57]
	s_xor_b64 s[56:57], exec, s[60:61]
; %bb.56:                               ;   in Loop: Header=BB48_9 Depth=3
	v_lshlrev_b64 v[4:5], 4, v[6:7]
	v_mov_b32_e32 v6, s41
	v_add_co_u32_e32 v4, vcc, s40, v4
	v_addc_co_u32_e32 v5, vcc, v6, v5, vcc
	s_or_b64 s[58:59], s[52:53], exec
; %bb.57:                               ;   in Loop: Header=BB48_9 Depth=3
	s_or_b64 exec, exec, s[56:57]
	s_andn2_b64 s[56:57], s[52:53], exec
	s_and_b64 s[58:59], s[58:59], exec
	s_or_b64 s[56:57], s[56:57], s[58:59]
.LBB48_58:                              ;   in Loop: Header=BB48_9 Depth=3
	s_or_b64 exec, exec, s[54:55]
	s_andn2_b64 s[52:53], s[52:53], exec
	s_and_b64 s[54:55], s[56:57], exec
	s_or_b64 s[52:53], s[52:53], s[54:55]
	s_or_b64 exec, exec, s[6:7]
	s_and_b64 exec, exec, s[52:53]
	s_cbranch_execz .LBB48_8
.LBB48_59:                              ;   in Loop: Header=BB48_9 Depth=3
	global_store_dwordx4 v[4:5], v[0:3], off
	s_branch .LBB48_8
.LBB48_60:                              ;   in Loop: Header=BB48_3 Depth=1
	s_and_saveexec_b64 s[4:5], s[0:1]
	s_cbranch_execz .LBB48_2
; %bb.61:                               ;   in Loop: Header=BB48_3 Depth=1
	s_mov_b64 s[6:7], 0
	v_mov_b32_e32 v0, v28
	s_branch .LBB48_63
.LBB48_62:                              ;   in Loop: Header=BB48_63 Depth=2
	s_or_b64 exec, exec, s[46:47]
	v_add_u32_e32 v0, 16, v0
	v_cmp_le_u32_e32 vcc, s71, v0
	s_or_b64 s[6:7], vcc, s[6:7]
	s_andn2_b64 exec, exec, s[6:7]
	s_cbranch_execz .LBB48_2
.LBB48_63:                              ;   Parent Loop BB48_3 Depth=1
                                        ; =>  This Loop Header: Depth=2
                                        ;       Child Loop BB48_66 Depth 3
                                        ;       Child Loop BB48_69 Depth 3
	v_cmp_gt_i32_e32 vcc, s35, v0
	s_and_saveexec_b64 s[46:47], vcc
	s_cbranch_execz .LBB48_62
; %bb.64:                               ;   in Loop: Header=BB48_63 Depth=2
	v_ashrrev_i32_e32 v1, 31, v0
	v_lshlrev_b64 v[2:3], 2, v[0:1]
	v_mov_b32_e32 v5, s17
	v_add_co_u32_e32 v4, vcc, s16, v2
	v_addc_co_u32_e32 v5, vcc, v5, v3, vcc
	global_load_dword v6, v[4:5], off
	v_mov_b32_e32 v5, s19
	v_add_co_u32_e32 v4, vcc, s18, v2
	v_addc_co_u32_e32 v5, vcc, v5, v3, vcc
	global_load_dword v5, v[4:5], off
	s_waitcnt vmcnt(1)
	v_add_u32_e32 v4, v30, v6
	s_waitcnt vmcnt(0)
	v_subrev_u32_e32 v8, s69, v5
	v_cmp_lt_i32_e32 vcc, v4, v8
	s_and_saveexec_b64 s[48:49], vcc
	s_cbranch_execz .LBB48_67
; %bb.65:                               ;   in Loop: Header=BB48_63 Depth=2
	v_ashrrev_i32_e32 v5, 31, v4
	v_lshlrev_b64 v[10:11], 4, v[4:5]
	v_mov_b32_e32 v5, s23
	v_add_co_u32_e32 v6, vcc, s22, v10
	v_addc_co_u32_e32 v7, vcc, v5, v11, vcc
	v_mov_b32_e32 v5, s41
	v_add_co_u32_e32 v10, vcc, s40, v10
	v_addc_co_u32_e32 v11, vcc, v5, v11, vcc
	s_mov_b64 s[50:51], 0
.LBB48_66:                              ;   Parent Loop BB48_3 Depth=1
                                        ;     Parent Loop BB48_63 Depth=2
                                        ; =>    This Inner Loop Header: Depth=3
	global_load_dwordx4 v[12:15], v[10:11], off
	v_add_u32_e32 v4, 64, v4
	v_cmp_ge_i32_e32 vcc, v4, v8
	s_or_b64 s[50:51], vcc, s[50:51]
	s_waitcnt vmcnt(0)
	global_store_dwordx4 v[6:7], v[12:15], off
	v_add_co_u32_e32 v6, vcc, 0x400, v6
	v_addc_co_u32_e32 v7, vcc, 0, v7, vcc
	v_add_co_u32_e32 v10, vcc, 0x400, v10
	v_addc_co_u32_e32 v11, vcc, 0, v11, vcc
	s_andn2_b64 exec, exec, s[50:51]
	s_cbranch_execnz .LBB48_66
.LBB48_67:                              ;   in Loop: Header=BB48_63 Depth=2
	s_or_b64 exec, exec, s[48:49]
	v_mov_b32_e32 v5, s9
	v_add_co_u32_e32 v4, vcc, s8, v2
	v_addc_co_u32_e32 v5, vcc, v5, v3, vcc
	global_load_dword v4, v[4:5], off
	v_mov_b32_e32 v5, s11
	v_add_co_u32_e32 v2, vcc, s10, v2
	v_addc_co_u32_e32 v3, vcc, v5, v3, vcc
	global_load_dword v3, v[2:3], off
	s_waitcnt vmcnt(1)
	v_add_u32_e32 v2, v31, v4
	s_waitcnt vmcnt(0)
	v_subrev_u32_e32 v8, s70, v3
	v_cmp_lt_i32_e32 vcc, v2, v8
	s_and_saveexec_b64 s[48:49], vcc
	s_cbranch_execz .LBB48_70
; %bb.68:                               ;   in Loop: Header=BB48_63 Depth=2
	v_ashrrev_i32_e32 v3, 31, v2
	v_lshlrev_b64 v[6:7], 4, v[2:3]
	v_mov_b32_e32 v3, s15
	v_add_co_u32_e32 v4, vcc, s14, v6
	v_addc_co_u32_e32 v5, vcc, v3, v7, vcc
	v_mov_b32_e32 v3, s43
	v_add_co_u32_e32 v6, vcc, s42, v6
	v_addc_co_u32_e32 v7, vcc, v3, v7, vcc
	s_mov_b64 s[50:51], 0
.LBB48_69:                              ;   Parent Loop BB48_3 Depth=1
                                        ;     Parent Loop BB48_63 Depth=2
                                        ; =>    This Inner Loop Header: Depth=3
	global_load_dwordx4 v[10:13], v[6:7], off
	v_add_u32_e32 v2, 64, v2
	v_cmp_ge_i32_e32 vcc, v2, v8
	s_or_b64 s[50:51], vcc, s[50:51]
	s_waitcnt vmcnt(0)
	global_store_dwordx4 v[4:5], v[10:13], off
	v_add_co_u32_e32 v4, vcc, 0x400, v4
	v_addc_co_u32_e32 v5, vcc, 0, v5, vcc
	v_add_co_u32_e32 v6, vcc, 0x400, v6
	v_addc_co_u32_e32 v7, vcc, 0, v7, vcc
	s_andn2_b64 exec, exec, s[50:51]
	s_cbranch_execnz .LBB48_69
.LBB48_70:                              ;   in Loop: Header=BB48_63 Depth=2
	s_or_b64 exec, exec, s[48:49]
	s_and_b64 exec, exec, s[2:3]
	s_cbranch_execz .LBB48_62
; %bb.71:                               ;   in Loop: Header=BB48_63 Depth=2
	v_lshlrev_b64 v[6:7], 4, v[0:1]
	v_mov_b32_e32 v1, s39
	v_add_co_u32_e32 v2, vcc, s38, v6
	v_addc_co_u32_e32 v3, vcc, v1, v7, vcc
	global_load_dwordx4 v[2:5], v[2:3], off
	v_mov_b32_e32 v1, s37
	v_add_co_u32_e32 v6, vcc, s36, v6
	v_addc_co_u32_e32 v7, vcc, v1, v7, vcc
	s_waitcnt vmcnt(0)
	global_store_dwordx4 v[6:7], v[2:5], off
	s_branch .LBB48_62
.LBB48_72:
	s_endpgm
	.section	.rodata,"a",@progbits
	.p2align	6, 0x0
	.amdhsa_kernel _ZN9rocsparseL14kernel_freerunILi1024ELi64E21rocsparse_complex_numIdEiiEEvT3_S3_T2_PKS4_S6_PKS3_PKT1_21rocsparse_index_base_S6_S6_S8_PS9_SD_SC_S6_S6_S8_SD_SD_SC_SD_SD_
		.amdhsa_group_segment_fixed_size 0
		.amdhsa_private_segment_fixed_size 0
		.amdhsa_kernarg_size 168
		.amdhsa_user_sgpr_count 6
		.amdhsa_user_sgpr_private_segment_buffer 1
		.amdhsa_user_sgpr_dispatch_ptr 0
		.amdhsa_user_sgpr_queue_ptr 0
		.amdhsa_user_sgpr_kernarg_segment_ptr 1
		.amdhsa_user_sgpr_dispatch_id 0
		.amdhsa_user_sgpr_flat_scratch_init 0
		.amdhsa_user_sgpr_kernarg_preload_length 0
		.amdhsa_user_sgpr_kernarg_preload_offset 0
		.amdhsa_user_sgpr_private_segment_size 0
		.amdhsa_uses_dynamic_stack 0
		.amdhsa_system_sgpr_private_segment_wavefront_offset 0
		.amdhsa_system_sgpr_workgroup_id_x 1
		.amdhsa_system_sgpr_workgroup_id_y 0
		.amdhsa_system_sgpr_workgroup_id_z 0
		.amdhsa_system_sgpr_workgroup_info 0
		.amdhsa_system_vgpr_workitem_id 0
		.amdhsa_next_free_vgpr 46
		.amdhsa_next_free_sgpr 76
		.amdhsa_accum_offset 48
		.amdhsa_reserve_vcc 1
		.amdhsa_reserve_flat_scratch 0
		.amdhsa_float_round_mode_32 0
		.amdhsa_float_round_mode_16_64 0
		.amdhsa_float_denorm_mode_32 3
		.amdhsa_float_denorm_mode_16_64 3
		.amdhsa_dx10_clamp 1
		.amdhsa_ieee_mode 1
		.amdhsa_fp16_overflow 0
		.amdhsa_tg_split 0
		.amdhsa_exception_fp_ieee_invalid_op 0
		.amdhsa_exception_fp_denorm_src 0
		.amdhsa_exception_fp_ieee_div_zero 0
		.amdhsa_exception_fp_ieee_overflow 0
		.amdhsa_exception_fp_ieee_underflow 0
		.amdhsa_exception_fp_ieee_inexact 0
		.amdhsa_exception_int_div_zero 0
	.end_amdhsa_kernel
	.section	.text._ZN9rocsparseL14kernel_freerunILi1024ELi64E21rocsparse_complex_numIdEiiEEvT3_S3_T2_PKS4_S6_PKS3_PKT1_21rocsparse_index_base_S6_S6_S8_PS9_SD_SC_S6_S6_S8_SD_SD_SC_SD_SD_,"axG",@progbits,_ZN9rocsparseL14kernel_freerunILi1024ELi64E21rocsparse_complex_numIdEiiEEvT3_S3_T2_PKS4_S6_PKS3_PKT1_21rocsparse_index_base_S6_S6_S8_PS9_SD_SC_S6_S6_S8_SD_SD_SC_SD_SD_,comdat
.Lfunc_end48:
	.size	_ZN9rocsparseL14kernel_freerunILi1024ELi64E21rocsparse_complex_numIdEiiEEvT3_S3_T2_PKS4_S6_PKS3_PKT1_21rocsparse_index_base_S6_S6_S8_PS9_SD_SC_S6_S6_S8_SD_SD_SC_SD_SD_, .Lfunc_end48-_ZN9rocsparseL14kernel_freerunILi1024ELi64E21rocsparse_complex_numIdEiiEEvT3_S3_T2_PKS4_S6_PKS3_PKT1_21rocsparse_index_base_S6_S6_S8_PS9_SD_SC_S6_S6_S8_SD_SD_SC_SD_SD_
                                        ; -- End function
	.section	.AMDGPU.csdata,"",@progbits
; Kernel info:
; codeLenInByte = 3304
; NumSgprs: 80
; NumVgprs: 46
; NumAgprs: 0
; TotalNumVgprs: 46
; ScratchSize: 0
; MemoryBound: 1
; FloatMode: 240
; IeeeMode: 1
; LDSByteSize: 0 bytes/workgroup (compile time only)
; SGPRBlocks: 9
; VGPRBlocks: 5
; NumSGPRsForWavesPerEU: 80
; NumVGPRsForWavesPerEU: 46
; AccumOffset: 48
; Occupancy: 8
; WaveLimiterHint : 1
; COMPUTE_PGM_RSRC2:SCRATCH_EN: 0
; COMPUTE_PGM_RSRC2:USER_SGPR: 6
; COMPUTE_PGM_RSRC2:TRAP_HANDLER: 0
; COMPUTE_PGM_RSRC2:TGID_X_EN: 1
; COMPUTE_PGM_RSRC2:TGID_Y_EN: 0
; COMPUTE_PGM_RSRC2:TGID_Z_EN: 0
; COMPUTE_PGM_RSRC2:TIDIG_COMP_CNT: 0
; COMPUTE_PGM_RSRC3_GFX90A:ACCUM_OFFSET: 11
; COMPUTE_PGM_RSRC3_GFX90A:TG_SPLIT: 0
	.section	.text._ZN9rocsparseL6kernelILi1024ELi1E21rocsparse_complex_numIdEiiEEvbbbT3_PS3_NS_15floating_traitsIT1_E6data_tES3_T2_PKS9_SB_PKS3_PKS6_21rocsparse_index_base_SB_SB_SD_PS6_SH_SG_SB_SB_SD_SH_SH_SG_SH_SH_PS8_SI_PKS8_,"axG",@progbits,_ZN9rocsparseL6kernelILi1024ELi1E21rocsparse_complex_numIdEiiEEvbbbT3_PS3_NS_15floating_traitsIT1_E6data_tES3_T2_PKS9_SB_PKS3_PKS6_21rocsparse_index_base_SB_SB_SD_PS6_SH_SG_SB_SB_SD_SH_SH_SG_SH_SH_PS8_SI_PKS8_,comdat
	.globl	_ZN9rocsparseL6kernelILi1024ELi1E21rocsparse_complex_numIdEiiEEvbbbT3_PS3_NS_15floating_traitsIT1_E6data_tES3_T2_PKS9_SB_PKS3_PKS6_21rocsparse_index_base_SB_SB_SD_PS6_SH_SG_SB_SB_SD_SH_SH_SG_SH_SH_PS8_SI_PKS8_ ; -- Begin function _ZN9rocsparseL6kernelILi1024ELi1E21rocsparse_complex_numIdEiiEEvbbbT3_PS3_NS_15floating_traitsIT1_E6data_tES3_T2_PKS9_SB_PKS3_PKS6_21rocsparse_index_base_SB_SB_SD_PS6_SH_SG_SB_SB_SD_SH_SH_SG_SH_SH_PS8_SI_PKS8_
	.p2align	8
	.type	_ZN9rocsparseL6kernelILi1024ELi1E21rocsparse_complex_numIdEiiEEvbbbT3_PS3_NS_15floating_traitsIT1_E6data_tES3_T2_PKS9_SB_PKS3_PKS6_21rocsparse_index_base_SB_SB_SD_PS6_SH_SG_SB_SB_SD_SH_SH_SG_SH_SH_PS8_SI_PKS8_,@function
_ZN9rocsparseL6kernelILi1024ELi1E21rocsparse_complex_numIdEiiEEvbbbT3_PS3_NS_15floating_traitsIT1_E6data_tES3_T2_PKS9_SB_PKS3_PKS6_21rocsparse_index_base_SB_SB_SD_PS6_SH_SG_SB_SB_SD_SH_SH_SG_SH_SH_PS8_SI_PKS8_: ; @_ZN9rocsparseL6kernelILi1024ELi1E21rocsparse_complex_numIdEiiEEvbbbT3_PS3_NS_15floating_traitsIT1_E6data_tES3_T2_PKS9_SB_PKS3_PKS6_21rocsparse_index_base_SB_SB_SD_PS6_SH_SG_SB_SB_SD_SH_SH_SG_SH_SH_PS8_SI_PKS8_
; %bb.0:
	s_load_dword s0, s[4:5], 0x0
	s_load_dwordx2 s[2:3], s[4:5], 0x0
	s_load_dwordx4 s[20:23], s[4:5], 0xb8
	s_load_dwordx4 s[8:11], s[4:5], 0x8
                                        ; implicit-def: $vgpr56 : SGPR spill to VGPR lane
	s_load_dword s33, s[4:5], 0x18
	s_waitcnt lgkmcnt(0)
	s_bitcmp1_b32 s0, 0
	s_cselect_b64 s[66:67], -1, 0
	s_bitcmp1_b32 s0, 8
	v_writelane_b32 v56, s8, 0
	v_writelane_b32 v56, s9, 1
	;; [unrolled: 1-line block ×3, first 2 shown]
	s_cselect_b64 s[64:65], -1, 0
	s_bitcmp1_b32 s2, 16
	v_writelane_b32 v56, s11, 3
	s_cselect_b64 s[34:35], -1, 0
	s_lshl_b32 s85, s6, 10
	s_mov_b32 s1, s3
	v_or_b32_e32 v18, s85, v0
	v_mov_b32_e32 v6, 0
	v_writelane_b32 v56, s0, 4
	s_cmp_gt_i32 s3, 0
	v_pk_mov_b32 v[4:5], 0, 0
	v_lshlrev_b32_e32 v1, 3, v0
	s_mov_b32 s68, 0
	v_mov_b32_e32 v7, v6
	v_cmp_gt_i32_e32 vcc, s33, v18
	v_writelane_b32 v56, s1, 5
	s_cselect_b64 s[0:1], -1, 0
	s_mov_b64 s[72:73], 0
	v_pk_mov_b32 v[2:3], v[4:5], v[4:5] op_sel:[0,1]
	ds_write_b64 v1, v[6:7]
	s_waitcnt lgkmcnt(0)
	s_barrier
	s_and_b64 s[0:1], s[0:1], vcc
	s_mov_b64 s[2:3], exec
	v_writelane_b32 v56, s2, 6
	s_and_b64 s[0:1], s[2:3], s[0:1]
	v_writelane_b32 v56, s3, 7
	s_mov_b64 exec, s[0:1]
	s_cbranch_execz .LBB49_183
; %bb.1:
	s_load_dwordx8 s[36:43], s[4:5], 0x48
	s_load_dwordx8 s[24:31], s[4:5], 0x20
	v_ashrrev_i32_e32 v19, 31, v18
	v_lshlrev_b64 v[2:3], 2, v[18:19]
	s_load_dwordx2 s[0:1], s[4:5], 0xc8
	s_waitcnt lgkmcnt(0)
	v_mov_b32_e32 v5, s39
	v_add_co_u32_e32 v4, vcc, s38, v2
	v_addc_co_u32_e32 v5, vcc, v5, v3, vcc
	global_load_dword v6, v[4:5], off
	v_mov_b32_e32 v5, s37
	v_add_co_u32_e32 v4, vcc, s36, v2
	v_addc_co_u32_e32 v5, vcc, v5, v3, vcc
	global_load_dword v7, v[4:5], off
	;; [unrolled: 4-line block ×4, first 2 shown]
	v_writelane_b32 v56, s20, 8
	v_writelane_b32 v56, s21, 9
	;; [unrolled: 1-line block ×5, first 2 shown]
	s_load_dwordx4 s[60:63], s[4:5], 0xa8
	s_load_dwordx8 s[44:51], s[4:5], 0x78
	s_load_dword s74, s[4:5], 0x40
	s_load_dwordx2 s[78:79], s[4:5], 0x68
	s_load_dword s75, s[4:5], 0x70
	s_load_dwordx2 s[80:81], s[4:5], 0x98
	s_load_dword s84, s[4:5], 0xa0
	v_writelane_b32 v56, s1, 13
	s_xor_b64 s[0:1], s[64:65], -1
	v_writelane_b32 v56, s0, 14
	s_and_b64 s[22:23], s[64:65], s[34:35]
	v_writelane_b32 v56, s1, 15
	s_xor_b64 s[22:23], s[22:23], -1
	v_writelane_b32 v56, s22, 16
	v_writelane_b32 v56, s23, 17
	v_mov_b32_e32 v8, s41
	s_addk_i32 s85, 0x400
	s_movk_i32 s16, 0x200
	s_movk_i32 s18, 0x100
	;; [unrolled: 1-line block ×3, first 2 shown]
	v_pk_mov_b32 v[2:3], 0, 0
	s_mov_b32 s82, 0
	v_mov_b32_e32 v9, s43
	v_cmp_gt_u32_e64 s[0:1], 64, v0
	v_cmp_gt_u32_e64 s[2:3], 32, v0
	;; [unrolled: 1-line block ×6, first 2 shown]
	v_cmp_eq_u32_e64 s[12:13], 0, v0
	s_brev_b32 s83, 8
	v_mov_b32_e32 v19, 0x260
	s_movk_i32 s69, 0x1f8
	v_mov_b32_e32 v21, 0
	v_mov_b32_e32 v42, 0xffffff80
	v_cmp_gt_u32_e64 s[14:15], s85, v18
	v_cmp_gt_u32_e64 s[16:17], s16, v0
	;; [unrolled: 1-line block ×4, first 2 shown]
	s_waitcnt vmcnt(2) lgkmcnt(0)
	v_subrev_u32_e32 v22, s75, v7
	v_ashrrev_i32_e32 v23, 31, v22
	v_sub_u32_e32 v43, v6, v7
	v_lshlrev_b64 v[6:7], 4, v[22:23]
	v_cmp_lt_i32_e64 s[24:25], 0, v43
	s_waitcnt vmcnt(1)
	v_subrev_u32_e32 v44, s74, v4
	s_waitcnt vmcnt(0)
	v_subrev_u32_e32 v45, s74, v5
	v_cmp_lt_i32_e64 s[22:23], v4, v5
	v_lshlrev_b64 v[4:5], 2, v[22:23]
	v_add_co_u32_e32 v23, vcc, s40, v4
	v_addc_co_u32_e32 v46, vcc, v8, v5, vcc
	v_add_co_u32_e32 v47, vcc, s42, v6
	v_addc_co_u32_e32 v48, vcc, v9, v7, vcc
	v_pk_mov_b32 v[4:5], v[2:3], v[2:3] op_sel:[0,1]
	s_branch .LBB49_3
.LBB49_2:                               ;   in Loop: Header=BB49_3 Depth=1
	s_or_b64 exec, exec, s[52:53]
	s_and_b64 s[26:27], exec, s[70:71]
	s_or_b64 s[72:73], s[26:27], s[72:73]
	s_andn2_b64 exec, exec, s[72:73]
	s_cbranch_execz .LBB49_182
.LBB49_3:                               ; =>This Loop Header: Depth=1
                                        ;     Child Loop BB49_10 Depth 2
                                        ;       Child Loop BB49_14 Depth 3
                                        ;       Child Loop BB49_49 Depth 3
	;; [unrolled: 1-line block ×5, first 2 shown]
                                        ;     Child Loop BB49_163 Depth 2
                                        ;       Child Loop BB49_166 Depth 3
                                        ;       Child Loop BB49_169 Depth 3
	v_cndmask_b32_e64 v5, v5, 0, s[64:65]
	v_cndmask_b32_e64 v4, v4, 0, s[64:65]
	;; [unrolled: 1-line block ×4, first 2 shown]
	s_and_saveexec_b64 s[86:87], s[22:23]
	s_cbranch_execnz .LBB49_7
; %bb.4:                                ;   in Loop: Header=BB49_3 Depth=1
	s_or_b64 exec, exec, s[86:87]
	s_andn2_b64 vcc, exec, s[64:65]
	s_cbranch_vccz .LBB49_118
.LBB49_5:                               ;   in Loop: Header=BB49_3 Depth=1
	s_andn2_b64 vcc, exec, s[34:35]
	s_cbranch_vccz .LBB49_139
.LBB49_6:                               ;   in Loop: Header=BB49_3 Depth=1
	s_and_saveexec_b64 s[26:27], s[14:15]
	s_cbranch_execnz .LBB49_160
	s_branch .LBB49_170
.LBB49_7:                               ;   in Loop: Header=BB49_3 Depth=1
	s_mov_b64 s[88:89], 0
	v_mov_b32_e32 v24, v44
	s_branch .LBB49_10
.LBB49_8:                               ;   in Loop: Header=BB49_10 Depth=2
	s_or_b64 exec, exec, s[52:53]
.LBB49_9:                               ;   in Loop: Header=BB49_10 Depth=2
	s_or_b64 exec, exec, s[26:27]
	v_add_u32_e32 v24, 1, v24
	v_cmp_ge_i32_e32 vcc, v24, v45
	s_or_b64 s[88:89], vcc, s[88:89]
	s_andn2_b64 exec, exec, s[88:89]
	s_cbranch_execz .LBB49_117
.LBB49_10:                              ;   Parent Loop BB49_3 Depth=1
                                        ; =>  This Loop Header: Depth=2
                                        ;       Child Loop BB49_14 Depth 3
                                        ;       Child Loop BB49_49 Depth 3
	;; [unrolled: 1-line block ×5, first 2 shown]
	v_ashrrev_i32_e32 v25, 31, v24
	v_lshlrev_b64 v[6:7], 2, v[24:25]
	v_mov_b32_e32 v8, s29
	v_add_co_u32_e32 v6, vcc, s28, v6
	v_addc_co_u32_e32 v7, vcc, v8, v7, vcc
	global_load_dword v6, v[6:7], off
	v_mov_b32_e32 v9, s45
	v_mov_b32_e32 v10, s47
	v_pk_mov_b32 v[28:29], 0, 0
	v_mov_b32_e32 v20, 0
	v_pk_mov_b32 v[30:31], v[28:29], v[28:29] op_sel:[0,1]
	v_mov_b32_e32 v34, 0
	s_waitcnt vmcnt(0)
	v_subrev_u32_e32 v26, s74, v6
	v_ashrrev_i32_e32 v27, 31, v26
	v_lshlrev_b64 v[6:7], 2, v[26:27]
	v_add_co_u32_e32 v8, vcc, s44, v6
	v_addc_co_u32_e32 v9, vcc, v9, v7, vcc
	v_add_co_u32_e32 v6, vcc, s46, v6
	v_addc_co_u32_e32 v7, vcc, v10, v7, vcc
	global_load_dword v8, v[8:9], off
	s_nop 0
	global_load_dword v6, v[6:7], off
	s_waitcnt vmcnt(1)
	v_subrev_u32_e32 v32, s84, v8
	s_waitcnt vmcnt(0)
	v_sub_u32_e32 v49, v6, v8
	s_and_saveexec_b64 s[26:27], s[24:25]
	s_cbranch_execz .LBB49_18
; %bb.11:                               ;   in Loop: Header=BB49_10 Depth=2
	v_ashrrev_i32_e32 v33, 31, v32
	v_lshlrev_b64 v[6:7], 2, v[32:33]
	v_mov_b32_e32 v8, s49
	v_add_co_u32_e32 v6, vcc, s48, v6
	v_addc_co_u32_e32 v7, vcc, v8, v7, vcc
	v_lshlrev_b64 v[8:9], 4, v[32:33]
	v_mov_b32_e32 v10, s51
	v_add_co_u32_e32 v8, vcc, s50, v8
	v_mov_b32_e32 v34, 0
	v_pk_mov_b32 v[28:29], 0, 0
	v_addc_co_u32_e32 v9, vcc, v10, v9, vcc
	s_mov_b64 s[70:71], 0
	v_mov_b32_e32 v20, v34
	v_pk_mov_b32 v[30:31], v[28:29], v[28:29] op_sel:[0,1]
                                        ; implicit-def: $sgpr76_sgpr77
	s_branch .LBB49_14
.LBB49_12:                              ;   in Loop: Header=BB49_14 Depth=3
	s_or_b64 exec, exec, s[52:53]
	v_cmp_le_i32_e32 vcc, v10, v11
	v_addc_co_u32_e32 v20, vcc, 0, v20, vcc
	v_cmp_ge_i32_e32 vcc, v10, v11
	v_addc_co_u32_e32 v34, vcc, 0, v34, vcc
	v_cmp_ge_i32_e32 vcc, v20, v43
	s_andn2_b64 s[52:53], s[76:77], exec
	s_and_b64 s[54:55], vcc, exec
	s_or_b64 s[76:77], s[52:53], s[54:55]
.LBB49_13:                              ;   in Loop: Header=BB49_14 Depth=3
	s_or_b64 exec, exec, s[90:91]
	s_and_b64 s[52:53], exec, s[76:77]
	s_or_b64 s[70:71], s[52:53], s[70:71]
	s_andn2_b64 exec, exec, s[70:71]
	s_cbranch_execz .LBB49_17
.LBB49_14:                              ;   Parent Loop BB49_3 Depth=1
                                        ;     Parent Loop BB49_10 Depth=2
                                        ; =>    This Inner Loop Header: Depth=3
	v_cmp_lt_i32_e32 vcc, v34, v49
	s_or_b64 s[76:77], s[76:77], exec
	s_and_saveexec_b64 s[90:91], vcc
	s_cbranch_execz .LBB49_13
; %bb.15:                               ;   in Loop: Header=BB49_14 Depth=3
	v_lshlrev_b64 v[10:11], 2, v[20:21]
	v_add_co_u32_e32 v10, vcc, v23, v10
	v_addc_co_u32_e32 v11, vcc, v46, v11, vcc
	v_mov_b32_e32 v35, v21
	global_load_dword v12, v[10:11], off
	v_lshlrev_b64 v[10:11], 2, v[34:35]
	v_add_co_u32_e32 v10, vcc, v6, v10
	v_addc_co_u32_e32 v11, vcc, v7, v11, vcc
	global_load_dword v11, v[10:11], off
	s_waitcnt vmcnt(1)
	v_subrev_u32_e32 v10, s75, v12
	s_waitcnt vmcnt(0)
	v_subrev_u32_e32 v11, s84, v11
	v_cmp_eq_u32_e32 vcc, v10, v11
	s_and_saveexec_b64 s[52:53], vcc
	s_cbranch_execz .LBB49_12
; %bb.16:                               ;   in Loop: Header=BB49_14 Depth=3
	v_lshlrev_b64 v[12:13], 4, v[20:21]
	v_add_co_u32_e32 v12, vcc, v47, v12
	v_addc_co_u32_e32 v13, vcc, v48, v13, vcc
	v_lshlrev_b64 v[16:17], 4, v[34:35]
	v_add_co_u32_e32 v16, vcc, v8, v16
	v_addc_co_u32_e32 v17, vcc, v9, v17, vcc
	global_load_dwordx4 v[12:15], v[12:13], off
	s_nop 0
	global_load_dwordx4 v[36:39], v[16:17], off
	s_waitcnt vmcnt(0)
	v_fmac_f64_e32 v[28:29], v[12:13], v[36:37]
	v_fmac_f64_e32 v[30:31], v[14:15], v[36:37]
	v_fma_f64 v[28:29], -v[14:15], v[38:39], v[28:29]
	v_fmac_f64_e32 v[30:31], v[12:13], v[38:39]
	s_branch .LBB49_12
.LBB49_17:                              ;   in Loop: Header=BB49_10 Depth=2
	s_or_b64 exec, exec, s[70:71]
.LBB49_18:                              ;   in Loop: Header=BB49_10 Depth=2
	s_or_b64 exec, exec, s[26:27]
	v_lshlrev_b64 v[6:7], 4, v[24:25]
	v_mov_b32_e32 v8, s31
	v_add_co_u32_e32 v6, vcc, s30, v6
	v_addc_co_u32_e32 v7, vcc, v8, v7, vcc
	global_load_dwordx4 v[6:9], v[6:7], off
	v_cmp_le_i32_e64 s[26:27], v18, v26
	v_cmp_gt_i32_e32 vcc, v18, v26
	s_waitcnt vmcnt(0)
	v_add_f64 v[10:11], v[6:7], -v[28:29]
	v_add_f64 v[12:13], v[8:9], -v[30:31]
	s_and_saveexec_b64 s[70:71], vcc
	s_cbranch_execz .LBB49_28
; %bb.19:                               ;   in Loop: Header=BB49_10 Depth=2
	v_lshlrev_b64 v[14:15], 4, v[26:27]
	v_mov_b32_e32 v16, s61
	v_add_co_u32_e32 v14, vcc, s60, v14
	v_addc_co_u32_e32 v15, vcc, v16, v15, vcc
	global_load_dwordx4 v[14:17], v[14:15], off
                                        ; implicit-def: $vgpr40_vgpr41
	s_waitcnt vmcnt(0)
	v_xor_b32_e32 v25, 0x80000000, v15
	v_cmp_gt_f64_e32 vcc, 0, v[14:15]
	v_xor_b32_e32 v33, 0x80000000, v17
	v_cndmask_b32_e32 v37, v15, v25, vcc
	v_cmp_gt_f64_e32 vcc, 0, v[16:17]
	v_mov_b32_e32 v36, v14
	v_cndmask_b32_e32 v39, v17, v33, vcc
	v_mov_b32_e32 v38, v16
	v_cmp_ngt_f64_e32 vcc, v[36:37], v[38:39]
	s_and_saveexec_b64 s[52:53], vcc
	s_xor_b64 s[56:57], exec, s[52:53]
	s_cbranch_execz .LBB49_23
; %bb.20:                               ;   in Loop: Header=BB49_10 Depth=2
	v_cmp_neq_f64_e32 vcc, 0, v[16:17]
	v_pk_mov_b32 v[40:41], 0, 0
	s_and_saveexec_b64 s[52:53], vcc
	s_cbranch_execz .LBB49_22
; %bb.21:                               ;   in Loop: Header=BB49_10 Depth=2
	v_div_scale_f64 v[40:41], s[54:55], v[38:39], v[38:39], v[36:37]
	v_rcp_f64_e32 v[50:51], v[40:41]
	v_div_scale_f64 v[52:53], vcc, v[36:37], v[38:39], v[36:37]
	v_fma_f64 v[54:55], -v[40:41], v[50:51], 1.0
	v_fmac_f64_e32 v[50:51], v[50:51], v[54:55]
	v_fma_f64 v[54:55], -v[40:41], v[50:51], 1.0
	v_fmac_f64_e32 v[50:51], v[50:51], v[54:55]
	v_mul_f64 v[54:55], v[52:53], v[50:51]
	v_fma_f64 v[40:41], -v[40:41], v[54:55], v[52:53]
	v_div_fmas_f64 v[40:41], v[40:41], v[50:51], v[54:55]
	v_div_fixup_f64 v[36:37], v[40:41], v[38:39], v[36:37]
	v_fma_f64 v[36:37], v[36:37], v[36:37], 1.0
	v_cmp_gt_f64_e32 vcc, s[82:83], v[36:37]
	v_cndmask_b32_e64 v25, 0, 1, vcc
	v_lshlrev_b32_e32 v25, 8, v25
	v_ldexp_f64 v[36:37], v[36:37], v25
	v_rsq_f64_e32 v[40:41], v[36:37]
	v_cndmask_b32_e32 v25, 0, v42, vcc
	v_cmp_class_f64_e32 vcc, v[36:37], v19
	v_mul_f64 v[50:51], v[36:37], v[40:41]
	v_mul_f64 v[40:41], v[40:41], 0.5
	v_fma_f64 v[52:53], -v[40:41], v[50:51], 0.5
	v_fmac_f64_e32 v[50:51], v[50:51], v[52:53]
	v_fma_f64 v[54:55], -v[50:51], v[50:51], v[36:37]
	v_fmac_f64_e32 v[40:41], v[40:41], v[52:53]
	v_fmac_f64_e32 v[50:51], v[54:55], v[40:41]
	v_fma_f64 v[52:53], -v[50:51], v[50:51], v[36:37]
	v_fmac_f64_e32 v[50:51], v[52:53], v[40:41]
	v_ldexp_f64 v[40:41], v[50:51], v25
	v_cndmask_b32_e32 v37, v41, v37, vcc
	v_cndmask_b32_e32 v36, v40, v36, vcc
	v_mul_f64 v[40:41], v[38:39], v[36:37]
.LBB49_22:                              ;   in Loop: Header=BB49_10 Depth=2
	s_or_b64 exec, exec, s[52:53]
                                        ; implicit-def: $vgpr36_vgpr37
                                        ; implicit-def: $vgpr38_vgpr39
.LBB49_23:                              ;   in Loop: Header=BB49_10 Depth=2
	s_andn2_saveexec_b64 s[52:53], s[56:57]
	s_cbranch_execz .LBB49_25
; %bb.24:                               ;   in Loop: Header=BB49_10 Depth=2
	v_div_scale_f64 v[40:41], s[54:55], v[36:37], v[36:37], v[38:39]
	v_rcp_f64_e32 v[50:51], v[40:41]
	v_div_scale_f64 v[52:53], vcc, v[38:39], v[36:37], v[38:39]
	v_fma_f64 v[54:55], -v[40:41], v[50:51], 1.0
	v_fmac_f64_e32 v[50:51], v[50:51], v[54:55]
	v_fma_f64 v[54:55], -v[40:41], v[50:51], 1.0
	v_fmac_f64_e32 v[50:51], v[50:51], v[54:55]
	v_mul_f64 v[54:55], v[52:53], v[50:51]
	v_fma_f64 v[40:41], -v[40:41], v[54:55], v[52:53]
	v_div_fmas_f64 v[40:41], v[40:41], v[50:51], v[54:55]
	v_div_fixup_f64 v[38:39], v[40:41], v[36:37], v[38:39]
	v_fma_f64 v[38:39], v[38:39], v[38:39], 1.0
	v_cmp_gt_f64_e32 vcc, s[82:83], v[38:39]
	v_cndmask_b32_e64 v25, 0, 1, vcc
	v_lshlrev_b32_e32 v25, 8, v25
	v_ldexp_f64 v[38:39], v[38:39], v25
	v_rsq_f64_e32 v[40:41], v[38:39]
	v_cndmask_b32_e32 v25, 0, v42, vcc
	v_cmp_class_f64_e32 vcc, v[38:39], v19
	v_mul_f64 v[50:51], v[38:39], v[40:41]
	v_mul_f64 v[40:41], v[40:41], 0.5
	v_fma_f64 v[52:53], -v[40:41], v[50:51], 0.5
	v_fmac_f64_e32 v[50:51], v[50:51], v[52:53]
	v_fma_f64 v[54:55], -v[50:51], v[50:51], v[38:39]
	v_fmac_f64_e32 v[40:41], v[40:41], v[52:53]
	v_fmac_f64_e32 v[50:51], v[54:55], v[40:41]
	v_fma_f64 v[52:53], -v[50:51], v[50:51], v[38:39]
	v_fmac_f64_e32 v[50:51], v[52:53], v[40:41]
	v_ldexp_f64 v[40:41], v[50:51], v25
	v_cndmask_b32_e32 v39, v41, v39, vcc
	v_cndmask_b32_e32 v38, v40, v38, vcc
	v_mul_f64 v[40:41], v[36:37], v[38:39]
.LBB49_25:                              ;   in Loop: Header=BB49_10 Depth=2
	s_or_b64 exec, exec, s[52:53]
	v_pk_mov_b32 v[38:39], 0, 0
	v_cmp_lt_f64_e32 vcc, 0, v[40:41]
	v_pk_mov_b32 v[36:37], v[38:39], v[38:39] op_sel:[0,1]
	s_and_saveexec_b64 s[52:53], vcc
	s_cbranch_execz .LBB49_27
; %bb.26:                               ;   in Loop: Header=BB49_10 Depth=2
	v_mul_f64 v[36:37], v[16:17], v[16:17]
	v_fmac_f64_e32 v[36:37], v[14:15], v[14:15]
	v_div_scale_f64 v[38:39], s[54:55], v[36:37], v[36:37], 1.0
	v_rcp_f64_e32 v[40:41], v[38:39]
	v_div_scale_f64 v[50:51], vcc, 1.0, v[36:37], 1.0
	v_fma_f64 v[52:53], -v[38:39], v[40:41], 1.0
	v_fmac_f64_e32 v[40:41], v[40:41], v[52:53]
	v_fma_f64 v[52:53], -v[38:39], v[40:41], 1.0
	v_fmac_f64_e32 v[40:41], v[40:41], v[52:53]
	v_mul_f64 v[52:53], v[50:51], v[40:41]
	v_fma_f64 v[38:39], -v[38:39], v[52:53], v[50:51]
	v_div_fmas_f64 v[38:39], v[38:39], v[40:41], v[52:53]
	v_div_fixup_f64 v[38:39], v[38:39], v[36:37], 1.0
	v_mul_f64 v[36:37], v[12:13], v[16:17]
	v_fmac_f64_e32 v[36:37], v[10:11], v[14:15]
	v_mul_f64 v[10:11], v[16:17], -v[10:11]
	v_fmac_f64_e32 v[10:11], v[12:13], v[14:15]
	v_mul_f64 v[36:37], v[36:37], v[38:39]
	v_mul_f64 v[38:39], v[10:11], v[38:39]
.LBB49_27:                              ;   in Loop: Header=BB49_10 Depth=2
	s_or_b64 exec, exec, s[52:53]
	v_pk_mov_b32 v[12:13], v[38:39], v[38:39] op_sel:[0,1]
	v_pk_mov_b32 v[10:11], v[36:37], v[36:37] op_sel:[0,1]
.LBB49_28:                              ;   in Loop: Header=BB49_10 Depth=2
	s_or_b64 exec, exec, s[70:71]
	v_xor_b32_e32 v14, 0x80000000, v11
	v_cmp_gt_f64_e32 vcc, 0, v[10:11]
	v_cndmask_b32_e32 v15, v11, v14, vcc
	v_cndmask_b32_e32 v14, v10, v10, vcc
	v_xor_b32_e32 v16, 0x80000000, v13
	v_cmp_gt_f64_e32 vcc, 0, v[12:13]
	v_cndmask_b32_e32 v17, v13, v16, vcc
	v_cndmask_b32_e32 v16, v12, v12, vcc
	v_cmp_ngt_f64_e32 vcc, v[14:15], v[16:17]
                                        ; implicit-def: $vgpr36_vgpr37
	s_and_saveexec_b64 s[52:53], vcc
	s_xor_b64 s[56:57], exec, s[52:53]
	s_cbranch_execnz .LBB49_32
; %bb.29:                               ;   in Loop: Header=BB49_10 Depth=2
	s_andn2_saveexec_b64 s[52:53], s[56:57]
	s_cbranch_execnz .LBB49_35
.LBB49_30:                              ;   in Loop: Header=BB49_10 Depth=2
	s_or_b64 exec, exec, s[52:53]
	v_cmp_class_f64_e64 s[90:91], v[36:37], s69
	s_and_saveexec_b64 s[92:93], s[90:91]
	s_cbranch_execnz .LBB49_36
.LBB49_31:                              ;   in Loop: Header=BB49_10 Depth=2
	s_or_b64 exec, exec, s[92:93]
	s_and_b64 s[52:53], s[90:91], s[34:35]
	s_and_saveexec_b64 s[26:27], s[52:53]
	s_cbranch_execz .LBB49_9
	s_branch .LBB49_77
.LBB49_32:                              ;   in Loop: Header=BB49_10 Depth=2
	v_cmp_neq_f64_e32 vcc, 0, v[12:13]
	v_pk_mov_b32 v[36:37], 0, 0
	s_and_saveexec_b64 s[52:53], vcc
	s_cbranch_execz .LBB49_34
; %bb.33:                               ;   in Loop: Header=BB49_10 Depth=2
	v_div_scale_f64 v[36:37], s[54:55], v[16:17], v[16:17], v[14:15]
	v_rcp_f64_e32 v[38:39], v[36:37]
	v_div_scale_f64 v[40:41], vcc, v[14:15], v[16:17], v[14:15]
	v_fma_f64 v[50:51], -v[36:37], v[38:39], 1.0
	v_fmac_f64_e32 v[38:39], v[38:39], v[50:51]
	v_fma_f64 v[50:51], -v[36:37], v[38:39], 1.0
	v_fmac_f64_e32 v[38:39], v[38:39], v[50:51]
	v_mul_f64 v[50:51], v[40:41], v[38:39]
	v_fma_f64 v[36:37], -v[36:37], v[50:51], v[40:41]
	v_div_fmas_f64 v[36:37], v[36:37], v[38:39], v[50:51]
	v_div_fixup_f64 v[14:15], v[36:37], v[16:17], v[14:15]
	v_fma_f64 v[14:15], v[14:15], v[14:15], 1.0
	v_cmp_gt_f64_e32 vcc, s[82:83], v[14:15]
	v_cndmask_b32_e64 v25, 0, 1, vcc
	v_lshlrev_b32_e32 v25, 8, v25
	v_ldexp_f64 v[14:15], v[14:15], v25
	v_rsq_f64_e32 v[36:37], v[14:15]
	v_cndmask_b32_e32 v25, 0, v42, vcc
	v_cmp_class_f64_e32 vcc, v[14:15], v19
	v_mul_f64 v[38:39], v[14:15], v[36:37]
	v_mul_f64 v[36:37], v[36:37], 0.5
	v_fma_f64 v[40:41], -v[36:37], v[38:39], 0.5
	v_fmac_f64_e32 v[38:39], v[38:39], v[40:41]
	v_fma_f64 v[50:51], -v[38:39], v[38:39], v[14:15]
	v_fmac_f64_e32 v[36:37], v[36:37], v[40:41]
	v_fmac_f64_e32 v[38:39], v[50:51], v[36:37]
	v_fma_f64 v[40:41], -v[38:39], v[38:39], v[14:15]
	v_fmac_f64_e32 v[38:39], v[40:41], v[36:37]
	v_ldexp_f64 v[36:37], v[38:39], v25
	v_cndmask_b32_e32 v15, v37, v15, vcc
	v_cndmask_b32_e32 v14, v36, v14, vcc
	v_mul_f64 v[36:37], v[16:17], v[14:15]
.LBB49_34:                              ;   in Loop: Header=BB49_10 Depth=2
	s_or_b64 exec, exec, s[52:53]
                                        ; implicit-def: $vgpr14_vgpr15
                                        ; implicit-def: $vgpr16_vgpr17
	s_andn2_saveexec_b64 s[52:53], s[56:57]
	s_cbranch_execz .LBB49_30
.LBB49_35:                              ;   in Loop: Header=BB49_10 Depth=2
	v_div_scale_f64 v[36:37], s[54:55], v[14:15], v[14:15], v[16:17]
	v_rcp_f64_e32 v[38:39], v[36:37]
	v_div_scale_f64 v[40:41], vcc, v[16:17], v[14:15], v[16:17]
	v_fma_f64 v[50:51], -v[36:37], v[38:39], 1.0
	v_fmac_f64_e32 v[38:39], v[38:39], v[50:51]
	v_fma_f64 v[50:51], -v[36:37], v[38:39], 1.0
	v_fmac_f64_e32 v[38:39], v[38:39], v[50:51]
	v_mul_f64 v[50:51], v[40:41], v[38:39]
	v_fma_f64 v[36:37], -v[36:37], v[50:51], v[40:41]
	v_div_fmas_f64 v[36:37], v[36:37], v[38:39], v[50:51]
	v_div_fixup_f64 v[16:17], v[36:37], v[14:15], v[16:17]
	v_fma_f64 v[16:17], v[16:17], v[16:17], 1.0
	v_cmp_gt_f64_e32 vcc, s[82:83], v[16:17]
	v_cndmask_b32_e64 v25, 0, 1, vcc
	v_lshlrev_b32_e32 v25, 8, v25
	v_ldexp_f64 v[16:17], v[16:17], v25
	v_rsq_f64_e32 v[36:37], v[16:17]
	v_cndmask_b32_e32 v25, 0, v42, vcc
	v_cmp_class_f64_e32 vcc, v[16:17], v19
	v_mul_f64 v[38:39], v[16:17], v[36:37]
	v_mul_f64 v[36:37], v[36:37], 0.5
	v_fma_f64 v[40:41], -v[36:37], v[38:39], 0.5
	v_fmac_f64_e32 v[38:39], v[38:39], v[40:41]
	v_fma_f64 v[50:51], -v[38:39], v[38:39], v[16:17]
	v_fmac_f64_e32 v[36:37], v[36:37], v[40:41]
	v_fmac_f64_e32 v[38:39], v[50:51], v[36:37]
	v_fma_f64 v[40:41], -v[38:39], v[38:39], v[16:17]
	v_fmac_f64_e32 v[38:39], v[40:41], v[36:37]
	v_ldexp_f64 v[36:37], v[38:39], v25
	v_cndmask_b32_e32 v17, v37, v17, vcc
	v_cndmask_b32_e32 v16, v36, v16, vcc
	v_mul_f64 v[36:37], v[14:15], v[16:17]
	s_or_b64 exec, exec, s[52:53]
	v_cmp_class_f64_e64 s[90:91], v[36:37], s69
	s_and_saveexec_b64 s[92:93], s[90:91]
	s_cbranch_execz .LBB49_31
.LBB49_36:                              ;   in Loop: Header=BB49_10 Depth=2
	s_and_saveexec_b64 s[52:53], s[26:27]
	s_xor_b64 s[26:27], exec, s[52:53]
	s_cbranch_execz .LBB49_61
; %bb.37:                               ;   in Loop: Header=BB49_10 Depth=2
	v_cmp_ge_i32_e32 vcc, v18, v26
	s_and_saveexec_b64 s[52:53], vcc
	s_xor_b64 s[70:71], exec, s[52:53]
	s_cbranch_execz .LBB49_45
; %bb.38:                               ;   in Loop: Header=BB49_10 Depth=2
	v_lshlrev_b64 v[14:15], 4, v[26:27]
	v_mov_b32_e32 v17, s63
	v_add_co_u32_e32 v16, vcc, s62, v14
	v_addc_co_u32_e32 v17, vcc, v17, v15, vcc
	s_andn2_b64 vcc, exec, s[64:65]
	global_store_dwordx4 v[16:17], v[10:13], off
	s_cbranch_vccnz .LBB49_44
; %bb.39:                               ;   in Loop: Header=BB49_10 Depth=2
	v_mov_b32_e32 v16, s61
	v_add_co_u32_e32 v14, vcc, s60, v14
	v_addc_co_u32_e32 v15, vcc, v16, v15, vcc
	global_load_dwordx4 v[14:17], v[14:15], off
	s_waitcnt vmcnt(0)
	v_add_f64 v[10:11], v[14:15], -v[10:11]
	v_add_f64 v[16:17], v[16:17], -v[12:13]
	v_xor_b32_e32 v12, 0x80000000, v11
	v_cmp_gt_f64_e32 vcc, 0, v[10:11]
	v_xor_b32_e32 v13, 0x80000000, v17
	v_cndmask_b32_e32 v11, v11, v12, vcc
	v_cndmask_b32_e32 v10, v10, v10, vcc
	v_cmp_gt_f64_e32 vcc, 0, v[16:17]
	v_cndmask_b32_e32 v13, v17, v13, vcc
	v_cndmask_b32_e32 v12, v16, v16, vcc
	v_cmp_ngt_f64_e32 vcc, v[10:11], v[12:13]
                                        ; implicit-def: $vgpr14_vgpr15
	s_and_saveexec_b64 s[52:53], vcc
	s_xor_b64 s[56:57], exec, s[52:53]
	s_cbranch_execnz .LBB49_105
; %bb.40:                               ;   in Loop: Header=BB49_10 Depth=2
	s_andn2_saveexec_b64 s[52:53], s[56:57]
	s_cbranch_execnz .LBB49_108
.LBB49_41:                              ;   in Loop: Header=BB49_10 Depth=2
	s_or_b64 exec, exec, s[52:53]
	v_cmp_class_f64_e64 s[54:55], v[14:15], s69
	s_and_saveexec_b64 s[52:53], s[54:55]
.LBB49_42:                              ;   in Loop: Header=BB49_10 Depth=2
	v_cmp_lt_f64_e32 vcc, v[4:5], v[14:15]
	v_cndmask_b32_e32 v5, v5, v15, vcc
	v_cndmask_b32_e32 v4, v4, v14, vcc
.LBB49_43:                              ;   in Loop: Header=BB49_10 Depth=2
	s_or_b64 exec, exec, s[52:53]
.LBB49_44:                              ;   in Loop: Header=BB49_10 Depth=2
                                        ; implicit-def: $vgpr10_vgpr11
.LBB49_45:                              ;   in Loop: Header=BB49_10 Depth=2
	s_andn2_saveexec_b64 s[94:95], s[70:71]
	s_cbranch_execz .LBB49_60
; %bb.46:                               ;   in Loop: Header=BB49_10 Depth=2
	v_cmp_lt_i32_e32 vcc, v34, v49
	s_and_saveexec_b64 s[70:71], vcc
	s_cbranch_execz .LBB49_59
; %bb.47:                               ;   in Loop: Header=BB49_10 Depth=2
	s_mov_b64 s[76:77], 0
	v_mov_b32_e32 v16, v34
                                        ; implicit-def: $sgpr56_sgpr57
                                        ; implicit-def: $sgpr52_sgpr53
                                        ; implicit-def: $sgpr58_sgpr59
	s_branch .LBB49_49
.LBB49_48:                              ;   in Loop: Header=BB49_49 Depth=3
	s_or_b64 exec, exec, s[54:55]
	s_and_b64 s[54:55], exec, s[52:53]
	s_or_b64 s[76:77], s[54:55], s[76:77]
	s_andn2_b64 s[54:55], s[56:57], exec
	s_and_b64 s[56:57], s[58:59], exec
	s_or_b64 s[56:57], s[54:55], s[56:57]
	s_andn2_b64 exec, exec, s[76:77]
	s_cbranch_execz .LBB49_51
.LBB49_49:                              ;   Parent Loop BB49_3 Depth=1
                                        ;     Parent Loop BB49_10 Depth=2
                                        ; =>    This Inner Loop Header: Depth=3
	v_add_u32_e32 v14, v32, v16
	v_ashrrev_i32_e32 v15, 31, v14
	v_lshlrev_b64 v[36:37], 2, v[14:15]
	v_mov_b32_e32 v17, s49
	v_add_co_u32_e32 v36, vcc, s48, v36
	v_addc_co_u32_e32 v37, vcc, v17, v37, vcc
	global_load_dword v17, v[36:37], off
	s_or_b64 s[58:59], s[58:59], exec
	s_or_b64 s[52:53], s[52:53], exec
	s_waitcnt vmcnt(0)
	v_subrev_u32_e32 v17, s84, v17
	v_cmp_ne_u32_e32 vcc, v17, v18
	s_and_saveexec_b64 s[54:55], vcc
	s_cbranch_execz .LBB49_48
; %bb.50:                               ;   in Loop: Header=BB49_49 Depth=3
	v_add_u32_e32 v16, 1, v16
	v_cmp_ge_i32_e32 vcc, v16, v49
	s_andn2_b64 s[52:53], s[52:53], exec
	s_and_b64 vcc, vcc, exec
	s_andn2_b64 s[58:59], s[58:59], exec
	s_or_b64 s[52:53], s[52:53], vcc
	s_branch .LBB49_48
.LBB49_51:                              ;   in Loop: Header=BB49_10 Depth=2
	s_or_b64 exec, exec, s[76:77]
	s_and_saveexec_b64 s[52:53], s[56:57]
	s_xor_b64 s[76:77], exec, s[52:53]
	s_cbranch_execz .LBB49_58
; %bb.52:                               ;   in Loop: Header=BB49_10 Depth=2
	v_lshlrev_b64 v[14:15], 4, v[14:15]
	v_mov_b32_e32 v17, s81
	v_add_co_u32_e32 v16, vcc, s80, v14
	v_addc_co_u32_e32 v17, vcc, v17, v15, vcc
	s_andn2_b64 vcc, exec, s[64:65]
	global_store_dwordx4 v[16:17], v[10:13], off
	s_cbranch_vccnz .LBB49_58
; %bb.53:                               ;   in Loop: Header=BB49_10 Depth=2
	v_mov_b32_e32 v16, s51
	v_add_co_u32_e32 v14, vcc, s50, v14
	v_addc_co_u32_e32 v15, vcc, v16, v15, vcc
	global_load_dwordx4 v[14:17], v[14:15], off
	s_waitcnt vmcnt(0)
	v_add_f64 v[10:11], v[14:15], -v[10:11]
	v_add_f64 v[16:17], v[16:17], -v[12:13]
	v_xor_b32_e32 v12, 0x80000000, v11
	v_cmp_gt_f64_e32 vcc, 0, v[10:11]
	v_xor_b32_e32 v13, 0x80000000, v17
	v_cndmask_b32_e32 v11, v11, v12, vcc
	v_cndmask_b32_e32 v10, v10, v10, vcc
	v_cmp_gt_f64_e32 vcc, 0, v[16:17]
	v_cndmask_b32_e32 v13, v17, v13, vcc
	v_cndmask_b32_e32 v12, v16, v16, vcc
	v_cmp_ngt_f64_e32 vcc, v[10:11], v[12:13]
                                        ; implicit-def: $vgpr14_vgpr15
	s_and_saveexec_b64 s[52:53], vcc
	s_xor_b64 s[56:57], exec, s[52:53]
	s_cbranch_execnz .LBB49_113
; %bb.54:                               ;   in Loop: Header=BB49_10 Depth=2
	s_andn2_saveexec_b64 s[52:53], s[56:57]
	s_cbranch_execnz .LBB49_116
.LBB49_55:                              ;   in Loop: Header=BB49_10 Depth=2
	s_or_b64 exec, exec, s[52:53]
	v_cmp_class_f64_e64 s[54:55], v[14:15], s69
	s_and_saveexec_b64 s[52:53], s[54:55]
.LBB49_56:                              ;   in Loop: Header=BB49_10 Depth=2
	v_cmp_lt_f64_e32 vcc, v[4:5], v[14:15]
	v_cndmask_b32_e32 v5, v5, v15, vcc
	v_cndmask_b32_e32 v4, v4, v14, vcc
.LBB49_57:                              ;   in Loop: Header=BB49_10 Depth=2
	s_or_b64 exec, exec, s[52:53]
.LBB49_58:                              ;   in Loop: Header=BB49_10 Depth=2
	s_or_b64 exec, exec, s[76:77]
.LBB49_59:                              ;   in Loop: Header=BB49_10 Depth=2
	s_or_b64 exec, exec, s[70:71]
.LBB49_60:                              ;   in Loop: Header=BB49_10 Depth=2
	s_or_b64 exec, exec, s[94:95]
                                        ; implicit-def: $vgpr10_vgpr11
.LBB49_61:                              ;   in Loop: Header=BB49_10 Depth=2
	s_andn2_saveexec_b64 s[26:27], s[26:27]
	s_cbranch_execz .LBB49_76
; %bb.62:                               ;   in Loop: Header=BB49_10 Depth=2
	v_cmp_lt_i32_e32 vcc, v20, v43
	s_and_saveexec_b64 s[94:95], vcc
	s_cbranch_execz .LBB49_75
; %bb.63:                               ;   in Loop: Header=BB49_10 Depth=2
	s_mov_b64 s[70:71], 0
	v_mov_b32_e32 v16, v20
                                        ; implicit-def: $sgpr56_sgpr57
                                        ; implicit-def: $sgpr52_sgpr53
                                        ; implicit-def: $sgpr58_sgpr59
	s_branch .LBB49_65
.LBB49_64:                              ;   in Loop: Header=BB49_65 Depth=3
	s_or_b64 exec, exec, s[54:55]
	s_and_b64 s[54:55], exec, s[52:53]
	s_or_b64 s[70:71], s[54:55], s[70:71]
	s_andn2_b64 s[54:55], s[56:57], exec
	s_and_b64 s[56:57], s[58:59], exec
	s_or_b64 s[56:57], s[54:55], s[56:57]
	s_andn2_b64 exec, exec, s[70:71]
	s_cbranch_execz .LBB49_67
.LBB49_65:                              ;   Parent Loop BB49_3 Depth=1
                                        ;     Parent Loop BB49_10 Depth=2
                                        ; =>    This Inner Loop Header: Depth=3
	v_add_u32_e32 v14, v22, v16
	v_ashrrev_i32_e32 v15, 31, v14
	v_lshlrev_b64 v[36:37], 2, v[14:15]
	v_mov_b32_e32 v17, s41
	v_add_co_u32_e32 v36, vcc, s40, v36
	v_addc_co_u32_e32 v37, vcc, v17, v37, vcc
	global_load_dword v17, v[36:37], off
	s_or_b64 s[58:59], s[58:59], exec
	s_or_b64 s[52:53], s[52:53], exec
	s_waitcnt vmcnt(0)
	v_subrev_u32_e32 v17, s75, v17
	v_cmp_ne_u32_e32 vcc, v17, v26
	s_and_saveexec_b64 s[54:55], vcc
	s_cbranch_execz .LBB49_64
; %bb.66:                               ;   in Loop: Header=BB49_65 Depth=3
	v_add_u32_e32 v16, 1, v16
	v_cmp_ge_i32_e32 vcc, v16, v43
	s_andn2_b64 s[52:53], s[52:53], exec
	s_and_b64 s[76:77], vcc, exec
	s_andn2_b64 s[58:59], s[58:59], exec
	s_or_b64 s[52:53], s[52:53], s[76:77]
	s_branch .LBB49_64
.LBB49_67:                              ;   in Loop: Header=BB49_10 Depth=2
	s_or_b64 exec, exec, s[70:71]
	s_and_saveexec_b64 s[52:53], s[56:57]
	s_xor_b64 s[70:71], exec, s[52:53]
	s_cbranch_execz .LBB49_74
; %bb.68:                               ;   in Loop: Header=BB49_10 Depth=2
	v_lshlrev_b64 v[14:15], 4, v[14:15]
	v_mov_b32_e32 v17, s79
	v_add_co_u32_e32 v16, vcc, s78, v14
	v_addc_co_u32_e32 v17, vcc, v17, v15, vcc
	s_andn2_b64 vcc, exec, s[64:65]
	global_store_dwordx4 v[16:17], v[10:13], off
	s_cbranch_vccnz .LBB49_74
; %bb.69:                               ;   in Loop: Header=BB49_10 Depth=2
	v_mov_b32_e32 v16, s43
	v_add_co_u32_e32 v14, vcc, s42, v14
	v_addc_co_u32_e32 v15, vcc, v16, v15, vcc
	global_load_dwordx4 v[14:17], v[14:15], off
	s_waitcnt vmcnt(0)
	v_add_f64 v[10:11], v[14:15], -v[10:11]
	v_add_f64 v[16:17], v[16:17], -v[12:13]
	v_xor_b32_e32 v12, 0x80000000, v11
	v_cmp_gt_f64_e32 vcc, 0, v[10:11]
	v_xor_b32_e32 v13, 0x80000000, v17
	v_cndmask_b32_e32 v11, v11, v12, vcc
	v_cndmask_b32_e32 v10, v10, v10, vcc
	v_cmp_gt_f64_e32 vcc, 0, v[16:17]
	v_cndmask_b32_e32 v13, v17, v13, vcc
	v_cndmask_b32_e32 v12, v16, v16, vcc
	v_cmp_ngt_f64_e32 vcc, v[10:11], v[12:13]
                                        ; implicit-def: $vgpr14_vgpr15
	s_and_saveexec_b64 s[52:53], vcc
	s_xor_b64 s[56:57], exec, s[52:53]
	s_cbranch_execnz .LBB49_109
; %bb.70:                               ;   in Loop: Header=BB49_10 Depth=2
	s_andn2_saveexec_b64 s[52:53], s[56:57]
	s_cbranch_execnz .LBB49_112
.LBB49_71:                              ;   in Loop: Header=BB49_10 Depth=2
	s_or_b64 exec, exec, s[52:53]
	v_cmp_class_f64_e64 s[54:55], v[14:15], s69
	s_and_saveexec_b64 s[52:53], s[54:55]
.LBB49_72:                              ;   in Loop: Header=BB49_10 Depth=2
	v_cmp_lt_f64_e32 vcc, v[4:5], v[14:15]
	v_cndmask_b32_e32 v5, v5, v15, vcc
	v_cndmask_b32_e32 v4, v4, v14, vcc
.LBB49_73:                              ;   in Loop: Header=BB49_10 Depth=2
	s_or_b64 exec, exec, s[52:53]
.LBB49_74:                              ;   in Loop: Header=BB49_10 Depth=2
	s_or_b64 exec, exec, s[70:71]
.LBB49_75:                              ;   in Loop: Header=BB49_10 Depth=2
	s_or_b64 exec, exec, s[94:95]
.LBB49_76:                              ;   in Loop: Header=BB49_10 Depth=2
	s_or_b64 exec, exec, s[26:27]
	s_or_b64 exec, exec, s[92:93]
	s_and_b64 s[52:53], s[90:91], s[34:35]
	s_and_saveexec_b64 s[26:27], s[52:53]
	s_cbranch_execz .LBB49_9
.LBB49_77:                              ;   in Loop: Header=BB49_10 Depth=2
	v_cmp_ge_i32_e32 vcc, v34, v49
	s_and_saveexec_b64 s[52:53], vcc
	s_xor_b64 s[70:71], exec, s[52:53]
	s_cbranch_execnz .LBB49_84
; %bb.78:                               ;   in Loop: Header=BB49_10 Depth=2
	s_andn2_saveexec_b64 s[70:71], s[70:71]
	s_cbranch_execnz .LBB49_98
.LBB49_79:                              ;   in Loop: Header=BB49_10 Depth=2
	s_or_b64 exec, exec, s[70:71]
	v_cmp_eq_u32_e32 vcc, v18, v26
	s_and_saveexec_b64 s[52:53], vcc
	s_cbranch_execz .LBB49_81
.LBB49_80:                              ;   in Loop: Header=BB49_10 Depth=2
	v_lshlrev_b64 v[10:11], 4, v[26:27]
	v_mov_b32_e32 v12, s61
	v_add_co_u32_e32 v10, vcc, s60, v10
	v_addc_co_u32_e32 v11, vcc, v12, v11, vcc
	global_load_dwordx4 v[10:13], v[10:11], off
	s_waitcnt vmcnt(0)
	v_add_f64 v[28:29], v[28:29], v[10:11]
	v_add_f64 v[30:31], v[30:31], v[12:13]
.LBB49_81:                              ;   in Loop: Header=BB49_10 Depth=2
	s_or_b64 exec, exec, s[52:53]
	v_add_f64 v[6:7], v[6:7], -v[28:29]
	v_add_f64 v[12:13], v[8:9], -v[30:31]
	v_xor_b32_e32 v8, 0x80000000, v7
	v_cmp_gt_f64_e32 vcc, 0, v[6:7]
	v_cndmask_b32_e32 v7, v7, v8, vcc
	v_cndmask_b32_e32 v6, v6, v6, vcc
	v_xor_b32_e32 v8, 0x80000000, v13
	v_cmp_gt_f64_e32 vcc, 0, v[12:13]
	v_cndmask_b32_e32 v9, v13, v8, vcc
	v_cndmask_b32_e32 v8, v12, v12, vcc
	v_cmp_ngt_f64_e32 vcc, v[6:7], v[8:9]
                                        ; implicit-def: $vgpr10_vgpr11
	s_and_saveexec_b64 s[52:53], vcc
	s_xor_b64 s[56:57], exec, s[52:53]
	s_cbranch_execnz .LBB49_89
; %bb.82:                               ;   in Loop: Header=BB49_10 Depth=2
	s_andn2_saveexec_b64 s[52:53], s[56:57]
	s_cbranch_execnz .LBB49_92
.LBB49_83:                              ;   in Loop: Header=BB49_10 Depth=2
	s_or_b64 exec, exec, s[52:53]
	v_cmp_class_f64_e64 s[54:55], v[10:11], s69
	s_and_saveexec_b64 s[52:53], s[54:55]
	s_cbranch_execz .LBB49_8
	s_branch .LBB49_93
.LBB49_84:                              ;   in Loop: Header=BB49_10 Depth=2
	v_cmp_lt_i32_e32 vcc, v20, v43
	s_and_saveexec_b64 s[76:77], vcc
	s_cbranch_execz .LBB49_97
; %bb.85:                               ;   in Loop: Header=BB49_10 Depth=2
	s_mov_b64 s[92:93], 0
                                        ; implicit-def: $sgpr90_sgpr91
                                        ; implicit-def: $sgpr58_sgpr59
                                        ; implicit-def: $sgpr56_sgpr57
	s_branch .LBB49_87
.LBB49_86:                              ;   in Loop: Header=BB49_87 Depth=3
	s_or_b64 exec, exec, s[52:53]
	s_and_b64 s[52:53], exec, s[58:59]
	s_or_b64 s[92:93], s[52:53], s[92:93]
	s_andn2_b64 s[52:53], s[90:91], exec
	s_and_b64 s[54:55], s[56:57], exec
	s_or_b64 s[90:91], s[52:53], s[54:55]
	s_andn2_b64 exec, exec, s[92:93]
	s_cbranch_execz .LBB49_94
.LBB49_87:                              ;   Parent Loop BB49_3 Depth=1
                                        ;     Parent Loop BB49_10 Depth=2
                                        ; =>    This Inner Loop Header: Depth=3
	v_add_u32_e32 v10, v22, v20
	v_ashrrev_i32_e32 v11, 31, v10
	v_lshlrev_b64 v[12:13], 2, v[10:11]
	v_mov_b32_e32 v14, s41
	v_add_co_u32_e32 v12, vcc, s40, v12
	v_addc_co_u32_e32 v13, vcc, v14, v13, vcc
	global_load_dword v12, v[12:13], off
	s_or_b64 s[56:57], s[56:57], exec
	s_or_b64 s[58:59], s[58:59], exec
	s_waitcnt vmcnt(0)
	v_subrev_u32_e32 v12, s75, v12
	v_cmp_ne_u32_e32 vcc, v12, v26
	s_and_saveexec_b64 s[52:53], vcc
	s_cbranch_execz .LBB49_86
; %bb.88:                               ;   in Loop: Header=BB49_87 Depth=3
	v_add_u32_e32 v20, 1, v20
	v_cmp_ge_i32_e32 vcc, v20, v43
	s_andn2_b64 s[54:55], s[58:59], exec
	s_and_b64 s[58:59], vcc, exec
	s_andn2_b64 s[56:57], s[56:57], exec
	s_or_b64 s[58:59], s[54:55], s[58:59]
	s_branch .LBB49_86
.LBB49_89:                              ;   in Loop: Header=BB49_10 Depth=2
	v_cmp_neq_f64_e32 vcc, 0, v[12:13]
	v_pk_mov_b32 v[10:11], 0, 0
	s_and_saveexec_b64 s[52:53], vcc
	s_cbranch_execz .LBB49_91
; %bb.90:                               ;   in Loop: Header=BB49_10 Depth=2
	v_div_scale_f64 v[10:11], s[54:55], v[8:9], v[8:9], v[6:7]
	v_rcp_f64_e32 v[12:13], v[10:11]
	v_div_scale_f64 v[14:15], vcc, v[6:7], v[8:9], v[6:7]
	v_fma_f64 v[16:17], -v[10:11], v[12:13], 1.0
	v_fmac_f64_e32 v[12:13], v[12:13], v[16:17]
	v_fma_f64 v[16:17], -v[10:11], v[12:13], 1.0
	v_fmac_f64_e32 v[12:13], v[12:13], v[16:17]
	v_mul_f64 v[16:17], v[14:15], v[12:13]
	v_fma_f64 v[10:11], -v[10:11], v[16:17], v[14:15]
	v_div_fmas_f64 v[10:11], v[10:11], v[12:13], v[16:17]
	v_div_fixup_f64 v[6:7], v[10:11], v[8:9], v[6:7]
	v_fma_f64 v[6:7], v[6:7], v[6:7], 1.0
	v_cmp_gt_f64_e32 vcc, s[82:83], v[6:7]
	v_cndmask_b32_e64 v10, 0, 1, vcc
	v_lshlrev_b32_e32 v10, 8, v10
	v_ldexp_f64 v[6:7], v[6:7], v10
	v_rsq_f64_e32 v[10:11], v[6:7]
	v_mul_f64 v[12:13], v[6:7], v[10:11]
	v_mul_f64 v[10:11], v[10:11], 0.5
	v_fma_f64 v[14:15], -v[10:11], v[12:13], 0.5
	v_fmac_f64_e32 v[12:13], v[12:13], v[14:15]
	v_fma_f64 v[16:17], -v[12:13], v[12:13], v[6:7]
	v_fmac_f64_e32 v[10:11], v[10:11], v[14:15]
	v_fmac_f64_e32 v[12:13], v[16:17], v[10:11]
	v_fma_f64 v[14:15], -v[12:13], v[12:13], v[6:7]
	v_fmac_f64_e32 v[12:13], v[14:15], v[10:11]
	v_cndmask_b32_e32 v10, 0, v42, vcc
	v_ldexp_f64 v[10:11], v[12:13], v10
	v_cmp_class_f64_e32 vcc, v[6:7], v19
	v_cndmask_b32_e32 v7, v11, v7, vcc
	v_cndmask_b32_e32 v6, v10, v6, vcc
	v_mul_f64 v[10:11], v[8:9], v[6:7]
.LBB49_91:                              ;   in Loop: Header=BB49_10 Depth=2
	s_or_b64 exec, exec, s[52:53]
                                        ; implicit-def: $vgpr6_vgpr7
                                        ; implicit-def: $vgpr8_vgpr9
	s_andn2_saveexec_b64 s[52:53], s[56:57]
	s_cbranch_execz .LBB49_83
.LBB49_92:                              ;   in Loop: Header=BB49_10 Depth=2
	v_div_scale_f64 v[10:11], s[54:55], v[6:7], v[6:7], v[8:9]
	v_rcp_f64_e32 v[12:13], v[10:11]
	v_div_scale_f64 v[14:15], vcc, v[8:9], v[6:7], v[8:9]
	v_fma_f64 v[16:17], -v[10:11], v[12:13], 1.0
	v_fmac_f64_e32 v[12:13], v[12:13], v[16:17]
	v_fma_f64 v[16:17], -v[10:11], v[12:13], 1.0
	v_fmac_f64_e32 v[12:13], v[12:13], v[16:17]
	v_mul_f64 v[16:17], v[14:15], v[12:13]
	v_fma_f64 v[10:11], -v[10:11], v[16:17], v[14:15]
	v_div_fmas_f64 v[10:11], v[10:11], v[12:13], v[16:17]
	v_div_fixup_f64 v[8:9], v[10:11], v[6:7], v[8:9]
	v_fma_f64 v[8:9], v[8:9], v[8:9], 1.0
	v_cmp_gt_f64_e32 vcc, s[82:83], v[8:9]
	v_cndmask_b32_e64 v10, 0, 1, vcc
	v_lshlrev_b32_e32 v10, 8, v10
	v_ldexp_f64 v[8:9], v[8:9], v10
	v_rsq_f64_e32 v[10:11], v[8:9]
	v_mul_f64 v[12:13], v[8:9], v[10:11]
	v_mul_f64 v[10:11], v[10:11], 0.5
	v_fma_f64 v[14:15], -v[10:11], v[12:13], 0.5
	v_fmac_f64_e32 v[12:13], v[12:13], v[14:15]
	v_fma_f64 v[16:17], -v[12:13], v[12:13], v[8:9]
	v_fmac_f64_e32 v[10:11], v[10:11], v[14:15]
	v_fmac_f64_e32 v[12:13], v[16:17], v[10:11]
	v_fma_f64 v[14:15], -v[12:13], v[12:13], v[8:9]
	v_fmac_f64_e32 v[12:13], v[14:15], v[10:11]
	v_cndmask_b32_e32 v10, 0, v42, vcc
	v_ldexp_f64 v[10:11], v[12:13], v10
	v_cmp_class_f64_e32 vcc, v[8:9], v19
	v_cndmask_b32_e32 v9, v11, v9, vcc
	v_cndmask_b32_e32 v8, v10, v8, vcc
	v_mul_f64 v[10:11], v[6:7], v[8:9]
	s_or_b64 exec, exec, s[52:53]
	v_cmp_class_f64_e64 s[54:55], v[10:11], s69
	s_and_saveexec_b64 s[52:53], s[54:55]
	s_cbranch_execz .LBB49_8
.LBB49_93:                              ;   in Loop: Header=BB49_10 Depth=2
	v_cmp_lt_f64_e32 vcc, v[2:3], v[10:11]
	v_cndmask_b32_e32 v3, v3, v11, vcc
	v_cndmask_b32_e32 v2, v2, v10, vcc
	s_branch .LBB49_8
.LBB49_94:                              ;   in Loop: Header=BB49_10 Depth=2
	s_or_b64 exec, exec, s[92:93]
	s_and_saveexec_b64 s[52:53], s[90:91]
	s_xor_b64 s[52:53], exec, s[52:53]
	s_cbranch_execz .LBB49_96
; %bb.95:                               ;   in Loop: Header=BB49_10 Depth=2
	v_lshlrev_b64 v[10:11], 4, v[10:11]
	v_mov_b32_e32 v12, s43
	v_add_co_u32_e32 v14, vcc, s42, v10
	v_addc_co_u32_e32 v15, vcc, v12, v11, vcc
	v_lshlrev_b64 v[10:11], 4, v[26:27]
	v_mov_b32_e32 v12, s61
	v_add_co_u32_e32 v10, vcc, s60, v10
	v_addc_co_u32_e32 v11, vcc, v12, v11, vcc
	global_load_dwordx4 v[10:13], v[10:11], off
	s_nop 0
	global_load_dwordx4 v[14:17], v[14:15], off
	s_waitcnt vmcnt(0)
	v_mul_f64 v[32:33], v[12:13], -v[16:17]
	v_mul_f64 v[12:13], v[12:13], v[14:15]
	v_fmac_f64_e32 v[32:33], v[14:15], v[10:11]
	v_fmac_f64_e32 v[12:13], v[16:17], v[10:11]
	v_add_f64 v[28:29], v[28:29], v[32:33]
	v_add_f64 v[30:31], v[30:31], v[12:13]
.LBB49_96:                              ;   in Loop: Header=BB49_10 Depth=2
	s_or_b64 exec, exec, s[52:53]
.LBB49_97:                              ;   in Loop: Header=BB49_10 Depth=2
	s_or_b64 exec, exec, s[76:77]
                                        ; implicit-def: $vgpr34
                                        ; implicit-def: $vgpr32
                                        ; implicit-def: $vgpr49
	s_andn2_saveexec_b64 s[70:71], s[70:71]
	s_cbranch_execz .LBB49_79
.LBB49_98:                              ;   in Loop: Header=BB49_10 Depth=2
	s_mov_b64 s[90:91], 0
                                        ; implicit-def: $sgpr76_sgpr77
                                        ; implicit-def: $sgpr58_sgpr59
                                        ; implicit-def: $sgpr56_sgpr57
	s_branch .LBB49_100
.LBB49_99:                              ;   in Loop: Header=BB49_100 Depth=3
	s_or_b64 exec, exec, s[52:53]
	s_and_b64 s[52:53], exec, s[58:59]
	s_or_b64 s[90:91], s[52:53], s[90:91]
	s_andn2_b64 s[52:53], s[76:77], exec
	s_and_b64 s[54:55], s[56:57], exec
	s_or_b64 s[76:77], s[52:53], s[54:55]
	s_andn2_b64 exec, exec, s[90:91]
	s_cbranch_execz .LBB49_102
.LBB49_100:                             ;   Parent Loop BB49_3 Depth=1
                                        ;     Parent Loop BB49_10 Depth=2
                                        ; =>    This Inner Loop Header: Depth=3
	v_add_u32_e32 v10, v32, v34
	v_ashrrev_i32_e32 v11, 31, v10
	v_lshlrev_b64 v[12:13], 2, v[10:11]
	v_mov_b32_e32 v14, s49
	v_add_co_u32_e32 v12, vcc, s48, v12
	v_addc_co_u32_e32 v13, vcc, v14, v13, vcc
	global_load_dword v12, v[12:13], off
	s_or_b64 s[56:57], s[56:57], exec
	s_or_b64 s[58:59], s[58:59], exec
	s_waitcnt vmcnt(0)
	v_subrev_u32_e32 v12, s84, v12
	v_cmp_ne_u32_e32 vcc, v12, v18
	s_and_saveexec_b64 s[52:53], vcc
	s_cbranch_execz .LBB49_99
; %bb.101:                              ;   in Loop: Header=BB49_100 Depth=3
	v_add_u32_e32 v34, 1, v34
	v_cmp_ge_i32_e32 vcc, v34, v49
	s_andn2_b64 s[54:55], s[58:59], exec
	s_and_b64 s[58:59], vcc, exec
	s_andn2_b64 s[56:57], s[56:57], exec
	s_or_b64 s[58:59], s[54:55], s[58:59]
	s_branch .LBB49_99
.LBB49_102:                             ;   in Loop: Header=BB49_10 Depth=2
	s_or_b64 exec, exec, s[90:91]
	s_and_saveexec_b64 s[52:53], s[76:77]
	s_xor_b64 s[52:53], exec, s[52:53]
	s_cbranch_execz .LBB49_104
; %bb.103:                              ;   in Loop: Header=BB49_10 Depth=2
	v_lshlrev_b64 v[10:11], 4, v[10:11]
	v_mov_b32_e32 v12, s51
	v_add_co_u32_e32 v10, vcc, s50, v10
	v_addc_co_u32_e32 v11, vcc, v12, v11, vcc
	global_load_dwordx4 v[10:13], v[10:11], off
	s_waitcnt vmcnt(0)
	v_add_f64 v[28:29], v[28:29], v[10:11]
	v_add_f64 v[30:31], v[30:31], v[12:13]
.LBB49_104:                             ;   in Loop: Header=BB49_10 Depth=2
	s_or_b64 exec, exec, s[52:53]
	s_or_b64 exec, exec, s[70:71]
	v_cmp_eq_u32_e32 vcc, v18, v26
	s_and_saveexec_b64 s[52:53], vcc
	s_cbranch_execnz .LBB49_80
	s_branch .LBB49_81
.LBB49_105:                             ;   in Loop: Header=BB49_10 Depth=2
	v_cmp_neq_f64_e32 vcc, 0, v[16:17]
	v_pk_mov_b32 v[14:15], 0, 0
	s_and_saveexec_b64 s[52:53], vcc
	s_cbranch_execz .LBB49_107
; %bb.106:                              ;   in Loop: Header=BB49_10 Depth=2
	v_div_scale_f64 v[14:15], s[54:55], v[12:13], v[12:13], v[10:11]
	v_rcp_f64_e32 v[16:17], v[14:15]
	v_div_scale_f64 v[36:37], vcc, v[10:11], v[12:13], v[10:11]
	v_fma_f64 v[38:39], -v[14:15], v[16:17], 1.0
	v_fmac_f64_e32 v[16:17], v[16:17], v[38:39]
	v_fma_f64 v[38:39], -v[14:15], v[16:17], 1.0
	v_fmac_f64_e32 v[16:17], v[16:17], v[38:39]
	v_mul_f64 v[38:39], v[36:37], v[16:17]
	v_fma_f64 v[14:15], -v[14:15], v[38:39], v[36:37]
	v_div_fmas_f64 v[14:15], v[14:15], v[16:17], v[38:39]
	v_div_fixup_f64 v[10:11], v[14:15], v[12:13], v[10:11]
	v_fma_f64 v[10:11], v[10:11], v[10:11], 1.0
	v_cmp_gt_f64_e32 vcc, s[82:83], v[10:11]
	v_cndmask_b32_e64 v14, 0, 1, vcc
	v_lshlrev_b32_e32 v14, 8, v14
	v_ldexp_f64 v[10:11], v[10:11], v14
	v_rsq_f64_e32 v[14:15], v[10:11]
	v_mul_f64 v[16:17], v[10:11], v[14:15]
	v_mul_f64 v[14:15], v[14:15], 0.5
	v_fma_f64 v[36:37], -v[14:15], v[16:17], 0.5
	v_fmac_f64_e32 v[16:17], v[16:17], v[36:37]
	v_fmac_f64_e32 v[14:15], v[14:15], v[36:37]
	v_fma_f64 v[36:37], -v[16:17], v[16:17], v[10:11]
	v_fmac_f64_e32 v[16:17], v[36:37], v[14:15]
	v_fma_f64 v[36:37], -v[16:17], v[16:17], v[10:11]
	v_fmac_f64_e32 v[16:17], v[36:37], v[14:15]
	v_cndmask_b32_e32 v14, 0, v42, vcc
	v_ldexp_f64 v[14:15], v[16:17], v14
	v_cmp_class_f64_e32 vcc, v[10:11], v19
	v_cndmask_b32_e32 v11, v15, v11, vcc
	v_cndmask_b32_e32 v10, v14, v10, vcc
	v_mul_f64 v[14:15], v[12:13], v[10:11]
.LBB49_107:                             ;   in Loop: Header=BB49_10 Depth=2
	s_or_b64 exec, exec, s[52:53]
                                        ; implicit-def: $vgpr10_vgpr11
                                        ; implicit-def: $vgpr12_vgpr13
	s_andn2_saveexec_b64 s[52:53], s[56:57]
	s_cbranch_execz .LBB49_41
.LBB49_108:                             ;   in Loop: Header=BB49_10 Depth=2
	v_div_scale_f64 v[14:15], s[54:55], v[10:11], v[10:11], v[12:13]
	v_rcp_f64_e32 v[16:17], v[14:15]
	v_div_scale_f64 v[36:37], vcc, v[12:13], v[10:11], v[12:13]
	v_fma_f64 v[38:39], -v[14:15], v[16:17], 1.0
	v_fmac_f64_e32 v[16:17], v[16:17], v[38:39]
	v_fma_f64 v[38:39], -v[14:15], v[16:17], 1.0
	v_fmac_f64_e32 v[16:17], v[16:17], v[38:39]
	v_mul_f64 v[38:39], v[36:37], v[16:17]
	v_fma_f64 v[14:15], -v[14:15], v[38:39], v[36:37]
	v_div_fmas_f64 v[14:15], v[14:15], v[16:17], v[38:39]
	v_div_fixup_f64 v[12:13], v[14:15], v[10:11], v[12:13]
	v_fma_f64 v[12:13], v[12:13], v[12:13], 1.0
	v_cmp_gt_f64_e32 vcc, s[82:83], v[12:13]
	v_cndmask_b32_e64 v14, 0, 1, vcc
	v_lshlrev_b32_e32 v14, 8, v14
	v_ldexp_f64 v[12:13], v[12:13], v14
	v_rsq_f64_e32 v[14:15], v[12:13]
	v_mul_f64 v[16:17], v[12:13], v[14:15]
	v_mul_f64 v[14:15], v[14:15], 0.5
	v_fma_f64 v[36:37], -v[14:15], v[16:17], 0.5
	v_fmac_f64_e32 v[16:17], v[16:17], v[36:37]
	v_fmac_f64_e32 v[14:15], v[14:15], v[36:37]
	v_fma_f64 v[36:37], -v[16:17], v[16:17], v[12:13]
	v_fmac_f64_e32 v[16:17], v[36:37], v[14:15]
	v_fma_f64 v[36:37], -v[16:17], v[16:17], v[12:13]
	v_fmac_f64_e32 v[16:17], v[36:37], v[14:15]
	v_cndmask_b32_e32 v14, 0, v42, vcc
	v_ldexp_f64 v[14:15], v[16:17], v14
	v_cmp_class_f64_e32 vcc, v[12:13], v19
	v_cndmask_b32_e32 v13, v15, v13, vcc
	v_cndmask_b32_e32 v12, v14, v12, vcc
	v_mul_f64 v[14:15], v[10:11], v[12:13]
	s_or_b64 exec, exec, s[52:53]
	v_cmp_class_f64_e64 s[54:55], v[14:15], s69
	s_and_saveexec_b64 s[52:53], s[54:55]
	s_cbranch_execnz .LBB49_42
	s_branch .LBB49_43
.LBB49_109:                             ;   in Loop: Header=BB49_10 Depth=2
	v_cmp_neq_f64_e32 vcc, 0, v[16:17]
	v_pk_mov_b32 v[14:15], 0, 0
	s_and_saveexec_b64 s[52:53], vcc
	s_cbranch_execz .LBB49_111
; %bb.110:                              ;   in Loop: Header=BB49_10 Depth=2
	v_div_scale_f64 v[14:15], s[54:55], v[12:13], v[12:13], v[10:11]
	v_rcp_f64_e32 v[16:17], v[14:15]
	v_div_scale_f64 v[36:37], vcc, v[10:11], v[12:13], v[10:11]
	v_fma_f64 v[38:39], -v[14:15], v[16:17], 1.0
	v_fmac_f64_e32 v[16:17], v[16:17], v[38:39]
	v_fma_f64 v[38:39], -v[14:15], v[16:17], 1.0
	v_fmac_f64_e32 v[16:17], v[16:17], v[38:39]
	v_mul_f64 v[38:39], v[36:37], v[16:17]
	v_fma_f64 v[14:15], -v[14:15], v[38:39], v[36:37]
	v_div_fmas_f64 v[14:15], v[14:15], v[16:17], v[38:39]
	v_div_fixup_f64 v[10:11], v[14:15], v[12:13], v[10:11]
	v_fma_f64 v[10:11], v[10:11], v[10:11], 1.0
	v_cmp_gt_f64_e32 vcc, s[82:83], v[10:11]
	v_cndmask_b32_e64 v14, 0, 1, vcc
	v_lshlrev_b32_e32 v14, 8, v14
	v_ldexp_f64 v[10:11], v[10:11], v14
	v_rsq_f64_e32 v[14:15], v[10:11]
	v_mul_f64 v[16:17], v[10:11], v[14:15]
	v_mul_f64 v[14:15], v[14:15], 0.5
	v_fma_f64 v[36:37], -v[14:15], v[16:17], 0.5
	v_fmac_f64_e32 v[16:17], v[16:17], v[36:37]
	v_fmac_f64_e32 v[14:15], v[14:15], v[36:37]
	v_fma_f64 v[36:37], -v[16:17], v[16:17], v[10:11]
	v_fmac_f64_e32 v[16:17], v[36:37], v[14:15]
	v_fma_f64 v[36:37], -v[16:17], v[16:17], v[10:11]
	v_fmac_f64_e32 v[16:17], v[36:37], v[14:15]
	v_cndmask_b32_e32 v14, 0, v42, vcc
	v_ldexp_f64 v[14:15], v[16:17], v14
	v_cmp_class_f64_e32 vcc, v[10:11], v19
	v_cndmask_b32_e32 v11, v15, v11, vcc
	v_cndmask_b32_e32 v10, v14, v10, vcc
	v_mul_f64 v[14:15], v[12:13], v[10:11]
.LBB49_111:                             ;   in Loop: Header=BB49_10 Depth=2
	s_or_b64 exec, exec, s[52:53]
                                        ; implicit-def: $vgpr10_vgpr11
                                        ; implicit-def: $vgpr12_vgpr13
	s_andn2_saveexec_b64 s[52:53], s[56:57]
	s_cbranch_execz .LBB49_71
.LBB49_112:                             ;   in Loop: Header=BB49_10 Depth=2
	v_div_scale_f64 v[14:15], s[54:55], v[10:11], v[10:11], v[12:13]
	v_rcp_f64_e32 v[16:17], v[14:15]
	v_div_scale_f64 v[36:37], vcc, v[12:13], v[10:11], v[12:13]
	v_fma_f64 v[38:39], -v[14:15], v[16:17], 1.0
	v_fmac_f64_e32 v[16:17], v[16:17], v[38:39]
	v_fma_f64 v[38:39], -v[14:15], v[16:17], 1.0
	v_fmac_f64_e32 v[16:17], v[16:17], v[38:39]
	v_mul_f64 v[38:39], v[36:37], v[16:17]
	v_fma_f64 v[14:15], -v[14:15], v[38:39], v[36:37]
	v_div_fmas_f64 v[14:15], v[14:15], v[16:17], v[38:39]
	v_div_fixup_f64 v[12:13], v[14:15], v[10:11], v[12:13]
	v_fma_f64 v[12:13], v[12:13], v[12:13], 1.0
	v_cmp_gt_f64_e32 vcc, s[82:83], v[12:13]
	v_cndmask_b32_e64 v14, 0, 1, vcc
	v_lshlrev_b32_e32 v14, 8, v14
	v_ldexp_f64 v[12:13], v[12:13], v14
	v_rsq_f64_e32 v[14:15], v[12:13]
	v_mul_f64 v[16:17], v[12:13], v[14:15]
	v_mul_f64 v[14:15], v[14:15], 0.5
	v_fma_f64 v[36:37], -v[14:15], v[16:17], 0.5
	v_fmac_f64_e32 v[16:17], v[16:17], v[36:37]
	v_fmac_f64_e32 v[14:15], v[14:15], v[36:37]
	v_fma_f64 v[36:37], -v[16:17], v[16:17], v[12:13]
	v_fmac_f64_e32 v[16:17], v[36:37], v[14:15]
	v_fma_f64 v[36:37], -v[16:17], v[16:17], v[12:13]
	v_fmac_f64_e32 v[16:17], v[36:37], v[14:15]
	v_cndmask_b32_e32 v14, 0, v42, vcc
	v_ldexp_f64 v[14:15], v[16:17], v14
	v_cmp_class_f64_e32 vcc, v[12:13], v19
	v_cndmask_b32_e32 v13, v15, v13, vcc
	v_cndmask_b32_e32 v12, v14, v12, vcc
	v_mul_f64 v[14:15], v[10:11], v[12:13]
	s_or_b64 exec, exec, s[52:53]
	v_cmp_class_f64_e64 s[54:55], v[14:15], s69
	s_and_saveexec_b64 s[52:53], s[54:55]
	s_cbranch_execnz .LBB49_72
	s_branch .LBB49_73
.LBB49_113:                             ;   in Loop: Header=BB49_10 Depth=2
	v_cmp_neq_f64_e32 vcc, 0, v[16:17]
	v_pk_mov_b32 v[14:15], 0, 0
	s_and_saveexec_b64 s[52:53], vcc
	s_cbranch_execz .LBB49_115
; %bb.114:                              ;   in Loop: Header=BB49_10 Depth=2
	v_div_scale_f64 v[14:15], s[54:55], v[12:13], v[12:13], v[10:11]
	v_rcp_f64_e32 v[16:17], v[14:15]
	v_div_scale_f64 v[36:37], vcc, v[10:11], v[12:13], v[10:11]
	v_fma_f64 v[38:39], -v[14:15], v[16:17], 1.0
	v_fmac_f64_e32 v[16:17], v[16:17], v[38:39]
	v_fma_f64 v[38:39], -v[14:15], v[16:17], 1.0
	v_fmac_f64_e32 v[16:17], v[16:17], v[38:39]
	v_mul_f64 v[38:39], v[36:37], v[16:17]
	v_fma_f64 v[14:15], -v[14:15], v[38:39], v[36:37]
	v_div_fmas_f64 v[14:15], v[14:15], v[16:17], v[38:39]
	v_div_fixup_f64 v[10:11], v[14:15], v[12:13], v[10:11]
	v_fma_f64 v[10:11], v[10:11], v[10:11], 1.0
	v_cmp_gt_f64_e32 vcc, s[82:83], v[10:11]
	v_cndmask_b32_e64 v14, 0, 1, vcc
	v_lshlrev_b32_e32 v14, 8, v14
	v_ldexp_f64 v[10:11], v[10:11], v14
	v_rsq_f64_e32 v[14:15], v[10:11]
	v_mul_f64 v[16:17], v[10:11], v[14:15]
	v_mul_f64 v[14:15], v[14:15], 0.5
	v_fma_f64 v[36:37], -v[14:15], v[16:17], 0.5
	v_fmac_f64_e32 v[16:17], v[16:17], v[36:37]
	v_fmac_f64_e32 v[14:15], v[14:15], v[36:37]
	v_fma_f64 v[36:37], -v[16:17], v[16:17], v[10:11]
	v_fmac_f64_e32 v[16:17], v[36:37], v[14:15]
	v_fma_f64 v[36:37], -v[16:17], v[16:17], v[10:11]
	v_fmac_f64_e32 v[16:17], v[36:37], v[14:15]
	v_cndmask_b32_e32 v14, 0, v42, vcc
	v_ldexp_f64 v[14:15], v[16:17], v14
	v_cmp_class_f64_e32 vcc, v[10:11], v19
	v_cndmask_b32_e32 v11, v15, v11, vcc
	v_cndmask_b32_e32 v10, v14, v10, vcc
	v_mul_f64 v[14:15], v[12:13], v[10:11]
.LBB49_115:                             ;   in Loop: Header=BB49_10 Depth=2
	s_or_b64 exec, exec, s[52:53]
                                        ; implicit-def: $vgpr10_vgpr11
                                        ; implicit-def: $vgpr12_vgpr13
	s_andn2_saveexec_b64 s[52:53], s[56:57]
	s_cbranch_execz .LBB49_55
.LBB49_116:                             ;   in Loop: Header=BB49_10 Depth=2
	v_div_scale_f64 v[14:15], s[54:55], v[10:11], v[10:11], v[12:13]
	v_rcp_f64_e32 v[16:17], v[14:15]
	v_div_scale_f64 v[36:37], vcc, v[12:13], v[10:11], v[12:13]
	v_fma_f64 v[38:39], -v[14:15], v[16:17], 1.0
	v_fmac_f64_e32 v[16:17], v[16:17], v[38:39]
	v_fma_f64 v[38:39], -v[14:15], v[16:17], 1.0
	v_fmac_f64_e32 v[16:17], v[16:17], v[38:39]
	v_mul_f64 v[38:39], v[36:37], v[16:17]
	v_fma_f64 v[14:15], -v[14:15], v[38:39], v[36:37]
	v_div_fmas_f64 v[14:15], v[14:15], v[16:17], v[38:39]
	v_div_fixup_f64 v[12:13], v[14:15], v[10:11], v[12:13]
	v_fma_f64 v[12:13], v[12:13], v[12:13], 1.0
	v_cmp_gt_f64_e32 vcc, s[82:83], v[12:13]
	v_cndmask_b32_e64 v14, 0, 1, vcc
	v_lshlrev_b32_e32 v14, 8, v14
	v_ldexp_f64 v[12:13], v[12:13], v14
	v_rsq_f64_e32 v[14:15], v[12:13]
	v_mul_f64 v[16:17], v[12:13], v[14:15]
	v_mul_f64 v[14:15], v[14:15], 0.5
	v_fma_f64 v[36:37], -v[14:15], v[16:17], 0.5
	v_fmac_f64_e32 v[16:17], v[16:17], v[36:37]
	v_fmac_f64_e32 v[14:15], v[14:15], v[36:37]
	v_fma_f64 v[36:37], -v[16:17], v[16:17], v[12:13]
	v_fmac_f64_e32 v[16:17], v[36:37], v[14:15]
	v_fma_f64 v[36:37], -v[16:17], v[16:17], v[12:13]
	v_fmac_f64_e32 v[16:17], v[36:37], v[14:15]
	v_cndmask_b32_e32 v14, 0, v42, vcc
	v_ldexp_f64 v[14:15], v[16:17], v14
	v_cmp_class_f64_e32 vcc, v[12:13], v19
	v_cndmask_b32_e32 v13, v15, v13, vcc
	v_cndmask_b32_e32 v12, v14, v12, vcc
	v_mul_f64 v[14:15], v[10:11], v[12:13]
	s_or_b64 exec, exec, s[52:53]
	v_cmp_class_f64_e64 s[54:55], v[14:15], s69
	s_and_saveexec_b64 s[52:53], s[54:55]
	s_cbranch_execnz .LBB49_56
	s_branch .LBB49_57
.LBB49_117:                             ;   in Loop: Header=BB49_3 Depth=1
	s_or_b64 exec, exec, s[88:89]
	s_or_b64 exec, exec, s[86:87]
	s_andn2_b64 vcc, exec, s[64:65]
	s_cbranch_vccnz .LBB49_5
.LBB49_118:                             ;   in Loop: Header=BB49_3 Depth=1
	ds_write_b64 v1, v[4:5]
	s_waitcnt lgkmcnt(0)
	s_barrier
	s_and_saveexec_b64 s[26:27], s[16:17]
	s_cbranch_execz .LBB49_120
; %bb.119:                              ;   in Loop: Header=BB49_3 Depth=1
	ds_read2st64_b64 v[4:7], v1 offset1:8
	s_waitcnt lgkmcnt(0)
	v_cmp_lt_f64_e32 vcc, v[4:5], v[6:7]
	v_cndmask_b32_e32 v5, v5, v7, vcc
	v_cndmask_b32_e32 v4, v4, v6, vcc
	ds_write_b64 v1, v[4:5]
.LBB49_120:                             ;   in Loop: Header=BB49_3 Depth=1
	s_or_b64 exec, exec, s[26:27]
	s_waitcnt lgkmcnt(0)
	s_barrier
	s_and_saveexec_b64 s[26:27], s[18:19]
	s_cbranch_execz .LBB49_122
; %bb.121:                              ;   in Loop: Header=BB49_3 Depth=1
	ds_read2st64_b64 v[4:7], v1 offset1:4
	s_waitcnt lgkmcnt(0)
	v_cmp_lt_f64_e32 vcc, v[4:5], v[6:7]
	v_cndmask_b32_e32 v5, v5, v7, vcc
	v_cndmask_b32_e32 v4, v4, v6, vcc
	ds_write_b64 v1, v[4:5]
.LBB49_122:                             ;   in Loop: Header=BB49_3 Depth=1
	s_or_b64 exec, exec, s[26:27]
	;; [unrolled: 13-line block ×4, first 2 shown]
	s_waitcnt lgkmcnt(0)
	s_barrier
	s_and_saveexec_b64 s[26:27], s[2:3]
	s_cbranch_execz .LBB49_128
; %bb.127:                              ;   in Loop: Header=BB49_3 Depth=1
	ds_read2_b64 v[4:7], v1 offset1:32
	s_waitcnt lgkmcnt(0)
	v_cmp_lt_f64_e32 vcc, v[4:5], v[6:7]
	v_cndmask_b32_e32 v5, v5, v7, vcc
	v_cndmask_b32_e32 v4, v4, v6, vcc
	ds_write_b64 v1, v[4:5]
.LBB49_128:                             ;   in Loop: Header=BB49_3 Depth=1
	s_or_b64 exec, exec, s[26:27]
	s_waitcnt lgkmcnt(0)
	s_barrier
	s_and_saveexec_b64 s[26:27], s[4:5]
	s_cbranch_execz .LBB49_130
; %bb.129:                              ;   in Loop: Header=BB49_3 Depth=1
	ds_read2_b64 v[4:7], v1 offset1:16
	s_waitcnt lgkmcnt(0)
	v_cmp_lt_f64_e32 vcc, v[4:5], v[6:7]
	v_cndmask_b32_e32 v5, v5, v7, vcc
	v_cndmask_b32_e32 v4, v4, v6, vcc
	ds_write_b64 v1, v[4:5]
.LBB49_130:                             ;   in Loop: Header=BB49_3 Depth=1
	s_or_b64 exec, exec, s[26:27]
	;; [unrolled: 13-line block ×5, first 2 shown]
	s_waitcnt lgkmcnt(0)
	s_barrier
	s_and_saveexec_b64 s[26:27], s[12:13]
	s_cbranch_execz .LBB49_138
; %bb.137:                              ;   in Loop: Header=BB49_3 Depth=1
	ds_read_b128 v[4:7], v21
	s_waitcnt lgkmcnt(0)
	v_cmp_lt_f64_e32 vcc, v[4:5], v[6:7]
	v_cndmask_b32_e32 v5, v5, v7, vcc
	v_cndmask_b32_e32 v4, v4, v6, vcc
	ds_write_b64 v21, v[4:5]
.LBB49_138:                             ;   in Loop: Header=BB49_3 Depth=1
	s_or_b64 exec, exec, s[26:27]
	v_readlane_b32 s26, v56, 12
	v_readlane_b32 s27, v56, 13
	s_waitcnt lgkmcnt(0)
	s_barrier
	ds_read_b64 v[4:5], v21
	s_load_dwordx2 s[26:27], s[26:27], 0x0
	s_waitcnt lgkmcnt(0)
	v_div_scale_f64 v[6:7], s[52:53], s[26:27], s[26:27], v[4:5]
	v_rcp_f64_e32 v[8:9], v[6:7]
	v_div_scale_f64 v[10:11], vcc, v[4:5], s[26:27], v[4:5]
	v_fma_f64 v[12:13], -v[6:7], v[8:9], 1.0
	v_fmac_f64_e32 v[8:9], v[8:9], v[12:13]
	v_fma_f64 v[12:13], -v[6:7], v[8:9], 1.0
	v_fmac_f64_e32 v[8:9], v[8:9], v[12:13]
	v_mul_f64 v[12:13], v[10:11], v[8:9]
	v_fma_f64 v[6:7], -v[6:7], v[12:13], v[10:11]
	v_div_fmas_f64 v[6:7], v[6:7], v[8:9], v[12:13]
	v_div_fixup_f64 v[4:5], v[6:7], s[26:27], v[4:5]
	s_andn2_b64 vcc, exec, s[34:35]
	s_cbranch_vccnz .LBB49_6
.LBB49_139:                             ;   in Loop: Header=BB49_3 Depth=1
	ds_write_b64 v1, v[2:3]
	s_waitcnt lgkmcnt(0)
	s_barrier
	s_and_saveexec_b64 s[26:27], s[16:17]
	s_cbranch_execz .LBB49_141
; %bb.140:                              ;   in Loop: Header=BB49_3 Depth=1
	ds_read2st64_b64 v[6:9], v1 offset1:8
	s_waitcnt lgkmcnt(0)
	v_cmp_lt_f64_e32 vcc, v[6:7], v[8:9]
	v_cndmask_b32_e32 v3, v7, v9, vcc
	v_cndmask_b32_e32 v2, v6, v8, vcc
	ds_write_b64 v1, v[2:3]
.LBB49_141:                             ;   in Loop: Header=BB49_3 Depth=1
	s_or_b64 exec, exec, s[26:27]
	s_waitcnt lgkmcnt(0)
	s_barrier
	s_and_saveexec_b64 s[26:27], s[18:19]
	s_cbranch_execz .LBB49_143
; %bb.142:                              ;   in Loop: Header=BB49_3 Depth=1
	ds_read2st64_b64 v[6:9], v1 offset1:4
	s_waitcnt lgkmcnt(0)
	v_cmp_lt_f64_e32 vcc, v[6:7], v[8:9]
	v_cndmask_b32_e32 v3, v7, v9, vcc
	v_cndmask_b32_e32 v2, v6, v8, vcc
	ds_write_b64 v1, v[2:3]
.LBB49_143:                             ;   in Loop: Header=BB49_3 Depth=1
	s_or_b64 exec, exec, s[26:27]
	;; [unrolled: 13-line block ×4, first 2 shown]
	s_waitcnt lgkmcnt(0)
	s_barrier
	s_and_saveexec_b64 s[26:27], s[2:3]
	s_cbranch_execz .LBB49_149
; %bb.148:                              ;   in Loop: Header=BB49_3 Depth=1
	ds_read2_b64 v[6:9], v1 offset1:32
	s_waitcnt lgkmcnt(0)
	v_cmp_lt_f64_e32 vcc, v[6:7], v[8:9]
	v_cndmask_b32_e32 v3, v7, v9, vcc
	v_cndmask_b32_e32 v2, v6, v8, vcc
	ds_write_b64 v1, v[2:3]
.LBB49_149:                             ;   in Loop: Header=BB49_3 Depth=1
	s_or_b64 exec, exec, s[26:27]
	s_waitcnt lgkmcnt(0)
	s_barrier
	s_and_saveexec_b64 s[26:27], s[4:5]
	s_cbranch_execz .LBB49_151
; %bb.150:                              ;   in Loop: Header=BB49_3 Depth=1
	ds_read2_b64 v[6:9], v1 offset1:16
	s_waitcnt lgkmcnt(0)
	v_cmp_lt_f64_e32 vcc, v[6:7], v[8:9]
	v_cndmask_b32_e32 v3, v7, v9, vcc
	v_cndmask_b32_e32 v2, v6, v8, vcc
	ds_write_b64 v1, v[2:3]
.LBB49_151:                             ;   in Loop: Header=BB49_3 Depth=1
	s_or_b64 exec, exec, s[26:27]
	;; [unrolled: 13-line block ×5, first 2 shown]
	s_waitcnt lgkmcnt(0)
	s_barrier
	s_and_saveexec_b64 s[26:27], s[12:13]
	s_cbranch_execz .LBB49_159
; %bb.158:                              ;   in Loop: Header=BB49_3 Depth=1
	ds_read_b128 v[6:9], v21
	s_waitcnt lgkmcnt(0)
	v_cmp_lt_f64_e32 vcc, v[6:7], v[8:9]
	v_cndmask_b32_e32 v3, v7, v9, vcc
	v_cndmask_b32_e32 v2, v6, v8, vcc
	ds_write_b64 v21, v[2:3]
.LBB49_159:                             ;   in Loop: Header=BB49_3 Depth=1
	s_or_b64 exec, exec, s[26:27]
	v_readlane_b32 s26, v56, 12
	v_readlane_b32 s27, v56, 13
	s_waitcnt lgkmcnt(0)
	s_barrier
	ds_read_b64 v[2:3], v21
	s_load_dwordx2 s[26:27], s[26:27], 0x0
	s_waitcnt lgkmcnt(0)
	v_div_scale_f64 v[6:7], s[52:53], s[26:27], s[26:27], v[2:3]
	v_rcp_f64_e32 v[8:9], v[6:7]
	v_div_scale_f64 v[10:11], vcc, v[2:3], s[26:27], v[2:3]
	v_fma_f64 v[12:13], -v[6:7], v[8:9], 1.0
	v_fmac_f64_e32 v[8:9], v[8:9], v[12:13]
	v_fma_f64 v[12:13], -v[6:7], v[8:9], 1.0
	v_fmac_f64_e32 v[8:9], v[8:9], v[12:13]
	v_mul_f64 v[12:13], v[10:11], v[8:9]
	v_fma_f64 v[6:7], -v[6:7], v[12:13], v[10:11]
	v_div_fmas_f64 v[6:7], v[6:7], v[8:9], v[12:13]
	v_div_fixup_f64 v[2:3], v[6:7], s[26:27], v[2:3]
	s_and_saveexec_b64 s[26:27], s[14:15]
	s_cbranch_execz .LBB49_170
.LBB49_160:                             ;   in Loop: Header=BB49_3 Depth=1
	s_mov_b64 s[70:71], 0
	v_mov_b32_e32 v6, v18
	s_branch .LBB49_163
.LBB49_161:                             ;   in Loop: Header=BB49_163 Depth=2
	s_or_b64 exec, exec, s[52:53]
	v_lshlrev_b64 v[12:13], 4, v[6:7]
	v_mov_b32_e32 v7, s63
	v_add_co_u32_e32 v8, vcc, s62, v12
	v_addc_co_u32_e32 v9, vcc, v7, v13, vcc
	global_load_dwordx4 v[8:11], v[8:9], off
	v_mov_b32_e32 v7, s61
	v_add_co_u32_e32 v12, vcc, s60, v12
	v_addc_co_u32_e32 v13, vcc, v7, v13, vcc
	s_waitcnt vmcnt(0)
	global_store_dwordx4 v[12:13], v[8:11], off
.LBB49_162:                             ;   in Loop: Header=BB49_163 Depth=2
	s_or_b64 exec, exec, s[76:77]
	v_add_u32_e32 v6, 0x400, v6
	v_cmp_le_u32_e32 vcc, s85, v6
	s_or_b64 s[70:71], vcc, s[70:71]
	s_andn2_b64 exec, exec, s[70:71]
	s_cbranch_execz .LBB49_170
.LBB49_163:                             ;   Parent Loop BB49_3 Depth=1
                                        ; =>  This Loop Header: Depth=2
                                        ;       Child Loop BB49_166 Depth 3
                                        ;       Child Loop BB49_169 Depth 3
	v_cmp_gt_i32_e32 vcc, s33, v6
	s_and_saveexec_b64 s[76:77], vcc
	s_cbranch_execz .LBB49_162
; %bb.164:                              ;   in Loop: Header=BB49_163 Depth=2
	v_ashrrev_i32_e32 v7, 31, v6
	v_lshlrev_b64 v[8:9], 2, v[6:7]
	v_mov_b32_e32 v11, s37
	v_add_co_u32_e32 v10, vcc, s36, v8
	v_addc_co_u32_e32 v11, vcc, v11, v9, vcc
	global_load_dword v10, v[10:11], off
	v_mov_b32_e32 v11, s39
	v_add_co_u32_e32 v12, vcc, s38, v8
	v_addc_co_u32_e32 v13, vcc, v11, v9, vcc
	global_load_dword v11, v[12:13], off
	s_waitcnt vmcnt(0)
	v_cmp_lt_i32_e32 vcc, v10, v11
	s_and_saveexec_b64 s[52:53], vcc
	s_cbranch_execz .LBB49_167
; %bb.165:                              ;   in Loop: Header=BB49_163 Depth=2
	v_subrev_u32_e32 v10, s75, v10
	v_subrev_u32_e32 v16, s75, v11
	v_ashrrev_i32_e32 v11, 31, v10
	v_lshlrev_b64 v[14:15], 4, v[10:11]
	v_mov_b32_e32 v11, s43
	v_add_co_u32_e32 v12, vcc, s42, v14
	v_addc_co_u32_e32 v13, vcc, v11, v15, vcc
	v_mov_b32_e32 v11, s79
	v_add_co_u32_e32 v14, vcc, s78, v14
	v_addc_co_u32_e32 v15, vcc, v11, v15, vcc
	s_mov_b64 s[54:55], 0
.LBB49_166:                             ;   Parent Loop BB49_3 Depth=1
                                        ;     Parent Loop BB49_163 Depth=2
                                        ; =>    This Inner Loop Header: Depth=3
	global_load_dwordx4 v[24:27], v[14:15], off
	v_add_co_u32_e32 v14, vcc, 16, v14
	v_add_u32_e32 v10, 1, v10
	v_addc_co_u32_e32 v15, vcc, 0, v15, vcc
	v_cmp_ge_i32_e32 vcc, v10, v16
	s_or_b64 s[54:55], vcc, s[54:55]
	s_waitcnt vmcnt(0)
	global_store_dwordx4 v[12:13], v[24:27], off
	v_add_co_u32_e32 v12, vcc, 16, v12
	v_addc_co_u32_e32 v13, vcc, 0, v13, vcc
	s_andn2_b64 exec, exec, s[54:55]
	s_cbranch_execnz .LBB49_166
.LBB49_167:                             ;   in Loop: Header=BB49_163 Depth=2
	s_or_b64 exec, exec, s[52:53]
	v_mov_b32_e32 v11, s45
	v_add_co_u32_e32 v10, vcc, s44, v8
	v_addc_co_u32_e32 v11, vcc, v11, v9, vcc
	global_load_dword v10, v[10:11], off
	v_mov_b32_e32 v11, s47
	v_add_co_u32_e32 v8, vcc, s46, v8
	v_addc_co_u32_e32 v9, vcc, v11, v9, vcc
	global_load_dword v8, v[8:9], off
	s_waitcnt vmcnt(0)
	v_cmp_lt_i32_e32 vcc, v10, v8
	s_and_saveexec_b64 s[52:53], vcc
	s_cbranch_execz .LBB49_161
; %bb.168:                              ;   in Loop: Header=BB49_163 Depth=2
	v_subrev_u32_e32 v14, s84, v8
	v_subrev_u32_e32 v8, s84, v10
	v_ashrrev_i32_e32 v9, 31, v8
	v_lshlrev_b64 v[12:13], 4, v[8:9]
	v_mov_b32_e32 v9, s51
	v_add_co_u32_e32 v10, vcc, s50, v12
	v_addc_co_u32_e32 v11, vcc, v9, v13, vcc
	v_mov_b32_e32 v9, s81
	v_add_co_u32_e32 v12, vcc, s80, v12
	v_addc_co_u32_e32 v13, vcc, v9, v13, vcc
	s_mov_b64 s[54:55], 0
.LBB49_169:                             ;   Parent Loop BB49_3 Depth=1
                                        ;     Parent Loop BB49_163 Depth=2
                                        ; =>    This Inner Loop Header: Depth=3
	global_load_dwordx4 v[24:27], v[12:13], off
	v_add_co_u32_e32 v12, vcc, 16, v12
	v_add_u32_e32 v8, 1, v8
	v_addc_co_u32_e32 v13, vcc, 0, v13, vcc
	v_cmp_ge_i32_e32 vcc, v8, v14
	s_or_b64 s[54:55], vcc, s[54:55]
	s_waitcnt vmcnt(0)
	global_store_dwordx4 v[10:11], v[24:27], off
	v_add_co_u32_e32 v10, vcc, 16, v10
	v_addc_co_u32_e32 v11, vcc, 0, v11, vcc
	s_andn2_b64 exec, exec, s[54:55]
	s_cbranch_execnz .LBB49_169
	s_branch .LBB49_161
.LBB49_170:                             ;   in Loop: Header=BB49_3 Depth=1
	s_or_b64 exec, exec, s[26:27]
	s_mov_b64 s[70:71], -1
	s_mov_b64 s[26:27], -1
	s_and_b64 vcc, exec, s[66:67]
	s_cbranch_vccz .LBB49_180
; %bb.171:                              ;   in Loop: Header=BB49_3 Depth=1
	v_readlane_b32 s52, v56, 16
	v_readlane_b32 s53, v56, 17
	s_and_b64 vcc, exec, s[52:53]
                                        ; implicit-def: $sgpr52_sgpr53
	s_cbranch_vccz .LBB49_177
; %bb.172:                              ;   in Loop: Header=BB49_3 Depth=1
	v_readlane_b32 s52, v56, 14
	v_readlane_b32 s53, v56, 15
	s_and_b64 vcc, exec, s[52:53]
                                        ; implicit-def: $sgpr52_sgpr53
	s_cbranch_vccz .LBB49_174
; %bb.173:                              ;   in Loop: Header=BB49_3 Depth=1
	v_readlane_b32 s52, v56, 0
	v_readlane_b32 s54, v56, 2
	;; [unrolled: 1-line block ×4, first 2 shown]
	v_cmp_ge_f64_e32 vcc, s[54:55], v[2:3]
	s_mov_b64 s[26:27], 0
	s_and_b64 s[52:53], vcc, exec
.LBB49_174:                             ;   in Loop: Header=BB49_3 Depth=1
	s_andn2_b64 vcc, exec, s[26:27]
	s_cbranch_vccnz .LBB49_176
; %bb.175:                              ;   in Loop: Header=BB49_3 Depth=1
	v_readlane_b32 s56, v56, 0
	v_readlane_b32 s58, v56, 2
	;; [unrolled: 1-line block ×3, first 2 shown]
	v_cmp_ge_f64_e32 vcc, s[58:59], v[4:5]
	s_andn2_b64 s[26:27], s[52:53], exec
	s_and_b64 s[52:53], vcc, exec
	s_or_b64 s[52:53], s[26:27], s[52:53]
	v_readlane_b32 s57, v56, 1
.LBB49_176:                             ;   in Loop: Header=BB49_3 Depth=1
	s_mov_b64 s[26:27], 0
.LBB49_177:                             ;   in Loop: Header=BB49_3 Depth=1
	s_andn2_b64 vcc, exec, s[26:27]
	s_cbranch_vccnz .LBB49_179
; %bb.178:                              ;   in Loop: Header=BB49_3 Depth=1
	v_readlane_b32 s56, v56, 0
	v_readlane_b32 s58, v56, 2
	;; [unrolled: 1-line block ×3, first 2 shown]
	v_cmp_ge_f64_e32 vcc, s[58:59], v[4:5]
	v_cmp_ge_f64_e64 s[26:27], s[58:59], v[2:3]
	s_and_b64 s[26:27], vcc, s[26:27]
	s_andn2_b64 s[52:53], s[52:53], exec
	s_and_b64 s[26:27], s[26:27], exec
	s_or_b64 s[52:53], s[52:53], s[26:27]
	v_readlane_b32 s57, v56, 1
.LBB49_179:                             ;   in Loop: Header=BB49_3 Depth=1
	s_xor_b64 s[26:27], s[52:53], -1
.LBB49_180:                             ;   in Loop: Header=BB49_3 Depth=1
	v_mov_b32_e32 v6, s68
	s_and_saveexec_b64 s[52:53], s[26:27]
	s_cbranch_execz .LBB49_2
; %bb.181:                              ;   in Loop: Header=BB49_3 Depth=1
	v_readlane_b32 s26, v56, 4
	s_add_i32 s68, s68, 1
	v_readlane_b32 s27, v56, 5
	s_cmp_eq_u32 s68, s27
	s_mov_b32 s55, s27
	s_cselect_b64 s[26:27], -1, 0
	v_mov_b32_e32 v6, s55
	s_orn2_b64 s[70:71], s[26:27], exec
	s_branch .LBB49_2
.LBB49_182:
	s_or_b64 exec, exec, s[72:73]
	v_readlane_b32 s20, v56, 8
	v_readlane_b32 s21, v56, 9
	;; [unrolled: 1-line block ×4, first 2 shown]
.LBB49_183:
	v_readlane_b32 s0, v56, 6
	v_readlane_b32 s1, v56, 7
	s_or_b64 exec, exec, s[0:1]
	s_andn2_b64 vcc, exec, s[66:67]
	s_cbranch_vccnz .LBB49_208
; %bb.184:
	v_lshlrev_b32_e32 v7, 2, v0
	s_movk_i32 s0, 0x200
	v_or_b32_e32 v1, 0x2000, v7
	v_cmp_gt_u32_e32 vcc, s0, v0
	ds_write_b32 v7, v6 offset:8192
	s_waitcnt lgkmcnt(0)
	s_barrier
	s_and_saveexec_b64 s[0:1], vcc
	s_cbranch_execz .LBB49_186
; %bb.185:
	ds_read2st64_b32 v[6:7], v1 offset1:8
	s_waitcnt lgkmcnt(0)
	v_max_i32_e32 v6, v6, v7
	ds_write_b32 v1, v6
.LBB49_186:
	s_or_b64 exec, exec, s[0:1]
	s_movk_i32 s0, 0x100
	v_cmp_gt_u32_e32 vcc, s0, v0
	s_waitcnt lgkmcnt(0)
	s_barrier
	s_and_saveexec_b64 s[0:1], vcc
	s_cbranch_execz .LBB49_188
; %bb.187:
	ds_read2st64_b32 v[6:7], v1 offset1:4
	s_waitcnt lgkmcnt(0)
	v_max_i32_e32 v6, v6, v7
	ds_write_b32 v1, v6
.LBB49_188:
	s_or_b64 exec, exec, s[0:1]
	s_movk_i32 s0, 0x80
	v_cmp_gt_u32_e32 vcc, s0, v0
	s_waitcnt lgkmcnt(0)
	s_barrier
	s_and_saveexec_b64 s[0:1], vcc
	s_cbranch_execz .LBB49_190
; %bb.189:
	ds_read2st64_b32 v[6:7], v1 offset1:2
	s_waitcnt lgkmcnt(0)
	v_max_i32_e32 v6, v6, v7
	ds_write_b32 v1, v6
.LBB49_190:
	s_or_b64 exec, exec, s[0:1]
	v_cmp_gt_u32_e32 vcc, 64, v0
	s_waitcnt lgkmcnt(0)
	s_barrier
	s_and_saveexec_b64 s[0:1], vcc
	s_cbranch_execz .LBB49_192
; %bb.191:
	ds_read2st64_b32 v[6:7], v1 offset1:1
	s_waitcnt lgkmcnt(0)
	v_max_i32_e32 v6, v6, v7
	ds_write_b32 v1, v6
.LBB49_192:
	s_or_b64 exec, exec, s[0:1]
	v_cmp_gt_u32_e32 vcc, 32, v0
	s_waitcnt lgkmcnt(0)
	s_barrier
	s_and_saveexec_b64 s[0:1], vcc
	s_cbranch_execz .LBB49_194
; %bb.193:
	ds_read2_b32 v[6:7], v1 offset1:32
	s_waitcnt lgkmcnt(0)
	v_max_i32_e32 v6, v6, v7
	ds_write_b32 v1, v6
.LBB49_194:
	s_or_b64 exec, exec, s[0:1]
	v_cmp_gt_u32_e32 vcc, 16, v0
	s_waitcnt lgkmcnt(0)
	s_barrier
	s_and_saveexec_b64 s[0:1], vcc
	s_cbranch_execz .LBB49_196
; %bb.195:
	ds_read2_b32 v[6:7], v1 offset1:16
	s_waitcnt lgkmcnt(0)
	v_max_i32_e32 v6, v6, v7
	ds_write_b32 v1, v6
.LBB49_196:
	;; [unrolled: 12-line block ×5, first 2 shown]
	s_or_b64 exec, exec, s[0:1]
	v_cmp_eq_u32_e32 vcc, 0, v0
	s_waitcnt lgkmcnt(0)
	s_barrier
	s_and_saveexec_b64 s[0:1], vcc
	s_cbranch_execz .LBB49_204
; %bb.203:
	v_mov_b32_e32 v1, 0
	ds_read_b64 v[6:7], v1 offset:8192
	s_waitcnt lgkmcnt(0)
	v_max_i32_e32 v6, v6, v7
	ds_write_b32 v1, v6 offset:8192
.LBB49_204:
	s_or_b64 exec, exec, s[0:1]
	s_waitcnt lgkmcnt(0)
	s_barrier
	s_and_saveexec_b64 s[0:1], vcc
	s_cbranch_execz .LBB49_207
; %bb.205:
	v_mbcnt_lo_u32_b32 v1, exec_lo, 0
	v_mbcnt_hi_u32_b32 v1, exec_hi, v1
	v_cmp_eq_u32_e32 vcc, 0, v1
	s_and_b64 exec, exec, vcc
	s_cbranch_execz .LBB49_207
; %bb.206:
	v_mov_b32_e32 v1, 0
	ds_read_b32 v6, v1 offset:8192
	v_readlane_b32 s4, v56, 0
	v_readlane_b32 s5, v56, 1
	;; [unrolled: 1-line block ×4, first 2 shown]
	s_waitcnt lgkmcnt(0)
	v_add_u32_e32 v6, 1, v6
	s_nop 0
	global_atomic_smax v1, v6, s[4:5]
.LBB49_207:
	s_or_b64 exec, exec, s[0:1]
.LBB49_208:
	v_cmp_eq_u32_e32 vcc, 0, v0
	s_mov_b32 s0, 0
	s_and_b64 s[2:3], vcc, s[64:65]
	s_and_saveexec_b64 s[4:5], s[2:3]
	s_cbranch_execz .LBB49_213
; %bb.209:
	v_mov_b32_e32 v0, 0
	global_load_dwordx2 v[6:7], v0, s[20:21] glc
	s_brev_b32 s1, 1
	s_mov_b64 s[6:7], 0
                                        ; implicit-def: $sgpr8_sgpr9
                                        ; implicit-def: $sgpr10_sgpr11
	s_waitcnt vmcnt(0)
	v_cmp_eq_u64_e64 s[12:13], s[0:1], v[6:7]
	v_cmp_eq_f64_e64 s[0:1], 0, v[4:5]
	s_branch .LBB49_211
.LBB49_210:                             ;   in Loop: Header=BB49_211 Depth=1
	s_or_b64 exec, exec, s[14:15]
	s_and_b64 s[2:3], exec, s[8:9]
	s_or_b64 s[6:7], s[2:3], s[6:7]
	s_andn2_b64 s[2:3], s[12:13], exec
	s_and_b64 s[12:13], s[10:11], exec
	s_or_b64 s[12:13], s[2:3], s[12:13]
	s_andn2_b64 exec, exec, s[6:7]
	s_cbranch_execz .LBB49_213
.LBB49_211:                             ; =>This Inner Loop Header: Depth=1
	v_cmp_lt_f64_e64 s[2:3], v[6:7], v[4:5]
	s_and_b64 s[14:15], s[0:1], s[12:13]
	s_or_b64 s[2:3], s[2:3], s[14:15]
	s_andn2_b64 s[10:11], s[10:11], exec
	s_or_b64 s[8:9], s[8:9], exec
	s_and_saveexec_b64 s[14:15], s[2:3]
	s_cbranch_execz .LBB49_210
; %bb.212:                              ;   in Loop: Header=BB49_211 Depth=1
	global_atomic_cmpswap_x2 v[8:9], v0, v[4:7], s[20:21] glc
	s_andn2_b64 s[8:9], s[8:9], exec
	s_andn2_b64 s[10:11], s[10:11], exec
                                        ; implicit-def: $sgpr12_sgpr13
	s_waitcnt vmcnt(0)
	v_cmp_eq_u64_e64 s[2:3], v[8:9], v[6:7]
	v_cndmask_b32_e64 v7, v9, v7, s[2:3]
	v_cndmask_b32_e64 v6, v8, v6, s[2:3]
	s_and_b64 s[2:3], s[2:3], exec
	v_cmp_class_f64_e64 s[16:17], v[6:7], 32
	s_or_b64 s[8:9], s[8:9], s[2:3]
	s_and_b64 s[2:3], s[16:17], exec
	s_or_b64 s[10:11], s[10:11], s[2:3]
	v_pk_mov_b32 v[6:7], v[8:9], v[8:9] op_sel:[0,1]
	s_branch .LBB49_210
.LBB49_213:
	s_or_b64 exec, exec, s[4:5]
	s_and_b64 s[0:1], vcc, s[34:35]
	s_and_saveexec_b64 s[2:3], s[0:1]
	s_cbranch_execz .LBB49_218
; %bb.214:
	v_mov_b32_e32 v0, 0
	global_load_dwordx2 v[4:5], v0, s[22:23] glc
	s_mov_b32 s0, 0
	s_brev_b32 s1, 1
	s_mov_b64 s[2:3], 0
	v_cmp_eq_f64_e32 vcc, 0, v[2:3]
                                        ; implicit-def: $sgpr4_sgpr5
                                        ; implicit-def: $sgpr6_sgpr7
	s_waitcnt vmcnt(0)
	v_cmp_eq_u64_e64 s[8:9], s[0:1], v[4:5]
	s_branch .LBB49_216
.LBB49_215:                             ;   in Loop: Header=BB49_216 Depth=1
	s_or_b64 exec, exec, s[10:11]
	s_and_b64 s[0:1], exec, s[4:5]
	s_or_b64 s[2:3], s[0:1], s[2:3]
	s_andn2_b64 s[0:1], s[8:9], exec
	s_and_b64 s[8:9], s[6:7], exec
	s_or_b64 s[8:9], s[0:1], s[8:9]
	s_andn2_b64 exec, exec, s[2:3]
	s_cbranch_execz .LBB49_218
.LBB49_216:                             ; =>This Inner Loop Header: Depth=1
	v_cmp_lt_f64_e64 s[0:1], v[4:5], v[2:3]
	s_and_b64 s[10:11], vcc, s[8:9]
	s_or_b64 s[0:1], s[0:1], s[10:11]
	s_andn2_b64 s[6:7], s[6:7], exec
	s_or_b64 s[4:5], s[4:5], exec
	s_and_saveexec_b64 s[10:11], s[0:1]
	s_cbranch_execz .LBB49_215
; %bb.217:                              ;   in Loop: Header=BB49_216 Depth=1
	global_atomic_cmpswap_x2 v[6:7], v0, v[2:5], s[22:23] glc
	s_andn2_b64 s[4:5], s[4:5], exec
	s_andn2_b64 s[6:7], s[6:7], exec
                                        ; implicit-def: $sgpr8_sgpr9
	s_waitcnt vmcnt(0)
	v_cmp_eq_u64_e64 s[0:1], v[6:7], v[4:5]
	v_cndmask_b32_e64 v5, v7, v5, s[0:1]
	v_cndmask_b32_e64 v4, v6, v4, s[0:1]
	s_and_b64 s[0:1], s[0:1], exec
	v_cmp_class_f64_e64 s[12:13], v[4:5], 32
	s_or_b64 s[4:5], s[4:5], s[0:1]
	s_and_b64 s[0:1], s[12:13], exec
	s_or_b64 s[6:7], s[6:7], s[0:1]
	v_pk_mov_b32 v[4:5], v[6:7], v[6:7] op_sel:[0,1]
	s_branch .LBB49_215
.LBB49_218:
	s_endpgm
	.section	.rodata,"a",@progbits
	.p2align	6, 0x0
	.amdhsa_kernel _ZN9rocsparseL6kernelILi1024ELi1E21rocsparse_complex_numIdEiiEEvbbbT3_PS3_NS_15floating_traitsIT1_E6data_tES3_T2_PKS9_SB_PKS3_PKS6_21rocsparse_index_base_SB_SB_SD_PS6_SH_SG_SB_SB_SD_SH_SH_SG_SH_SH_PS8_SI_PKS8_
		.amdhsa_group_segment_fixed_size 12288
		.amdhsa_private_segment_fixed_size 0
		.amdhsa_kernarg_size 208
		.amdhsa_user_sgpr_count 6
		.amdhsa_user_sgpr_private_segment_buffer 1
		.amdhsa_user_sgpr_dispatch_ptr 0
		.amdhsa_user_sgpr_queue_ptr 0
		.amdhsa_user_sgpr_kernarg_segment_ptr 1
		.amdhsa_user_sgpr_dispatch_id 0
		.amdhsa_user_sgpr_flat_scratch_init 0
		.amdhsa_user_sgpr_kernarg_preload_length 0
		.amdhsa_user_sgpr_kernarg_preload_offset 0
		.amdhsa_user_sgpr_private_segment_size 0
		.amdhsa_uses_dynamic_stack 0
		.amdhsa_system_sgpr_private_segment_wavefront_offset 0
		.amdhsa_system_sgpr_workgroup_id_x 1
		.amdhsa_system_sgpr_workgroup_id_y 0
		.amdhsa_system_sgpr_workgroup_id_z 0
		.amdhsa_system_sgpr_workgroup_info 0
		.amdhsa_system_vgpr_workitem_id 0
		.amdhsa_next_free_vgpr 57
		.amdhsa_next_free_sgpr 96
		.amdhsa_accum_offset 60
		.amdhsa_reserve_vcc 1
		.amdhsa_reserve_flat_scratch 0
		.amdhsa_float_round_mode_32 0
		.amdhsa_float_round_mode_16_64 0
		.amdhsa_float_denorm_mode_32 3
		.amdhsa_float_denorm_mode_16_64 3
		.amdhsa_dx10_clamp 1
		.amdhsa_ieee_mode 1
		.amdhsa_fp16_overflow 0
		.amdhsa_tg_split 0
		.amdhsa_exception_fp_ieee_invalid_op 0
		.amdhsa_exception_fp_denorm_src 0
		.amdhsa_exception_fp_ieee_div_zero 0
		.amdhsa_exception_fp_ieee_overflow 0
		.amdhsa_exception_fp_ieee_underflow 0
		.amdhsa_exception_fp_ieee_inexact 0
		.amdhsa_exception_int_div_zero 0
	.end_amdhsa_kernel
	.section	.text._ZN9rocsparseL6kernelILi1024ELi1E21rocsparse_complex_numIdEiiEEvbbbT3_PS3_NS_15floating_traitsIT1_E6data_tES3_T2_PKS9_SB_PKS3_PKS6_21rocsparse_index_base_SB_SB_SD_PS6_SH_SG_SB_SB_SD_SH_SH_SG_SH_SH_PS8_SI_PKS8_,"axG",@progbits,_ZN9rocsparseL6kernelILi1024ELi1E21rocsparse_complex_numIdEiiEEvbbbT3_PS3_NS_15floating_traitsIT1_E6data_tES3_T2_PKS9_SB_PKS3_PKS6_21rocsparse_index_base_SB_SB_SD_PS6_SH_SG_SB_SB_SD_SH_SH_SG_SH_SH_PS8_SI_PKS8_,comdat
.Lfunc_end49:
	.size	_ZN9rocsparseL6kernelILi1024ELi1E21rocsparse_complex_numIdEiiEEvbbbT3_PS3_NS_15floating_traitsIT1_E6data_tES3_T2_PKS9_SB_PKS3_PKS6_21rocsparse_index_base_SB_SB_SD_PS6_SH_SG_SB_SB_SD_SH_SH_SG_SH_SH_PS8_SI_PKS8_, .Lfunc_end49-_ZN9rocsparseL6kernelILi1024ELi1E21rocsparse_complex_numIdEiiEEvbbbT3_PS3_NS_15floating_traitsIT1_E6data_tES3_T2_PKS9_SB_PKS3_PKS6_21rocsparse_index_base_SB_SB_SD_PS6_SH_SG_SB_SB_SD_SH_SH_SG_SH_SH_PS8_SI_PKS8_
                                        ; -- End function
	.section	.AMDGPU.csdata,"",@progbits
; Kernel info:
; codeLenInByte = 9304
; NumSgprs: 100
; NumVgprs: 57
; NumAgprs: 0
; TotalNumVgprs: 57
; ScratchSize: 0
; MemoryBound: 1
; FloatMode: 240
; IeeeMode: 1
; LDSByteSize: 12288 bytes/workgroup (compile time only)
; SGPRBlocks: 12
; VGPRBlocks: 7
; NumSGPRsForWavesPerEU: 100
; NumVGPRsForWavesPerEU: 57
; AccumOffset: 60
; Occupancy: 8
; WaveLimiterHint : 1
; COMPUTE_PGM_RSRC2:SCRATCH_EN: 0
; COMPUTE_PGM_RSRC2:USER_SGPR: 6
; COMPUTE_PGM_RSRC2:TRAP_HANDLER: 0
; COMPUTE_PGM_RSRC2:TGID_X_EN: 1
; COMPUTE_PGM_RSRC2:TGID_Y_EN: 0
; COMPUTE_PGM_RSRC2:TGID_Z_EN: 0
; COMPUTE_PGM_RSRC2:TIDIG_COMP_CNT: 0
; COMPUTE_PGM_RSRC3_GFX90A:ACCUM_OFFSET: 14
; COMPUTE_PGM_RSRC3_GFX90A:TG_SPLIT: 0
	.section	.text._ZN9rocsparseL6kernelILi1024ELi2E21rocsparse_complex_numIdEiiEEvbbbT3_PS3_NS_15floating_traitsIT1_E6data_tES3_T2_PKS9_SB_PKS3_PKS6_21rocsparse_index_base_SB_SB_SD_PS6_SH_SG_SB_SB_SD_SH_SH_SG_SH_SH_PS8_SI_PKS8_,"axG",@progbits,_ZN9rocsparseL6kernelILi1024ELi2E21rocsparse_complex_numIdEiiEEvbbbT3_PS3_NS_15floating_traitsIT1_E6data_tES3_T2_PKS9_SB_PKS3_PKS6_21rocsparse_index_base_SB_SB_SD_PS6_SH_SG_SB_SB_SD_SH_SH_SG_SH_SH_PS8_SI_PKS8_,comdat
	.globl	_ZN9rocsparseL6kernelILi1024ELi2E21rocsparse_complex_numIdEiiEEvbbbT3_PS3_NS_15floating_traitsIT1_E6data_tES3_T2_PKS9_SB_PKS3_PKS6_21rocsparse_index_base_SB_SB_SD_PS6_SH_SG_SB_SB_SD_SH_SH_SG_SH_SH_PS8_SI_PKS8_ ; -- Begin function _ZN9rocsparseL6kernelILi1024ELi2E21rocsparse_complex_numIdEiiEEvbbbT3_PS3_NS_15floating_traitsIT1_E6data_tES3_T2_PKS9_SB_PKS3_PKS6_21rocsparse_index_base_SB_SB_SD_PS6_SH_SG_SB_SB_SD_SH_SH_SG_SH_SH_PS8_SI_PKS8_
	.p2align	8
	.type	_ZN9rocsparseL6kernelILi1024ELi2E21rocsparse_complex_numIdEiiEEvbbbT3_PS3_NS_15floating_traitsIT1_E6data_tES3_T2_PKS9_SB_PKS3_PKS6_21rocsparse_index_base_SB_SB_SD_PS6_SH_SG_SB_SB_SD_SH_SH_SG_SH_SH_PS8_SI_PKS8_,@function
_ZN9rocsparseL6kernelILi1024ELi2E21rocsparse_complex_numIdEiiEEvbbbT3_PS3_NS_15floating_traitsIT1_E6data_tES3_T2_PKS9_SB_PKS3_PKS6_21rocsparse_index_base_SB_SB_SD_PS6_SH_SG_SB_SB_SD_SH_SH_SG_SH_SH_PS8_SI_PKS8_: ; @_ZN9rocsparseL6kernelILi1024ELi2E21rocsparse_complex_numIdEiiEEvbbbT3_PS3_NS_15floating_traitsIT1_E6data_tES3_T2_PKS9_SB_PKS3_PKS6_21rocsparse_index_base_SB_SB_SD_PS6_SH_SG_SB_SB_SD_SH_SH_SG_SH_SH_PS8_SI_PKS8_
; %bb.0:
	s_load_dword s0, s[4:5], 0x0
	s_load_dwordx2 s[2:3], s[4:5], 0x0
	s_load_dwordx4 s[20:23], s[4:5], 0xb8
	s_load_dwordx4 s[8:11], s[4:5], 0x8
                                        ; implicit-def: $vgpr62 : SGPR spill to VGPR lane
	s_load_dword s33, s[4:5], 0x18
	s_waitcnt lgkmcnt(0)
	s_bitcmp1_b32 s0, 0
	s_cselect_b64 s[70:71], -1, 0
	s_bitcmp1_b32 s0, 8
	v_writelane_b32 v62, s8, 0
	v_writelane_b32 v62, s9, 1
	s_cselect_b64 s[68:69], -1, 0
	s_bitcmp1_b32 s2, 16
	v_writelane_b32 v62, s10, 2
	s_cselect_b64 s[34:35], -1, 0
	v_lshrrev_b32_e32 v1, 1, v0
	s_lshl_b32 s0, s6, 10
	v_writelane_b32 v62, s11, 3
	v_or_b32_e32 v43, s0, v1
	v_mov_b32_e32 v6, 0
	s_mov_b32 s1, s3
	s_cmp_gt_i32 s3, 0
	v_pk_mov_b32 v[4:5], 0, 0
	v_and_b32_e32 v42, 1, v0
	v_lshlrev_b32_e32 v44, 3, v0
	s_mov_b32 s6, 0
	v_mov_b32_e32 v7, v6
	v_cmp_gt_i32_e32 vcc, s33, v43
	v_writelane_b32 v62, s0, 4
	s_cselect_b64 s[2:3], -1, 0
	s_mov_b64 s[76:77], 0
	v_pk_mov_b32 v[2:3], v[4:5], v[4:5] op_sel:[0,1]
	ds_write_b64 v44, v[6:7]
	s_waitcnt lgkmcnt(0)
	s_barrier
	v_writelane_b32 v62, s1, 5
	s_and_b64 s[2:3], s[2:3], vcc
	s_mov_b64 s[8:9], exec
	v_writelane_b32 v62, s8, 6
	s_and_b64 s[2:3], s[8:9], s[2:3]
	v_writelane_b32 v62, s9, 7
	s_mov_b64 exec, s[2:3]
	s_cbranch_execz .LBB50_188
; %bb.1:
	s_load_dwordx2 s[2:3], s[4:5], 0xc8
	v_writelane_b32 v62, s20, 8
	v_writelane_b32 v62, s21, 9
	;; [unrolled: 1-line block ×4, first 2 shown]
	s_waitcnt lgkmcnt(0)
	v_writelane_b32 v62, s2, 12
	v_writelane_b32 v62, s3, 13
	s_xor_b64 s[2:3], s[68:69], -1
	s_load_dwordx4 s[64:67], s[4:5], 0xa8
	s_load_dwordx8 s[36:43], s[4:5], 0x78
	s_load_dwordx8 s[44:51], s[4:5], 0x48
	;; [unrolled: 1-line block ×3, first 2 shown]
	v_writelane_b32 v62, s2, 14
	s_load_dword s7, s[4:5], 0x40
	s_load_dwordx2 s[82:83], s[4:5], 0x68
	s_load_dword s8, s[4:5], 0x70
	s_load_dwordx2 s[84:85], s[4:5], 0x98
	s_load_dword s9, s[4:5], 0xa0
	s_add_i32 s4, s0, 0x400
	v_writelane_b32 v62, s3, 15
	v_cmp_gt_u32_e64 s[0:1], s4, v43
	v_writelane_b32 v62, s0, 16
	v_writelane_b32 v62, s1, 17
	v_cmp_ne_u32_e64 s[0:1], 0, v42
	v_writelane_b32 v62, s0, 18
	v_writelane_b32 v62, s1, 19
	s_movk_i32 s0, 0x100
	v_cmp_gt_u32_e64 s[0:1], s0, v0
	v_writelane_b32 v62, s0, 20
	v_writelane_b32 v62, s1, 21
	s_movk_i32 s0, 0x80
	v_cmp_gt_u32_e64 s[0:1], s0, v0
	v_writelane_b32 v62, s0, 22
	v_writelane_b32 v62, s1, 23
	s_and_b64 s[0:1], s[68:69], s[34:35]
	s_xor_b64 s[0:1], s[0:1], -1
	v_pk_mov_b32 v[2:3], 0, 0
	s_mov_b32 s88, 0
	s_waitcnt lgkmcnt(0)
	v_subrev_u32_e32 v45, s7, v42
	v_cmp_eq_u32_e64 s[2:3], 0, v42
	v_lshlrev_b32_e32 v46, 3, v1
	v_cmp_gt_u32_e64 s[10:11], 64, v0
	v_cmp_gt_u32_e64 s[12:13], 32, v0
	;; [unrolled: 1-line block ×6, first 2 shown]
	v_cmp_eq_u32_e64 s[22:23], 0, v0
	v_subrev_u32_e32 v47, s8, v42
	v_subrev_u32_e32 v48, s9, v42
	v_writelane_b32 v62, s0, 24
	s_brev_b32 s89, 8
	v_mov_b32_e32 v49, 0x260
	s_movk_i32 s5, 0x1f8
	v_mov_b32_e32 v19, 0
	v_mov_b32_e32 v50, 0xffffff80
	v_pk_mov_b32 v[4:5], v[2:3], v[2:3] op_sel:[0,1]
	v_writelane_b32 v62, s1, 25
	s_branch .LBB50_3
.LBB50_2:                               ;   in Loop: Header=BB50_3 Depth=1
	s_or_b64 exec, exec, s[0:1]
	s_and_b64 s[0:1], exec, s[26:27]
	s_or_b64 s[76:77], s[0:1], s[76:77]
	s_andn2_b64 exec, exec, s[76:77]
	s_cbranch_execz .LBB50_187
.LBB50_3:                               ; =>This Loop Header: Depth=1
                                        ;     Child Loop BB50_7 Depth 2
                                        ;       Child Loop BB50_12 Depth 3
                                        ;         Child Loop BB50_16 Depth 4
                                        ;         Child Loop BB50_51 Depth 4
	;; [unrolled: 1-line block ×5, first 2 shown]
                                        ;     Child Loop BB50_166 Depth 2
                                        ;       Child Loop BB50_169 Depth 3
                                        ;       Child Loop BB50_172 Depth 3
	s_mov_b32 s0, 0
	v_cndmask_b32_e64 v5, v5, 0, s[68:69]
	v_cndmask_b32_e64 v4, v4, 0, s[68:69]
	;; [unrolled: 1-line block ×4, first 2 shown]
	s_mov_b64 s[90:91], -1
	s_branch .LBB50_7
.LBB50_4:                               ;   in Loop: Header=BB50_7 Depth=2
	s_or_b64 exec, exec, s[74:75]
.LBB50_5:                               ;   in Loop: Header=BB50_7 Depth=2
	s_or_b64 exec, exec, s[94:95]
.LBB50_6:                               ;   in Loop: Header=BB50_7 Depth=2
	s_or_b64 exec, exec, s[92:93]
	s_xor_b64 s[24:25], s[90:91], -1
	s_movk_i32 s0, 0x200
	s_mov_b64 s[90:91], 0
	s_and_b64 vcc, exec, s[24:25]
	s_cbranch_vccnz .LBB50_119
.LBB50_7:                               ;   Parent Loop BB50_3 Depth=1
                                        ; =>  This Loop Header: Depth=2
                                        ;       Child Loop BB50_12 Depth 3
                                        ;         Child Loop BB50_16 Depth 4
                                        ;         Child Loop BB50_51 Depth 4
	;; [unrolled: 1-line block ×5, first 2 shown]
	v_or_b32_e32 v20, s0, v43
	v_cmp_gt_i32_e32 vcc, s33, v20
	s_and_saveexec_b64 s[92:93], vcc
	s_cbranch_execz .LBB50_6
; %bb.8:                                ;   in Loop: Header=BB50_7 Depth=2
	v_ashrrev_i32_e32 v21, 31, v20
	v_lshlrev_b64 v[6:7], 2, v[20:21]
	v_mov_b32_e32 v9, s53
	v_add_co_u32_e32 v8, vcc, s52, v6
	v_addc_co_u32_e32 v9, vcc, v9, v7, vcc
	global_load_dword v10, v[8:9], off
	v_mov_b32_e32 v9, s55
	v_add_co_u32_e32 v8, vcc, s54, v6
	v_addc_co_u32_e32 v9, vcc, v9, v7, vcc
	global_load_dword v8, v[8:9], off
	s_waitcnt vmcnt(1)
	v_add_u32_e32 v22, v45, v10
	s_waitcnt vmcnt(0)
	v_subrev_u32_e32 v21, s7, v8
	v_cmp_lt_i32_e32 vcc, v22, v21
	s_and_saveexec_b64 s[94:95], vcc
	s_cbranch_execz .LBB50_5
; %bb.9:                                ;   in Loop: Header=BB50_7 Depth=2
	v_mov_b32_e32 v9, s47
	v_add_co_u32_e32 v8, vcc, s46, v6
	v_addc_co_u32_e32 v9, vcc, v9, v7, vcc
	v_mov_b32_e32 v10, s45
	v_add_co_u32_e32 v6, vcc, s44, v6
	v_addc_co_u32_e32 v7, vcc, v10, v7, vcc
	global_load_dword v6, v[6:7], off
	s_nop 0
	global_load_dword v7, v[8:9], off
	v_mov_b32_e32 v10, s49
	v_mov_b32_e32 v11, s51
	s_mov_b64 s[74:75], 0
	s_waitcnt vmcnt(1)
	v_subrev_u32_e32 v24, s8, v6
	v_ashrrev_i32_e32 v25, 31, v24
	s_waitcnt vmcnt(0)
	v_sub_u32_e32 v51, v7, v6
	v_lshlrev_b64 v[6:7], 2, v[24:25]
	v_lshlrev_b64 v[8:9], 4, v[24:25]
	v_add_co_u32_e32 v25, vcc, s48, v6
	v_addc_co_u32_e32 v52, vcc, v10, v7, vcc
	v_add_co_u32_e32 v53, vcc, s50, v8
	v_cmp_lt_i32_e64 s[24:25], 0, v51
	v_addc_co_u32_e32 v54, vcc, v11, v9, vcc
	s_branch .LBB50_12
.LBB50_10:                              ;   in Loop: Header=BB50_12 Depth=3
	s_or_b64 exec, exec, s[0:1]
.LBB50_11:                              ;   in Loop: Header=BB50_12 Depth=3
	s_or_b64 exec, exec, s[26:27]
	v_add_u32_e32 v22, 2, v22
	v_cmp_ge_i32_e32 vcc, v22, v21
	s_or_b64 s[74:75], vcc, s[74:75]
	s_andn2_b64 exec, exec, s[74:75]
	s_cbranch_execz .LBB50_4
.LBB50_12:                              ;   Parent Loop BB50_3 Depth=1
                                        ;     Parent Loop BB50_7 Depth=2
                                        ; =>    This Loop Header: Depth=3
                                        ;         Child Loop BB50_16 Depth 4
                                        ;         Child Loop BB50_51 Depth 4
	;; [unrolled: 1-line block ×5, first 2 shown]
	v_ashrrev_i32_e32 v23, 31, v22
	v_lshlrev_b64 v[6:7], 2, v[22:23]
	v_mov_b32_e32 v8, s57
	v_add_co_u32_e32 v6, vcc, s56, v6
	v_addc_co_u32_e32 v7, vcc, v8, v7, vcc
	global_load_dword v6, v[6:7], off
	v_mov_b32_e32 v9, s37
	v_mov_b32_e32 v10, s39
	v_pk_mov_b32 v[28:29], 0, 0
	v_mov_b32_e32 v18, 0
	v_pk_mov_b32 v[30:31], v[28:29], v[28:29] op_sel:[0,1]
	v_mov_b32_e32 v34, 0
	s_waitcnt vmcnt(0)
	v_subrev_u32_e32 v26, s7, v6
	v_ashrrev_i32_e32 v27, 31, v26
	v_lshlrev_b64 v[6:7], 2, v[26:27]
	v_add_co_u32_e32 v8, vcc, s36, v6
	v_addc_co_u32_e32 v9, vcc, v9, v7, vcc
	v_add_co_u32_e32 v6, vcc, s38, v6
	v_addc_co_u32_e32 v7, vcc, v10, v7, vcc
	global_load_dword v8, v[8:9], off
	s_nop 0
	global_load_dword v6, v[6:7], off
	s_waitcnt vmcnt(1)
	v_subrev_u32_e32 v32, s9, v8
	s_waitcnt vmcnt(0)
	v_sub_u32_e32 v55, v6, v8
	s_and_saveexec_b64 s[26:27], s[24:25]
	s_cbranch_execz .LBB50_20
; %bb.13:                               ;   in Loop: Header=BB50_12 Depth=3
	v_ashrrev_i32_e32 v33, 31, v32
	v_lshlrev_b64 v[6:7], 2, v[32:33]
	v_mov_b32_e32 v8, s41
	v_add_co_u32_e32 v6, vcc, s40, v6
	v_addc_co_u32_e32 v7, vcc, v8, v7, vcc
	v_lshlrev_b64 v[8:9], 4, v[32:33]
	v_mov_b32_e32 v10, s43
	v_add_co_u32_e32 v8, vcc, s42, v8
	v_mov_b32_e32 v34, 0
	v_pk_mov_b32 v[28:29], 0, 0
	v_addc_co_u32_e32 v9, vcc, v10, v9, vcc
	s_mov_b64 s[28:29], 0
	v_mov_b32_e32 v18, v34
	v_pk_mov_b32 v[30:31], v[28:29], v[28:29] op_sel:[0,1]
                                        ; implicit-def: $sgpr30_sgpr31
	s_branch .LBB50_16
.LBB50_14:                              ;   in Loop: Header=BB50_16 Depth=4
	s_or_b64 exec, exec, s[62:63]
	v_cmp_le_i32_e32 vcc, v10, v11
	v_addc_co_u32_e32 v18, vcc, 0, v18, vcc
	v_cmp_ge_i32_e32 vcc, v10, v11
	v_addc_co_u32_e32 v34, vcc, 0, v34, vcc
	v_cmp_ge_i32_e32 vcc, v18, v51
	s_andn2_b64 s[0:1], s[30:31], exec
	s_and_b64 s[30:31], vcc, exec
	s_or_b64 s[30:31], s[0:1], s[30:31]
.LBB50_15:                              ;   in Loop: Header=BB50_16 Depth=4
	s_or_b64 exec, exec, s[60:61]
	s_and_b64 s[0:1], exec, s[30:31]
	s_or_b64 s[28:29], s[0:1], s[28:29]
	s_andn2_b64 exec, exec, s[28:29]
	s_cbranch_execz .LBB50_19
.LBB50_16:                              ;   Parent Loop BB50_3 Depth=1
                                        ;     Parent Loop BB50_7 Depth=2
                                        ;       Parent Loop BB50_12 Depth=3
                                        ; =>      This Inner Loop Header: Depth=4
	v_cmp_lt_i32_e32 vcc, v34, v55
	s_or_b64 s[30:31], s[30:31], exec
	s_and_saveexec_b64 s[60:61], vcc
	s_cbranch_execz .LBB50_15
; %bb.17:                               ;   in Loop: Header=BB50_16 Depth=4
	v_lshlrev_b64 v[10:11], 2, v[18:19]
	v_add_co_u32_e32 v10, vcc, v25, v10
	v_addc_co_u32_e32 v11, vcc, v52, v11, vcc
	v_mov_b32_e32 v35, v19
	global_load_dword v12, v[10:11], off
	v_lshlrev_b64 v[10:11], 2, v[34:35]
	v_add_co_u32_e32 v10, vcc, v6, v10
	v_addc_co_u32_e32 v11, vcc, v7, v11, vcc
	global_load_dword v11, v[10:11], off
	s_waitcnt vmcnt(1)
	v_subrev_u32_e32 v10, s8, v12
	s_waitcnt vmcnt(0)
	v_subrev_u32_e32 v11, s9, v11
	v_cmp_eq_u32_e32 vcc, v10, v11
	s_and_saveexec_b64 s[62:63], vcc
	s_cbranch_execz .LBB50_14
; %bb.18:                               ;   in Loop: Header=BB50_16 Depth=4
	v_lshlrev_b64 v[12:13], 4, v[18:19]
	v_add_co_u32_e32 v12, vcc, v53, v12
	v_addc_co_u32_e32 v13, vcc, v54, v13, vcc
	v_lshlrev_b64 v[16:17], 4, v[34:35]
	v_add_co_u32_e32 v16, vcc, v8, v16
	v_addc_co_u32_e32 v17, vcc, v9, v17, vcc
	global_load_dwordx4 v[12:15], v[12:13], off
	s_nop 0
	global_load_dwordx4 v[36:39], v[16:17], off
	s_waitcnt vmcnt(0)
	v_fmac_f64_e32 v[28:29], v[12:13], v[36:37]
	v_fmac_f64_e32 v[30:31], v[14:15], v[36:37]
	v_fma_f64 v[28:29], -v[14:15], v[38:39], v[28:29]
	v_fmac_f64_e32 v[30:31], v[12:13], v[38:39]
	s_branch .LBB50_14
.LBB50_19:                              ;   in Loop: Header=BB50_12 Depth=3
	s_or_b64 exec, exec, s[28:29]
.LBB50_20:                              ;   in Loop: Header=BB50_12 Depth=3
	s_or_b64 exec, exec, s[26:27]
	v_lshlrev_b64 v[6:7], 4, v[22:23]
	v_mov_b32_e32 v8, s59
	v_add_co_u32_e32 v6, vcc, s58, v6
	v_addc_co_u32_e32 v7, vcc, v8, v7, vcc
	global_load_dwordx4 v[6:9], v[6:7], off
	v_cmp_le_i32_e64 s[26:27], v20, v26
	v_cmp_gt_i32_e32 vcc, v20, v26
	s_waitcnt vmcnt(0)
	v_add_f64 v[10:11], v[6:7], -v[28:29]
	v_add_f64 v[12:13], v[8:9], -v[30:31]
	s_and_saveexec_b64 s[28:29], vcc
	s_cbranch_execz .LBB50_30
; %bb.21:                               ;   in Loop: Header=BB50_12 Depth=3
	v_lshlrev_b64 v[14:15], 4, v[26:27]
	v_mov_b32_e32 v16, s65
	v_add_co_u32_e32 v14, vcc, s64, v14
	v_addc_co_u32_e32 v15, vcc, v16, v15, vcc
	global_load_dwordx4 v[14:17], v[14:15], off
                                        ; implicit-def: $vgpr40_vgpr41
	s_waitcnt vmcnt(0)
	v_xor_b32_e32 v23, 0x80000000, v15
	v_cmp_gt_f64_e32 vcc, 0, v[14:15]
	v_xor_b32_e32 v33, 0x80000000, v17
	v_cndmask_b32_e32 v37, v15, v23, vcc
	v_cmp_gt_f64_e32 vcc, 0, v[16:17]
	v_mov_b32_e32 v36, v14
	v_cndmask_b32_e32 v39, v17, v33, vcc
	v_mov_b32_e32 v38, v16
	v_cmp_ngt_f64_e32 vcc, v[36:37], v[38:39]
	s_and_saveexec_b64 s[0:1], vcc
	s_xor_b64 s[30:31], exec, s[0:1]
	s_cbranch_execz .LBB50_25
; %bb.22:                               ;   in Loop: Header=BB50_12 Depth=3
	v_cmp_neq_f64_e32 vcc, 0, v[16:17]
	v_pk_mov_b32 v[40:41], 0, 0
	s_and_saveexec_b64 s[60:61], vcc
	s_cbranch_execz .LBB50_24
; %bb.23:                               ;   in Loop: Header=BB50_12 Depth=3
	v_div_scale_f64 v[40:41], s[0:1], v[38:39], v[38:39], v[36:37]
	v_rcp_f64_e32 v[56:57], v[40:41]
	v_div_scale_f64 v[58:59], vcc, v[36:37], v[38:39], v[36:37]
	v_fma_f64 v[60:61], -v[40:41], v[56:57], 1.0
	v_fmac_f64_e32 v[56:57], v[56:57], v[60:61]
	v_fma_f64 v[60:61], -v[40:41], v[56:57], 1.0
	v_fmac_f64_e32 v[56:57], v[56:57], v[60:61]
	v_mul_f64 v[60:61], v[58:59], v[56:57]
	v_fma_f64 v[40:41], -v[40:41], v[60:61], v[58:59]
	v_div_fmas_f64 v[40:41], v[40:41], v[56:57], v[60:61]
	v_div_fixup_f64 v[36:37], v[40:41], v[38:39], v[36:37]
	v_fma_f64 v[36:37], v[36:37], v[36:37], 1.0
	v_cmp_gt_f64_e32 vcc, s[88:89], v[36:37]
	v_cndmask_b32_e64 v23, 0, 1, vcc
	v_lshlrev_b32_e32 v23, 8, v23
	v_ldexp_f64 v[36:37], v[36:37], v23
	v_rsq_f64_e32 v[40:41], v[36:37]
	v_cndmask_b32_e32 v23, 0, v50, vcc
	v_cmp_class_f64_e32 vcc, v[36:37], v49
	v_mul_f64 v[56:57], v[36:37], v[40:41]
	v_mul_f64 v[40:41], v[40:41], 0.5
	v_fma_f64 v[58:59], -v[40:41], v[56:57], 0.5
	v_fmac_f64_e32 v[56:57], v[56:57], v[58:59]
	v_fmac_f64_e32 v[40:41], v[40:41], v[58:59]
	v_fma_f64 v[58:59], -v[56:57], v[56:57], v[36:37]
	v_fmac_f64_e32 v[56:57], v[58:59], v[40:41]
	v_fma_f64 v[58:59], -v[56:57], v[56:57], v[36:37]
	v_fmac_f64_e32 v[56:57], v[58:59], v[40:41]
	v_ldexp_f64 v[40:41], v[56:57], v23
	v_cndmask_b32_e32 v37, v41, v37, vcc
	v_cndmask_b32_e32 v36, v40, v36, vcc
	v_mul_f64 v[40:41], v[38:39], v[36:37]
.LBB50_24:                              ;   in Loop: Header=BB50_12 Depth=3
	s_or_b64 exec, exec, s[60:61]
                                        ; implicit-def: $vgpr36_vgpr37
                                        ; implicit-def: $vgpr38_vgpr39
.LBB50_25:                              ;   in Loop: Header=BB50_12 Depth=3
	s_andn2_saveexec_b64 s[30:31], s[30:31]
	s_cbranch_execz .LBB50_27
; %bb.26:                               ;   in Loop: Header=BB50_12 Depth=3
	v_div_scale_f64 v[40:41], s[0:1], v[36:37], v[36:37], v[38:39]
	v_rcp_f64_e32 v[56:57], v[40:41]
	v_div_scale_f64 v[58:59], vcc, v[38:39], v[36:37], v[38:39]
	v_fma_f64 v[60:61], -v[40:41], v[56:57], 1.0
	v_fmac_f64_e32 v[56:57], v[56:57], v[60:61]
	v_fma_f64 v[60:61], -v[40:41], v[56:57], 1.0
	v_fmac_f64_e32 v[56:57], v[56:57], v[60:61]
	v_mul_f64 v[60:61], v[58:59], v[56:57]
	v_fma_f64 v[40:41], -v[40:41], v[60:61], v[58:59]
	v_div_fmas_f64 v[40:41], v[40:41], v[56:57], v[60:61]
	v_div_fixup_f64 v[38:39], v[40:41], v[36:37], v[38:39]
	v_fma_f64 v[38:39], v[38:39], v[38:39], 1.0
	v_cmp_gt_f64_e32 vcc, s[88:89], v[38:39]
	v_cndmask_b32_e64 v23, 0, 1, vcc
	v_lshlrev_b32_e32 v23, 8, v23
	v_ldexp_f64 v[38:39], v[38:39], v23
	v_rsq_f64_e32 v[40:41], v[38:39]
	v_cndmask_b32_e32 v23, 0, v50, vcc
	v_cmp_class_f64_e32 vcc, v[38:39], v49
	v_mul_f64 v[56:57], v[38:39], v[40:41]
	v_mul_f64 v[40:41], v[40:41], 0.5
	v_fma_f64 v[58:59], -v[40:41], v[56:57], 0.5
	v_fmac_f64_e32 v[56:57], v[56:57], v[58:59]
	v_fmac_f64_e32 v[40:41], v[40:41], v[58:59]
	v_fma_f64 v[58:59], -v[56:57], v[56:57], v[38:39]
	v_fmac_f64_e32 v[56:57], v[58:59], v[40:41]
	v_fma_f64 v[58:59], -v[56:57], v[56:57], v[38:39]
	v_fmac_f64_e32 v[56:57], v[58:59], v[40:41]
	v_ldexp_f64 v[40:41], v[56:57], v23
	v_cndmask_b32_e32 v39, v41, v39, vcc
	v_cndmask_b32_e32 v38, v40, v38, vcc
	v_mul_f64 v[40:41], v[36:37], v[38:39]
.LBB50_27:                              ;   in Loop: Header=BB50_12 Depth=3
	s_or_b64 exec, exec, s[30:31]
	v_pk_mov_b32 v[38:39], 0, 0
	v_cmp_lt_f64_e32 vcc, 0, v[40:41]
	v_pk_mov_b32 v[36:37], v[38:39], v[38:39] op_sel:[0,1]
	s_and_saveexec_b64 s[30:31], vcc
	s_cbranch_execz .LBB50_29
; %bb.28:                               ;   in Loop: Header=BB50_12 Depth=3
	v_mul_f64 v[36:37], v[16:17], v[16:17]
	v_fmac_f64_e32 v[36:37], v[14:15], v[14:15]
	v_div_scale_f64 v[38:39], s[0:1], v[36:37], v[36:37], 1.0
	v_rcp_f64_e32 v[40:41], v[38:39]
	v_div_scale_f64 v[56:57], vcc, 1.0, v[36:37], 1.0
	v_fma_f64 v[58:59], -v[38:39], v[40:41], 1.0
	v_fmac_f64_e32 v[40:41], v[40:41], v[58:59]
	v_fma_f64 v[58:59], -v[38:39], v[40:41], 1.0
	v_fmac_f64_e32 v[40:41], v[40:41], v[58:59]
	v_mul_f64 v[58:59], v[56:57], v[40:41]
	v_fma_f64 v[38:39], -v[38:39], v[58:59], v[56:57]
	v_div_fmas_f64 v[38:39], v[38:39], v[40:41], v[58:59]
	v_div_fixup_f64 v[38:39], v[38:39], v[36:37], 1.0
	v_mul_f64 v[36:37], v[12:13], v[16:17]
	v_fmac_f64_e32 v[36:37], v[10:11], v[14:15]
	v_mul_f64 v[10:11], v[16:17], -v[10:11]
	v_fmac_f64_e32 v[10:11], v[12:13], v[14:15]
	v_mul_f64 v[36:37], v[36:37], v[38:39]
	v_mul_f64 v[38:39], v[10:11], v[38:39]
.LBB50_29:                              ;   in Loop: Header=BB50_12 Depth=3
	s_or_b64 exec, exec, s[30:31]
	v_pk_mov_b32 v[12:13], v[38:39], v[38:39] op_sel:[0,1]
	v_pk_mov_b32 v[10:11], v[36:37], v[36:37] op_sel:[0,1]
.LBB50_30:                              ;   in Loop: Header=BB50_12 Depth=3
	s_or_b64 exec, exec, s[28:29]
	v_xor_b32_e32 v14, 0x80000000, v11
	v_cmp_gt_f64_e32 vcc, 0, v[10:11]
	v_cndmask_b32_e32 v15, v11, v14, vcc
	v_cndmask_b32_e32 v14, v10, v10, vcc
	v_xor_b32_e32 v16, 0x80000000, v13
	v_cmp_gt_f64_e32 vcc, 0, v[12:13]
	v_cndmask_b32_e32 v17, v13, v16, vcc
	v_cndmask_b32_e32 v16, v12, v12, vcc
	v_cmp_ngt_f64_e32 vcc, v[14:15], v[16:17]
                                        ; implicit-def: $vgpr36_vgpr37
	s_and_saveexec_b64 s[0:1], vcc
	s_xor_b64 s[28:29], exec, s[0:1]
	s_cbranch_execnz .LBB50_34
; %bb.31:                               ;   in Loop: Header=BB50_12 Depth=3
	s_andn2_saveexec_b64 s[28:29], s[28:29]
	s_cbranch_execnz .LBB50_37
.LBB50_32:                              ;   in Loop: Header=BB50_12 Depth=3
	s_or_b64 exec, exec, s[28:29]
	v_cmp_class_f64_e64 s[80:81], v[36:37], s5
	s_and_saveexec_b64 s[60:61], s[80:81]
	s_cbranch_execnz .LBB50_38
.LBB50_33:                              ;   in Loop: Header=BB50_12 Depth=3
	s_or_b64 exec, exec, s[60:61]
	s_and_b64 s[0:1], s[80:81], s[34:35]
	s_and_saveexec_b64 s[26:27], s[0:1]
	s_cbranch_execz .LBB50_11
	s_branch .LBB50_79
.LBB50_34:                              ;   in Loop: Header=BB50_12 Depth=3
	v_cmp_neq_f64_e32 vcc, 0, v[12:13]
	v_pk_mov_b32 v[36:37], 0, 0
	s_and_saveexec_b64 s[30:31], vcc
	s_cbranch_execz .LBB50_36
; %bb.35:                               ;   in Loop: Header=BB50_12 Depth=3
	v_div_scale_f64 v[36:37], s[0:1], v[16:17], v[16:17], v[14:15]
	v_rcp_f64_e32 v[38:39], v[36:37]
	v_div_scale_f64 v[40:41], vcc, v[14:15], v[16:17], v[14:15]
	v_fma_f64 v[56:57], -v[36:37], v[38:39], 1.0
	v_fmac_f64_e32 v[38:39], v[38:39], v[56:57]
	v_fma_f64 v[56:57], -v[36:37], v[38:39], 1.0
	v_fmac_f64_e32 v[38:39], v[38:39], v[56:57]
	v_mul_f64 v[56:57], v[40:41], v[38:39]
	v_fma_f64 v[36:37], -v[36:37], v[56:57], v[40:41]
	v_div_fmas_f64 v[36:37], v[36:37], v[38:39], v[56:57]
	v_div_fixup_f64 v[14:15], v[36:37], v[16:17], v[14:15]
	v_fma_f64 v[14:15], v[14:15], v[14:15], 1.0
	v_cmp_gt_f64_e32 vcc, s[88:89], v[14:15]
	v_cndmask_b32_e64 v23, 0, 1, vcc
	v_lshlrev_b32_e32 v23, 8, v23
	v_ldexp_f64 v[14:15], v[14:15], v23
	v_rsq_f64_e32 v[36:37], v[14:15]
	v_cndmask_b32_e32 v23, 0, v50, vcc
	v_cmp_class_f64_e32 vcc, v[14:15], v49
	v_mul_f64 v[38:39], v[14:15], v[36:37]
	v_mul_f64 v[36:37], v[36:37], 0.5
	v_fma_f64 v[40:41], -v[36:37], v[38:39], 0.5
	v_fmac_f64_e32 v[38:39], v[38:39], v[40:41]
	v_fmac_f64_e32 v[36:37], v[36:37], v[40:41]
	v_fma_f64 v[40:41], -v[38:39], v[38:39], v[14:15]
	v_fmac_f64_e32 v[38:39], v[40:41], v[36:37]
	v_fma_f64 v[40:41], -v[38:39], v[38:39], v[14:15]
	v_fmac_f64_e32 v[38:39], v[40:41], v[36:37]
	v_ldexp_f64 v[36:37], v[38:39], v23
	v_cndmask_b32_e32 v15, v37, v15, vcc
	v_cndmask_b32_e32 v14, v36, v14, vcc
	v_mul_f64 v[36:37], v[16:17], v[14:15]
.LBB50_36:                              ;   in Loop: Header=BB50_12 Depth=3
	s_or_b64 exec, exec, s[30:31]
                                        ; implicit-def: $vgpr14_vgpr15
                                        ; implicit-def: $vgpr16_vgpr17
	s_andn2_saveexec_b64 s[28:29], s[28:29]
	s_cbranch_execz .LBB50_32
.LBB50_37:                              ;   in Loop: Header=BB50_12 Depth=3
	v_div_scale_f64 v[36:37], s[0:1], v[14:15], v[14:15], v[16:17]
	v_rcp_f64_e32 v[38:39], v[36:37]
	v_div_scale_f64 v[40:41], vcc, v[16:17], v[14:15], v[16:17]
	v_fma_f64 v[56:57], -v[36:37], v[38:39], 1.0
	v_fmac_f64_e32 v[38:39], v[38:39], v[56:57]
	v_fma_f64 v[56:57], -v[36:37], v[38:39], 1.0
	v_fmac_f64_e32 v[38:39], v[38:39], v[56:57]
	v_mul_f64 v[56:57], v[40:41], v[38:39]
	v_fma_f64 v[36:37], -v[36:37], v[56:57], v[40:41]
	v_div_fmas_f64 v[36:37], v[36:37], v[38:39], v[56:57]
	v_div_fixup_f64 v[16:17], v[36:37], v[14:15], v[16:17]
	v_fma_f64 v[16:17], v[16:17], v[16:17], 1.0
	v_cmp_gt_f64_e32 vcc, s[88:89], v[16:17]
	v_cndmask_b32_e64 v23, 0, 1, vcc
	v_lshlrev_b32_e32 v23, 8, v23
	v_ldexp_f64 v[16:17], v[16:17], v23
	v_rsq_f64_e32 v[36:37], v[16:17]
	v_cndmask_b32_e32 v23, 0, v50, vcc
	v_cmp_class_f64_e32 vcc, v[16:17], v49
	v_mul_f64 v[38:39], v[16:17], v[36:37]
	v_mul_f64 v[36:37], v[36:37], 0.5
	v_fma_f64 v[40:41], -v[36:37], v[38:39], 0.5
	v_fmac_f64_e32 v[38:39], v[38:39], v[40:41]
	v_fmac_f64_e32 v[36:37], v[36:37], v[40:41]
	v_fma_f64 v[40:41], -v[38:39], v[38:39], v[16:17]
	v_fmac_f64_e32 v[38:39], v[40:41], v[36:37]
	v_fma_f64 v[40:41], -v[38:39], v[38:39], v[16:17]
	v_fmac_f64_e32 v[38:39], v[40:41], v[36:37]
	v_ldexp_f64 v[36:37], v[38:39], v23
	v_cndmask_b32_e32 v17, v37, v17, vcc
	v_cndmask_b32_e32 v16, v36, v16, vcc
	v_mul_f64 v[36:37], v[14:15], v[16:17]
	s_or_b64 exec, exec, s[28:29]
	v_cmp_class_f64_e64 s[80:81], v[36:37], s5
	s_and_saveexec_b64 s[60:61], s[80:81]
	s_cbranch_execz .LBB50_33
.LBB50_38:                              ;   in Loop: Header=BB50_12 Depth=3
	s_and_saveexec_b64 s[0:1], s[26:27]
	s_xor_b64 s[26:27], exec, s[0:1]
	s_cbranch_execz .LBB50_63
; %bb.39:                               ;   in Loop: Header=BB50_12 Depth=3
	v_cmp_ge_i32_e32 vcc, v20, v26
	s_and_saveexec_b64 s[0:1], vcc
	s_xor_b64 s[28:29], exec, s[0:1]
	s_cbranch_execz .LBB50_47
; %bb.40:                               ;   in Loop: Header=BB50_12 Depth=3
	v_lshlrev_b64 v[14:15], 4, v[26:27]
	v_mov_b32_e32 v17, s67
	v_add_co_u32_e32 v16, vcc, s66, v14
	v_addc_co_u32_e32 v17, vcc, v17, v15, vcc
	s_andn2_b64 vcc, exec, s[68:69]
	global_store_dwordx4 v[16:17], v[10:13], off
	s_cbranch_vccnz .LBB50_46
; %bb.41:                               ;   in Loop: Header=BB50_12 Depth=3
	v_mov_b32_e32 v16, s65
	v_add_co_u32_e32 v14, vcc, s64, v14
	v_addc_co_u32_e32 v15, vcc, v16, v15, vcc
	global_load_dwordx4 v[14:17], v[14:15], off
	s_waitcnt vmcnt(0)
	v_add_f64 v[10:11], v[14:15], -v[10:11]
	v_add_f64 v[16:17], v[16:17], -v[12:13]
	v_xor_b32_e32 v12, 0x80000000, v11
	v_cmp_gt_f64_e32 vcc, 0, v[10:11]
	v_xor_b32_e32 v13, 0x80000000, v17
	v_cndmask_b32_e32 v11, v11, v12, vcc
	v_cndmask_b32_e32 v10, v10, v10, vcc
	v_cmp_gt_f64_e32 vcc, 0, v[16:17]
	v_cndmask_b32_e32 v13, v17, v13, vcc
	v_cndmask_b32_e32 v12, v16, v16, vcc
	v_cmp_ngt_f64_e32 vcc, v[10:11], v[12:13]
                                        ; implicit-def: $vgpr14_vgpr15
	s_and_saveexec_b64 s[0:1], vcc
	s_xor_b64 s[30:31], exec, s[0:1]
	s_cbranch_execnz .LBB50_107
; %bb.42:                               ;   in Loop: Header=BB50_12 Depth=3
	s_andn2_saveexec_b64 s[30:31], s[30:31]
	s_cbranch_execnz .LBB50_110
.LBB50_43:                              ;   in Loop: Header=BB50_12 Depth=3
	s_or_b64 exec, exec, s[30:31]
	v_cmp_class_f64_e64 s[30:31], v[14:15], s5
	s_and_saveexec_b64 s[0:1], s[30:31]
.LBB50_44:                              ;   in Loop: Header=BB50_12 Depth=3
	v_cmp_lt_f64_e32 vcc, v[4:5], v[14:15]
	v_cndmask_b32_e32 v5, v5, v15, vcc
	v_cndmask_b32_e32 v4, v4, v14, vcc
.LBB50_45:                              ;   in Loop: Header=BB50_12 Depth=3
	s_or_b64 exec, exec, s[0:1]
.LBB50_46:                              ;   in Loop: Header=BB50_12 Depth=3
                                        ; implicit-def: $vgpr10_vgpr11
.LBB50_47:                              ;   in Loop: Header=BB50_12 Depth=3
	s_andn2_saveexec_b64 s[62:63], s[28:29]
	s_cbranch_execz .LBB50_62
; %bb.48:                               ;   in Loop: Header=BB50_12 Depth=3
	v_cmp_lt_i32_e32 vcc, v34, v55
	s_and_saveexec_b64 s[28:29], vcc
	s_cbranch_execz .LBB50_61
; %bb.49:                               ;   in Loop: Header=BB50_12 Depth=3
	s_mov_b64 s[30:31], 0
	v_mov_b32_e32 v16, v34
                                        ; implicit-def: $sgpr78_sgpr79
                                        ; implicit-def: $sgpr72_sgpr73
                                        ; implicit-def: $sgpr86_sgpr87
	s_branch .LBB50_51
.LBB50_50:                              ;   in Loop: Header=BB50_51 Depth=4
	s_or_b64 exec, exec, s[0:1]
	s_and_b64 s[0:1], exec, s[72:73]
	s_or_b64 s[30:31], s[0:1], s[30:31]
	s_andn2_b64 s[0:1], s[78:79], exec
	s_and_b64 s[78:79], s[86:87], exec
	s_or_b64 s[78:79], s[0:1], s[78:79]
	s_andn2_b64 exec, exec, s[30:31]
	s_cbranch_execz .LBB50_53
.LBB50_51:                              ;   Parent Loop BB50_3 Depth=1
                                        ;     Parent Loop BB50_7 Depth=2
                                        ;       Parent Loop BB50_12 Depth=3
                                        ; =>      This Inner Loop Header: Depth=4
	v_add_u32_e32 v14, v32, v16
	v_ashrrev_i32_e32 v15, 31, v14
	v_lshlrev_b64 v[36:37], 2, v[14:15]
	v_mov_b32_e32 v17, s41
	v_add_co_u32_e32 v36, vcc, s40, v36
	v_addc_co_u32_e32 v37, vcc, v17, v37, vcc
	global_load_dword v17, v[36:37], off
	s_or_b64 s[86:87], s[86:87], exec
	s_or_b64 s[72:73], s[72:73], exec
	s_waitcnt vmcnt(0)
	v_subrev_u32_e32 v17, s9, v17
	v_cmp_ne_u32_e32 vcc, v17, v20
	s_and_saveexec_b64 s[0:1], vcc
	s_cbranch_execz .LBB50_50
; %bb.52:                               ;   in Loop: Header=BB50_51 Depth=4
	v_add_u32_e32 v16, 1, v16
	v_cmp_ge_i32_e32 vcc, v16, v55
	s_andn2_b64 s[72:73], s[72:73], exec
	s_and_b64 vcc, vcc, exec
	s_andn2_b64 s[86:87], s[86:87], exec
	s_or_b64 s[72:73], s[72:73], vcc
	s_branch .LBB50_50
.LBB50_53:                              ;   in Loop: Header=BB50_12 Depth=3
	s_or_b64 exec, exec, s[30:31]
	s_and_saveexec_b64 s[0:1], s[78:79]
	s_xor_b64 s[30:31], exec, s[0:1]
	s_cbranch_execz .LBB50_60
; %bb.54:                               ;   in Loop: Header=BB50_12 Depth=3
	v_lshlrev_b64 v[14:15], 4, v[14:15]
	v_mov_b32_e32 v17, s85
	v_add_co_u32_e32 v16, vcc, s84, v14
	v_addc_co_u32_e32 v17, vcc, v17, v15, vcc
	s_andn2_b64 vcc, exec, s[68:69]
	global_store_dwordx4 v[16:17], v[10:13], off
	s_cbranch_vccnz .LBB50_60
; %bb.55:                               ;   in Loop: Header=BB50_12 Depth=3
	v_mov_b32_e32 v16, s43
	v_add_co_u32_e32 v14, vcc, s42, v14
	v_addc_co_u32_e32 v15, vcc, v16, v15, vcc
	global_load_dwordx4 v[14:17], v[14:15], off
	s_waitcnt vmcnt(0)
	v_add_f64 v[10:11], v[14:15], -v[10:11]
	v_add_f64 v[16:17], v[16:17], -v[12:13]
	v_xor_b32_e32 v12, 0x80000000, v11
	v_cmp_gt_f64_e32 vcc, 0, v[10:11]
	v_xor_b32_e32 v13, 0x80000000, v17
	v_cndmask_b32_e32 v11, v11, v12, vcc
	v_cndmask_b32_e32 v10, v10, v10, vcc
	v_cmp_gt_f64_e32 vcc, 0, v[16:17]
	v_cndmask_b32_e32 v13, v17, v13, vcc
	v_cndmask_b32_e32 v12, v16, v16, vcc
	v_cmp_ngt_f64_e32 vcc, v[10:11], v[12:13]
                                        ; implicit-def: $vgpr14_vgpr15
	s_and_saveexec_b64 s[0:1], vcc
	s_xor_b64 s[78:79], exec, s[0:1]
	s_cbranch_execnz .LBB50_115
; %bb.56:                               ;   in Loop: Header=BB50_12 Depth=3
	s_andn2_saveexec_b64 s[72:73], s[78:79]
	s_cbranch_execnz .LBB50_118
.LBB50_57:                              ;   in Loop: Header=BB50_12 Depth=3
	s_or_b64 exec, exec, s[72:73]
	v_cmp_class_f64_e64 s[72:73], v[14:15], s5
	s_and_saveexec_b64 s[0:1], s[72:73]
.LBB50_58:                              ;   in Loop: Header=BB50_12 Depth=3
	v_cmp_lt_f64_e32 vcc, v[4:5], v[14:15]
	v_cndmask_b32_e32 v5, v5, v15, vcc
	v_cndmask_b32_e32 v4, v4, v14, vcc
.LBB50_59:                              ;   in Loop: Header=BB50_12 Depth=3
	s_or_b64 exec, exec, s[0:1]
.LBB50_60:                              ;   in Loop: Header=BB50_12 Depth=3
	s_or_b64 exec, exec, s[30:31]
.LBB50_61:                              ;   in Loop: Header=BB50_12 Depth=3
	s_or_b64 exec, exec, s[28:29]
.LBB50_62:                              ;   in Loop: Header=BB50_12 Depth=3
	s_or_b64 exec, exec, s[62:63]
                                        ; implicit-def: $vgpr10_vgpr11
.LBB50_63:                              ;   in Loop: Header=BB50_12 Depth=3
	s_andn2_saveexec_b64 s[26:27], s[26:27]
	s_cbranch_execz .LBB50_78
; %bb.64:                               ;   in Loop: Header=BB50_12 Depth=3
	v_cmp_lt_i32_e32 vcc, v18, v51
	s_and_saveexec_b64 s[62:63], vcc
	s_cbranch_execz .LBB50_77
; %bb.65:                               ;   in Loop: Header=BB50_12 Depth=3
	s_mov_b64 s[28:29], 0
	v_mov_b32_e32 v16, v18
                                        ; implicit-def: $sgpr30_sgpr31
                                        ; implicit-def: $sgpr72_sgpr73
                                        ; implicit-def: $sgpr78_sgpr79
	s_branch .LBB50_67
.LBB50_66:                              ;   in Loop: Header=BB50_67 Depth=4
	s_or_b64 exec, exec, s[86:87]
	s_and_b64 s[0:1], exec, s[72:73]
	s_or_b64 s[28:29], s[0:1], s[28:29]
	s_andn2_b64 s[0:1], s[30:31], exec
	s_and_b64 s[30:31], s[78:79], exec
	s_or_b64 s[30:31], s[0:1], s[30:31]
	s_andn2_b64 exec, exec, s[28:29]
	s_cbranch_execz .LBB50_69
.LBB50_67:                              ;   Parent Loop BB50_3 Depth=1
                                        ;     Parent Loop BB50_7 Depth=2
                                        ;       Parent Loop BB50_12 Depth=3
                                        ; =>      This Inner Loop Header: Depth=4
	v_add_u32_e32 v14, v24, v16
	v_ashrrev_i32_e32 v15, 31, v14
	v_lshlrev_b64 v[36:37], 2, v[14:15]
	v_mov_b32_e32 v17, s49
	v_add_co_u32_e32 v36, vcc, s48, v36
	v_addc_co_u32_e32 v37, vcc, v17, v37, vcc
	global_load_dword v17, v[36:37], off
	s_or_b64 s[78:79], s[78:79], exec
	s_or_b64 s[72:73], s[72:73], exec
	s_waitcnt vmcnt(0)
	v_subrev_u32_e32 v17, s8, v17
	v_cmp_ne_u32_e32 vcc, v17, v26
	s_and_saveexec_b64 s[86:87], vcc
	s_cbranch_execz .LBB50_66
; %bb.68:                               ;   in Loop: Header=BB50_67 Depth=4
	v_add_u32_e32 v16, 1, v16
	v_cmp_ge_i32_e32 vcc, v16, v51
	s_andn2_b64 s[0:1], s[72:73], exec
	s_and_b64 s[72:73], vcc, exec
	s_andn2_b64 s[78:79], s[78:79], exec
	s_or_b64 s[72:73], s[0:1], s[72:73]
	s_branch .LBB50_66
.LBB50_69:                              ;   in Loop: Header=BB50_12 Depth=3
	s_or_b64 exec, exec, s[28:29]
	s_and_saveexec_b64 s[0:1], s[30:31]
	s_xor_b64 s[28:29], exec, s[0:1]
	s_cbranch_execz .LBB50_76
; %bb.70:                               ;   in Loop: Header=BB50_12 Depth=3
	v_lshlrev_b64 v[14:15], 4, v[14:15]
	v_mov_b32_e32 v17, s83
	v_add_co_u32_e32 v16, vcc, s82, v14
	v_addc_co_u32_e32 v17, vcc, v17, v15, vcc
	s_andn2_b64 vcc, exec, s[68:69]
	global_store_dwordx4 v[16:17], v[10:13], off
	s_cbranch_vccnz .LBB50_76
; %bb.71:                               ;   in Loop: Header=BB50_12 Depth=3
	v_mov_b32_e32 v16, s51
	v_add_co_u32_e32 v14, vcc, s50, v14
	v_addc_co_u32_e32 v15, vcc, v16, v15, vcc
	global_load_dwordx4 v[14:17], v[14:15], off
	s_waitcnt vmcnt(0)
	v_add_f64 v[10:11], v[14:15], -v[10:11]
	v_add_f64 v[16:17], v[16:17], -v[12:13]
	v_xor_b32_e32 v12, 0x80000000, v11
	v_cmp_gt_f64_e32 vcc, 0, v[10:11]
	v_xor_b32_e32 v13, 0x80000000, v17
	v_cndmask_b32_e32 v11, v11, v12, vcc
	v_cndmask_b32_e32 v10, v10, v10, vcc
	v_cmp_gt_f64_e32 vcc, 0, v[16:17]
	v_cndmask_b32_e32 v13, v17, v13, vcc
	v_cndmask_b32_e32 v12, v16, v16, vcc
	v_cmp_ngt_f64_e32 vcc, v[10:11], v[12:13]
                                        ; implicit-def: $vgpr14_vgpr15
	s_and_saveexec_b64 s[0:1], vcc
	s_xor_b64 s[30:31], exec, s[0:1]
	s_cbranch_execnz .LBB50_111
; %bb.72:                               ;   in Loop: Header=BB50_12 Depth=3
	s_andn2_saveexec_b64 s[30:31], s[30:31]
	s_cbranch_execnz .LBB50_114
.LBB50_73:                              ;   in Loop: Header=BB50_12 Depth=3
	s_or_b64 exec, exec, s[30:31]
	v_cmp_class_f64_e64 s[30:31], v[14:15], s5
	s_and_saveexec_b64 s[0:1], s[30:31]
.LBB50_74:                              ;   in Loop: Header=BB50_12 Depth=3
	v_cmp_lt_f64_e32 vcc, v[4:5], v[14:15]
	v_cndmask_b32_e32 v5, v5, v15, vcc
	v_cndmask_b32_e32 v4, v4, v14, vcc
.LBB50_75:                              ;   in Loop: Header=BB50_12 Depth=3
	s_or_b64 exec, exec, s[0:1]
.LBB50_76:                              ;   in Loop: Header=BB50_12 Depth=3
	s_or_b64 exec, exec, s[28:29]
.LBB50_77:                              ;   in Loop: Header=BB50_12 Depth=3
	s_or_b64 exec, exec, s[62:63]
.LBB50_78:                              ;   in Loop: Header=BB50_12 Depth=3
	s_or_b64 exec, exec, s[26:27]
	s_or_b64 exec, exec, s[60:61]
	s_and_b64 s[0:1], s[80:81], s[34:35]
	s_and_saveexec_b64 s[26:27], s[0:1]
	s_cbranch_execz .LBB50_11
.LBB50_79:                              ;   in Loop: Header=BB50_12 Depth=3
	v_cmp_ge_i32_e32 vcc, v34, v55
	s_and_saveexec_b64 s[0:1], vcc
	s_xor_b64 s[28:29], exec, s[0:1]
	s_cbranch_execnz .LBB50_86
; %bb.80:                               ;   in Loop: Header=BB50_12 Depth=3
	s_andn2_saveexec_b64 s[28:29], s[28:29]
	s_cbranch_execnz .LBB50_100
.LBB50_81:                              ;   in Loop: Header=BB50_12 Depth=3
	s_or_b64 exec, exec, s[28:29]
	v_cmp_eq_u32_e32 vcc, v20, v26
	s_and_saveexec_b64 s[28:29], vcc
	s_cbranch_execz .LBB50_83
.LBB50_82:                              ;   in Loop: Header=BB50_12 Depth=3
	v_lshlrev_b64 v[10:11], 4, v[26:27]
	v_mov_b32_e32 v12, s65
	v_add_co_u32_e32 v10, vcc, s64, v10
	v_addc_co_u32_e32 v11, vcc, v12, v11, vcc
	global_load_dwordx4 v[10:13], v[10:11], off
	s_waitcnt vmcnt(0)
	v_add_f64 v[28:29], v[28:29], v[10:11]
	v_add_f64 v[30:31], v[30:31], v[12:13]
.LBB50_83:                              ;   in Loop: Header=BB50_12 Depth=3
	s_or_b64 exec, exec, s[28:29]
	v_add_f64 v[6:7], v[6:7], -v[28:29]
	v_add_f64 v[12:13], v[8:9], -v[30:31]
	v_xor_b32_e32 v8, 0x80000000, v7
	v_cmp_gt_f64_e32 vcc, 0, v[6:7]
	v_cndmask_b32_e32 v7, v7, v8, vcc
	v_cndmask_b32_e32 v6, v6, v6, vcc
	v_xor_b32_e32 v8, 0x80000000, v13
	v_cmp_gt_f64_e32 vcc, 0, v[12:13]
	v_cndmask_b32_e32 v9, v13, v8, vcc
	v_cndmask_b32_e32 v8, v12, v12, vcc
	v_cmp_ngt_f64_e32 vcc, v[6:7], v[8:9]
                                        ; implicit-def: $vgpr10_vgpr11
	s_and_saveexec_b64 s[0:1], vcc
	s_xor_b64 s[28:29], exec, s[0:1]
	s_cbranch_execnz .LBB50_91
; %bb.84:                               ;   in Loop: Header=BB50_12 Depth=3
	s_andn2_saveexec_b64 s[28:29], s[28:29]
	s_cbranch_execnz .LBB50_94
.LBB50_85:                              ;   in Loop: Header=BB50_12 Depth=3
	s_or_b64 exec, exec, s[28:29]
	v_cmp_class_f64_e64 s[28:29], v[10:11], s5
	s_and_saveexec_b64 s[0:1], s[28:29]
	s_cbranch_execz .LBB50_10
	s_branch .LBB50_95
.LBB50_86:                              ;   in Loop: Header=BB50_12 Depth=3
	v_cmp_lt_i32_e32 vcc, v18, v51
	s_and_saveexec_b64 s[30:31], vcc
	s_cbranch_execz .LBB50_99
; %bb.87:                               ;   in Loop: Header=BB50_12 Depth=3
	s_mov_b64 s[62:63], 0
                                        ; implicit-def: $sgpr60_sgpr61
                                        ; implicit-def: $sgpr80_sgpr81
                                        ; implicit-def: $sgpr78_sgpr79
	s_branch .LBB50_89
.LBB50_88:                              ;   in Loop: Header=BB50_89 Depth=4
	s_or_b64 exec, exec, s[72:73]
	s_and_b64 s[0:1], exec, s[80:81]
	s_or_b64 s[62:63], s[0:1], s[62:63]
	s_andn2_b64 s[0:1], s[60:61], exec
	s_and_b64 s[60:61], s[78:79], exec
	s_or_b64 s[60:61], s[0:1], s[60:61]
	s_andn2_b64 exec, exec, s[62:63]
	s_cbranch_execz .LBB50_96
.LBB50_89:                              ;   Parent Loop BB50_3 Depth=1
                                        ;     Parent Loop BB50_7 Depth=2
                                        ;       Parent Loop BB50_12 Depth=3
                                        ; =>      This Inner Loop Header: Depth=4
	v_add_u32_e32 v10, v24, v18
	v_ashrrev_i32_e32 v11, 31, v10
	v_lshlrev_b64 v[12:13], 2, v[10:11]
	v_mov_b32_e32 v14, s49
	v_add_co_u32_e32 v12, vcc, s48, v12
	v_addc_co_u32_e32 v13, vcc, v14, v13, vcc
	global_load_dword v12, v[12:13], off
	s_or_b64 s[78:79], s[78:79], exec
	s_or_b64 s[80:81], s[80:81], exec
	s_waitcnt vmcnt(0)
	v_subrev_u32_e32 v12, s8, v12
	v_cmp_ne_u32_e32 vcc, v12, v26
	s_and_saveexec_b64 s[72:73], vcc
	s_cbranch_execz .LBB50_88
; %bb.90:                               ;   in Loop: Header=BB50_89 Depth=4
	v_add_u32_e32 v18, 1, v18
	v_cmp_ge_i32_e32 vcc, v18, v51
	s_andn2_b64 s[0:1], s[80:81], exec
	s_and_b64 s[80:81], vcc, exec
	s_andn2_b64 s[78:79], s[78:79], exec
	s_or_b64 s[80:81], s[0:1], s[80:81]
	s_branch .LBB50_88
.LBB50_91:                              ;   in Loop: Header=BB50_12 Depth=3
	v_cmp_neq_f64_e32 vcc, 0, v[12:13]
	v_pk_mov_b32 v[10:11], 0, 0
	s_and_saveexec_b64 s[30:31], vcc
	s_cbranch_execz .LBB50_93
; %bb.92:                               ;   in Loop: Header=BB50_12 Depth=3
	v_div_scale_f64 v[10:11], s[0:1], v[8:9], v[8:9], v[6:7]
	v_rcp_f64_e32 v[12:13], v[10:11]
	v_div_scale_f64 v[14:15], vcc, v[6:7], v[8:9], v[6:7]
	v_fma_f64 v[16:17], -v[10:11], v[12:13], 1.0
	v_fmac_f64_e32 v[12:13], v[12:13], v[16:17]
	v_fma_f64 v[16:17], -v[10:11], v[12:13], 1.0
	v_fmac_f64_e32 v[12:13], v[12:13], v[16:17]
	v_mul_f64 v[16:17], v[14:15], v[12:13]
	v_fma_f64 v[10:11], -v[10:11], v[16:17], v[14:15]
	v_div_fmas_f64 v[10:11], v[10:11], v[12:13], v[16:17]
	v_div_fixup_f64 v[6:7], v[10:11], v[8:9], v[6:7]
	v_fma_f64 v[6:7], v[6:7], v[6:7], 1.0
	v_cmp_gt_f64_e32 vcc, s[88:89], v[6:7]
	v_cndmask_b32_e64 v10, 0, 1, vcc
	v_lshlrev_b32_e32 v10, 8, v10
	v_ldexp_f64 v[6:7], v[6:7], v10
	v_rsq_f64_e32 v[10:11], v[6:7]
	v_mul_f64 v[12:13], v[6:7], v[10:11]
	v_mul_f64 v[10:11], v[10:11], 0.5
	v_fma_f64 v[14:15], -v[10:11], v[12:13], 0.5
	v_fmac_f64_e32 v[12:13], v[12:13], v[14:15]
	v_fmac_f64_e32 v[10:11], v[10:11], v[14:15]
	v_fma_f64 v[14:15], -v[12:13], v[12:13], v[6:7]
	v_fmac_f64_e32 v[12:13], v[14:15], v[10:11]
	v_fma_f64 v[14:15], -v[12:13], v[12:13], v[6:7]
	v_fmac_f64_e32 v[12:13], v[14:15], v[10:11]
	v_cndmask_b32_e32 v10, 0, v50, vcc
	v_ldexp_f64 v[10:11], v[12:13], v10
	v_cmp_class_f64_e32 vcc, v[6:7], v49
	v_cndmask_b32_e32 v7, v11, v7, vcc
	v_cndmask_b32_e32 v6, v10, v6, vcc
	v_mul_f64 v[10:11], v[8:9], v[6:7]
.LBB50_93:                              ;   in Loop: Header=BB50_12 Depth=3
	s_or_b64 exec, exec, s[30:31]
                                        ; implicit-def: $vgpr6_vgpr7
                                        ; implicit-def: $vgpr8_vgpr9
	s_andn2_saveexec_b64 s[28:29], s[28:29]
	s_cbranch_execz .LBB50_85
.LBB50_94:                              ;   in Loop: Header=BB50_12 Depth=3
	v_div_scale_f64 v[10:11], s[0:1], v[6:7], v[6:7], v[8:9]
	v_rcp_f64_e32 v[12:13], v[10:11]
	v_div_scale_f64 v[14:15], vcc, v[8:9], v[6:7], v[8:9]
	v_fma_f64 v[16:17], -v[10:11], v[12:13], 1.0
	v_fmac_f64_e32 v[12:13], v[12:13], v[16:17]
	v_fma_f64 v[16:17], -v[10:11], v[12:13], 1.0
	v_fmac_f64_e32 v[12:13], v[12:13], v[16:17]
	v_mul_f64 v[16:17], v[14:15], v[12:13]
	v_fma_f64 v[10:11], -v[10:11], v[16:17], v[14:15]
	v_div_fmas_f64 v[10:11], v[10:11], v[12:13], v[16:17]
	v_div_fixup_f64 v[8:9], v[10:11], v[6:7], v[8:9]
	v_fma_f64 v[8:9], v[8:9], v[8:9], 1.0
	v_cmp_gt_f64_e32 vcc, s[88:89], v[8:9]
	v_cndmask_b32_e64 v10, 0, 1, vcc
	v_lshlrev_b32_e32 v10, 8, v10
	v_ldexp_f64 v[8:9], v[8:9], v10
	v_rsq_f64_e32 v[10:11], v[8:9]
	v_mul_f64 v[12:13], v[8:9], v[10:11]
	v_mul_f64 v[10:11], v[10:11], 0.5
	v_fma_f64 v[14:15], -v[10:11], v[12:13], 0.5
	v_fmac_f64_e32 v[12:13], v[12:13], v[14:15]
	v_fmac_f64_e32 v[10:11], v[10:11], v[14:15]
	v_fma_f64 v[14:15], -v[12:13], v[12:13], v[8:9]
	v_fmac_f64_e32 v[12:13], v[14:15], v[10:11]
	v_fma_f64 v[14:15], -v[12:13], v[12:13], v[8:9]
	v_fmac_f64_e32 v[12:13], v[14:15], v[10:11]
	v_cndmask_b32_e32 v10, 0, v50, vcc
	v_ldexp_f64 v[10:11], v[12:13], v10
	v_cmp_class_f64_e32 vcc, v[8:9], v49
	v_cndmask_b32_e32 v9, v11, v9, vcc
	v_cndmask_b32_e32 v8, v10, v8, vcc
	v_mul_f64 v[10:11], v[6:7], v[8:9]
	s_or_b64 exec, exec, s[28:29]
	v_cmp_class_f64_e64 s[28:29], v[10:11], s5
	s_and_saveexec_b64 s[0:1], s[28:29]
	s_cbranch_execz .LBB50_10
.LBB50_95:                              ;   in Loop: Header=BB50_12 Depth=3
	v_cmp_lt_f64_e32 vcc, v[2:3], v[10:11]
	v_cndmask_b32_e32 v3, v3, v11, vcc
	v_cndmask_b32_e32 v2, v2, v10, vcc
	s_branch .LBB50_10
.LBB50_96:                              ;   in Loop: Header=BB50_12 Depth=3
	s_or_b64 exec, exec, s[62:63]
	s_and_saveexec_b64 s[0:1], s[60:61]
	s_xor_b64 s[60:61], exec, s[0:1]
	s_cbranch_execz .LBB50_98
; %bb.97:                               ;   in Loop: Header=BB50_12 Depth=3
	v_lshlrev_b64 v[10:11], 4, v[10:11]
	v_mov_b32_e32 v12, s51
	v_add_co_u32_e32 v14, vcc, s50, v10
	v_addc_co_u32_e32 v15, vcc, v12, v11, vcc
	v_lshlrev_b64 v[10:11], 4, v[26:27]
	v_mov_b32_e32 v12, s65
	v_add_co_u32_e32 v10, vcc, s64, v10
	v_addc_co_u32_e32 v11, vcc, v12, v11, vcc
	global_load_dwordx4 v[10:13], v[10:11], off
	s_nop 0
	global_load_dwordx4 v[14:17], v[14:15], off
	s_waitcnt vmcnt(0)
	v_mul_f64 v[32:33], v[12:13], -v[16:17]
	v_mul_f64 v[12:13], v[12:13], v[14:15]
	v_fmac_f64_e32 v[32:33], v[14:15], v[10:11]
	v_fmac_f64_e32 v[12:13], v[16:17], v[10:11]
	v_add_f64 v[28:29], v[28:29], v[32:33]
	v_add_f64 v[30:31], v[30:31], v[12:13]
.LBB50_98:                              ;   in Loop: Header=BB50_12 Depth=3
	s_or_b64 exec, exec, s[60:61]
.LBB50_99:                              ;   in Loop: Header=BB50_12 Depth=3
	s_or_b64 exec, exec, s[30:31]
                                        ; implicit-def: $vgpr34
                                        ; implicit-def: $vgpr32
                                        ; implicit-def: $vgpr55
	s_andn2_saveexec_b64 s[28:29], s[28:29]
	s_cbranch_execz .LBB50_81
.LBB50_100:                             ;   in Loop: Header=BB50_12 Depth=3
	s_mov_b64 s[60:61], 0
                                        ; implicit-def: $sgpr30_sgpr31
                                        ; implicit-def: $sgpr78_sgpr79
                                        ; implicit-def: $sgpr62_sgpr63
	s_branch .LBB50_102
.LBB50_101:                             ;   in Loop: Header=BB50_102 Depth=4
	s_or_b64 exec, exec, s[72:73]
	s_and_b64 s[0:1], exec, s[78:79]
	s_or_b64 s[60:61], s[0:1], s[60:61]
	s_andn2_b64 s[0:1], s[30:31], exec
	s_and_b64 s[30:31], s[62:63], exec
	s_or_b64 s[30:31], s[0:1], s[30:31]
	s_andn2_b64 exec, exec, s[60:61]
	s_cbranch_execz .LBB50_104
.LBB50_102:                             ;   Parent Loop BB50_3 Depth=1
                                        ;     Parent Loop BB50_7 Depth=2
                                        ;       Parent Loop BB50_12 Depth=3
                                        ; =>      This Inner Loop Header: Depth=4
	v_add_u32_e32 v10, v32, v34
	v_ashrrev_i32_e32 v11, 31, v10
	v_lshlrev_b64 v[12:13], 2, v[10:11]
	v_mov_b32_e32 v14, s41
	v_add_co_u32_e32 v12, vcc, s40, v12
	v_addc_co_u32_e32 v13, vcc, v14, v13, vcc
	global_load_dword v12, v[12:13], off
	s_or_b64 s[62:63], s[62:63], exec
	s_or_b64 s[78:79], s[78:79], exec
	s_waitcnt vmcnt(0)
	v_subrev_u32_e32 v12, s9, v12
	v_cmp_ne_u32_e32 vcc, v12, v20
	s_and_saveexec_b64 s[72:73], vcc
	s_cbranch_execz .LBB50_101
; %bb.103:                              ;   in Loop: Header=BB50_102 Depth=4
	v_add_u32_e32 v34, 1, v34
	v_cmp_ge_i32_e32 vcc, v34, v55
	s_andn2_b64 s[0:1], s[78:79], exec
	s_and_b64 s[78:79], vcc, exec
	s_andn2_b64 s[62:63], s[62:63], exec
	s_or_b64 s[78:79], s[0:1], s[78:79]
	s_branch .LBB50_101
.LBB50_104:                             ;   in Loop: Header=BB50_12 Depth=3
	s_or_b64 exec, exec, s[60:61]
	s_and_saveexec_b64 s[0:1], s[30:31]
	s_xor_b64 s[30:31], exec, s[0:1]
	s_cbranch_execz .LBB50_106
; %bb.105:                              ;   in Loop: Header=BB50_12 Depth=3
	v_lshlrev_b64 v[10:11], 4, v[10:11]
	v_mov_b32_e32 v12, s43
	v_add_co_u32_e32 v10, vcc, s42, v10
	v_addc_co_u32_e32 v11, vcc, v12, v11, vcc
	global_load_dwordx4 v[10:13], v[10:11], off
	s_waitcnt vmcnt(0)
	v_add_f64 v[28:29], v[28:29], v[10:11]
	v_add_f64 v[30:31], v[30:31], v[12:13]
.LBB50_106:                             ;   in Loop: Header=BB50_12 Depth=3
	s_or_b64 exec, exec, s[30:31]
	s_or_b64 exec, exec, s[28:29]
	v_cmp_eq_u32_e32 vcc, v20, v26
	s_and_saveexec_b64 s[28:29], vcc
	s_cbranch_execnz .LBB50_82
	s_branch .LBB50_83
.LBB50_107:                             ;   in Loop: Header=BB50_12 Depth=3
	v_cmp_neq_f64_e32 vcc, 0, v[16:17]
	v_pk_mov_b32 v[14:15], 0, 0
	s_and_saveexec_b64 s[62:63], vcc
	s_cbranch_execz .LBB50_109
; %bb.108:                              ;   in Loop: Header=BB50_12 Depth=3
	v_div_scale_f64 v[14:15], s[0:1], v[12:13], v[12:13], v[10:11]
	v_rcp_f64_e32 v[16:17], v[14:15]
	v_div_scale_f64 v[36:37], vcc, v[10:11], v[12:13], v[10:11]
	v_fma_f64 v[38:39], -v[14:15], v[16:17], 1.0
	v_fmac_f64_e32 v[16:17], v[16:17], v[38:39]
	v_fma_f64 v[38:39], -v[14:15], v[16:17], 1.0
	v_fmac_f64_e32 v[16:17], v[16:17], v[38:39]
	v_mul_f64 v[38:39], v[36:37], v[16:17]
	v_fma_f64 v[14:15], -v[14:15], v[38:39], v[36:37]
	v_div_fmas_f64 v[14:15], v[14:15], v[16:17], v[38:39]
	v_div_fixup_f64 v[10:11], v[14:15], v[12:13], v[10:11]
	v_fma_f64 v[10:11], v[10:11], v[10:11], 1.0
	v_cmp_gt_f64_e32 vcc, s[88:89], v[10:11]
	v_cndmask_b32_e64 v14, 0, 1, vcc
	v_lshlrev_b32_e32 v14, 8, v14
	v_ldexp_f64 v[10:11], v[10:11], v14
	v_rsq_f64_e32 v[14:15], v[10:11]
	v_mul_f64 v[16:17], v[10:11], v[14:15]
	v_mul_f64 v[14:15], v[14:15], 0.5
	v_fma_f64 v[36:37], -v[14:15], v[16:17], 0.5
	v_fmac_f64_e32 v[16:17], v[16:17], v[36:37]
	v_fmac_f64_e32 v[14:15], v[14:15], v[36:37]
	v_fma_f64 v[36:37], -v[16:17], v[16:17], v[10:11]
	v_fmac_f64_e32 v[16:17], v[36:37], v[14:15]
	v_fma_f64 v[36:37], -v[16:17], v[16:17], v[10:11]
	v_fmac_f64_e32 v[16:17], v[36:37], v[14:15]
	v_cndmask_b32_e32 v14, 0, v50, vcc
	v_ldexp_f64 v[14:15], v[16:17], v14
	v_cmp_class_f64_e32 vcc, v[10:11], v49
	v_cndmask_b32_e32 v11, v15, v11, vcc
	v_cndmask_b32_e32 v10, v14, v10, vcc
	v_mul_f64 v[14:15], v[12:13], v[10:11]
.LBB50_109:                             ;   in Loop: Header=BB50_12 Depth=3
	s_or_b64 exec, exec, s[62:63]
                                        ; implicit-def: $vgpr10_vgpr11
                                        ; implicit-def: $vgpr12_vgpr13
	s_andn2_saveexec_b64 s[30:31], s[30:31]
	s_cbranch_execz .LBB50_43
.LBB50_110:                             ;   in Loop: Header=BB50_12 Depth=3
	v_div_scale_f64 v[14:15], s[0:1], v[10:11], v[10:11], v[12:13]
	v_rcp_f64_e32 v[16:17], v[14:15]
	v_div_scale_f64 v[36:37], vcc, v[12:13], v[10:11], v[12:13]
	v_fma_f64 v[38:39], -v[14:15], v[16:17], 1.0
	v_fmac_f64_e32 v[16:17], v[16:17], v[38:39]
	v_fma_f64 v[38:39], -v[14:15], v[16:17], 1.0
	v_fmac_f64_e32 v[16:17], v[16:17], v[38:39]
	v_mul_f64 v[38:39], v[36:37], v[16:17]
	v_fma_f64 v[14:15], -v[14:15], v[38:39], v[36:37]
	v_div_fmas_f64 v[14:15], v[14:15], v[16:17], v[38:39]
	v_div_fixup_f64 v[12:13], v[14:15], v[10:11], v[12:13]
	v_fma_f64 v[12:13], v[12:13], v[12:13], 1.0
	v_cmp_gt_f64_e32 vcc, s[88:89], v[12:13]
	v_cndmask_b32_e64 v14, 0, 1, vcc
	v_lshlrev_b32_e32 v14, 8, v14
	v_ldexp_f64 v[12:13], v[12:13], v14
	v_rsq_f64_e32 v[14:15], v[12:13]
	v_mul_f64 v[16:17], v[12:13], v[14:15]
	v_mul_f64 v[14:15], v[14:15], 0.5
	v_fma_f64 v[36:37], -v[14:15], v[16:17], 0.5
	v_fmac_f64_e32 v[16:17], v[16:17], v[36:37]
	v_fmac_f64_e32 v[14:15], v[14:15], v[36:37]
	v_fma_f64 v[36:37], -v[16:17], v[16:17], v[12:13]
	v_fmac_f64_e32 v[16:17], v[36:37], v[14:15]
	v_fma_f64 v[36:37], -v[16:17], v[16:17], v[12:13]
	v_fmac_f64_e32 v[16:17], v[36:37], v[14:15]
	v_cndmask_b32_e32 v14, 0, v50, vcc
	v_ldexp_f64 v[14:15], v[16:17], v14
	v_cmp_class_f64_e32 vcc, v[12:13], v49
	v_cndmask_b32_e32 v13, v15, v13, vcc
	v_cndmask_b32_e32 v12, v14, v12, vcc
	v_mul_f64 v[14:15], v[10:11], v[12:13]
	s_or_b64 exec, exec, s[30:31]
	v_cmp_class_f64_e64 s[30:31], v[14:15], s5
	s_and_saveexec_b64 s[0:1], s[30:31]
	s_cbranch_execnz .LBB50_44
	s_branch .LBB50_45
.LBB50_111:                             ;   in Loop: Header=BB50_12 Depth=3
	v_cmp_neq_f64_e32 vcc, 0, v[16:17]
	v_pk_mov_b32 v[14:15], 0, 0
	s_and_saveexec_b64 s[72:73], vcc
	s_cbranch_execz .LBB50_113
; %bb.112:                              ;   in Loop: Header=BB50_12 Depth=3
	v_div_scale_f64 v[14:15], s[0:1], v[12:13], v[12:13], v[10:11]
	v_rcp_f64_e32 v[16:17], v[14:15]
	v_div_scale_f64 v[36:37], vcc, v[10:11], v[12:13], v[10:11]
	v_fma_f64 v[38:39], -v[14:15], v[16:17], 1.0
	v_fmac_f64_e32 v[16:17], v[16:17], v[38:39]
	v_fma_f64 v[38:39], -v[14:15], v[16:17], 1.0
	v_fmac_f64_e32 v[16:17], v[16:17], v[38:39]
	v_mul_f64 v[38:39], v[36:37], v[16:17]
	v_fma_f64 v[14:15], -v[14:15], v[38:39], v[36:37]
	v_div_fmas_f64 v[14:15], v[14:15], v[16:17], v[38:39]
	v_div_fixup_f64 v[10:11], v[14:15], v[12:13], v[10:11]
	v_fma_f64 v[10:11], v[10:11], v[10:11], 1.0
	v_cmp_gt_f64_e32 vcc, s[88:89], v[10:11]
	v_cndmask_b32_e64 v14, 0, 1, vcc
	v_lshlrev_b32_e32 v14, 8, v14
	v_ldexp_f64 v[10:11], v[10:11], v14
	v_rsq_f64_e32 v[14:15], v[10:11]
	v_mul_f64 v[16:17], v[10:11], v[14:15]
	v_mul_f64 v[14:15], v[14:15], 0.5
	v_fma_f64 v[36:37], -v[14:15], v[16:17], 0.5
	v_fmac_f64_e32 v[16:17], v[16:17], v[36:37]
	v_fmac_f64_e32 v[14:15], v[14:15], v[36:37]
	v_fma_f64 v[36:37], -v[16:17], v[16:17], v[10:11]
	v_fmac_f64_e32 v[16:17], v[36:37], v[14:15]
	v_fma_f64 v[36:37], -v[16:17], v[16:17], v[10:11]
	v_fmac_f64_e32 v[16:17], v[36:37], v[14:15]
	v_cndmask_b32_e32 v14, 0, v50, vcc
	v_ldexp_f64 v[14:15], v[16:17], v14
	v_cmp_class_f64_e32 vcc, v[10:11], v49
	v_cndmask_b32_e32 v11, v15, v11, vcc
	v_cndmask_b32_e32 v10, v14, v10, vcc
	v_mul_f64 v[14:15], v[12:13], v[10:11]
.LBB50_113:                             ;   in Loop: Header=BB50_12 Depth=3
	s_or_b64 exec, exec, s[72:73]
                                        ; implicit-def: $vgpr10_vgpr11
                                        ; implicit-def: $vgpr12_vgpr13
	s_andn2_saveexec_b64 s[30:31], s[30:31]
	s_cbranch_execz .LBB50_73
.LBB50_114:                             ;   in Loop: Header=BB50_12 Depth=3
	v_div_scale_f64 v[14:15], s[0:1], v[10:11], v[10:11], v[12:13]
	v_rcp_f64_e32 v[16:17], v[14:15]
	v_div_scale_f64 v[36:37], vcc, v[12:13], v[10:11], v[12:13]
	v_fma_f64 v[38:39], -v[14:15], v[16:17], 1.0
	v_fmac_f64_e32 v[16:17], v[16:17], v[38:39]
	v_fma_f64 v[38:39], -v[14:15], v[16:17], 1.0
	v_fmac_f64_e32 v[16:17], v[16:17], v[38:39]
	v_mul_f64 v[38:39], v[36:37], v[16:17]
	v_fma_f64 v[14:15], -v[14:15], v[38:39], v[36:37]
	v_div_fmas_f64 v[14:15], v[14:15], v[16:17], v[38:39]
	v_div_fixup_f64 v[12:13], v[14:15], v[10:11], v[12:13]
	v_fma_f64 v[12:13], v[12:13], v[12:13], 1.0
	v_cmp_gt_f64_e32 vcc, s[88:89], v[12:13]
	v_cndmask_b32_e64 v14, 0, 1, vcc
	v_lshlrev_b32_e32 v14, 8, v14
	v_ldexp_f64 v[12:13], v[12:13], v14
	v_rsq_f64_e32 v[14:15], v[12:13]
	v_mul_f64 v[16:17], v[12:13], v[14:15]
	v_mul_f64 v[14:15], v[14:15], 0.5
	v_fma_f64 v[36:37], -v[14:15], v[16:17], 0.5
	v_fmac_f64_e32 v[16:17], v[16:17], v[36:37]
	v_fmac_f64_e32 v[14:15], v[14:15], v[36:37]
	v_fma_f64 v[36:37], -v[16:17], v[16:17], v[12:13]
	v_fmac_f64_e32 v[16:17], v[36:37], v[14:15]
	v_fma_f64 v[36:37], -v[16:17], v[16:17], v[12:13]
	v_fmac_f64_e32 v[16:17], v[36:37], v[14:15]
	v_cndmask_b32_e32 v14, 0, v50, vcc
	v_ldexp_f64 v[14:15], v[16:17], v14
	v_cmp_class_f64_e32 vcc, v[12:13], v49
	v_cndmask_b32_e32 v13, v15, v13, vcc
	v_cndmask_b32_e32 v12, v14, v12, vcc
	v_mul_f64 v[14:15], v[10:11], v[12:13]
	s_or_b64 exec, exec, s[30:31]
	v_cmp_class_f64_e64 s[30:31], v[14:15], s5
	s_and_saveexec_b64 s[0:1], s[30:31]
	s_cbranch_execnz .LBB50_74
	s_branch .LBB50_75
.LBB50_115:                             ;   in Loop: Header=BB50_12 Depth=3
	v_cmp_neq_f64_e32 vcc, 0, v[16:17]
	v_pk_mov_b32 v[14:15], 0, 0
	s_and_saveexec_b64 s[72:73], vcc
	s_cbranch_execz .LBB50_117
; %bb.116:                              ;   in Loop: Header=BB50_12 Depth=3
	v_div_scale_f64 v[14:15], s[0:1], v[12:13], v[12:13], v[10:11]
	v_rcp_f64_e32 v[16:17], v[14:15]
	v_div_scale_f64 v[36:37], vcc, v[10:11], v[12:13], v[10:11]
	v_fma_f64 v[38:39], -v[14:15], v[16:17], 1.0
	v_fmac_f64_e32 v[16:17], v[16:17], v[38:39]
	v_fma_f64 v[38:39], -v[14:15], v[16:17], 1.0
	v_fmac_f64_e32 v[16:17], v[16:17], v[38:39]
	v_mul_f64 v[38:39], v[36:37], v[16:17]
	v_fma_f64 v[14:15], -v[14:15], v[38:39], v[36:37]
	v_div_fmas_f64 v[14:15], v[14:15], v[16:17], v[38:39]
	v_div_fixup_f64 v[10:11], v[14:15], v[12:13], v[10:11]
	v_fma_f64 v[10:11], v[10:11], v[10:11], 1.0
	v_cmp_gt_f64_e32 vcc, s[88:89], v[10:11]
	v_cndmask_b32_e64 v14, 0, 1, vcc
	v_lshlrev_b32_e32 v14, 8, v14
	v_ldexp_f64 v[10:11], v[10:11], v14
	v_rsq_f64_e32 v[14:15], v[10:11]
	v_mul_f64 v[16:17], v[10:11], v[14:15]
	v_mul_f64 v[14:15], v[14:15], 0.5
	v_fma_f64 v[36:37], -v[14:15], v[16:17], 0.5
	v_fmac_f64_e32 v[16:17], v[16:17], v[36:37]
	v_fmac_f64_e32 v[14:15], v[14:15], v[36:37]
	v_fma_f64 v[36:37], -v[16:17], v[16:17], v[10:11]
	v_fmac_f64_e32 v[16:17], v[36:37], v[14:15]
	v_fma_f64 v[36:37], -v[16:17], v[16:17], v[10:11]
	v_fmac_f64_e32 v[16:17], v[36:37], v[14:15]
	v_cndmask_b32_e32 v14, 0, v50, vcc
	v_ldexp_f64 v[14:15], v[16:17], v14
	v_cmp_class_f64_e32 vcc, v[10:11], v49
	v_cndmask_b32_e32 v11, v15, v11, vcc
	v_cndmask_b32_e32 v10, v14, v10, vcc
	v_mul_f64 v[14:15], v[12:13], v[10:11]
.LBB50_117:                             ;   in Loop: Header=BB50_12 Depth=3
	s_or_b64 exec, exec, s[72:73]
                                        ; implicit-def: $vgpr10_vgpr11
                                        ; implicit-def: $vgpr12_vgpr13
	s_andn2_saveexec_b64 s[72:73], s[78:79]
	s_cbranch_execz .LBB50_57
.LBB50_118:                             ;   in Loop: Header=BB50_12 Depth=3
	v_div_scale_f64 v[14:15], s[0:1], v[10:11], v[10:11], v[12:13]
	v_rcp_f64_e32 v[16:17], v[14:15]
	v_div_scale_f64 v[36:37], vcc, v[12:13], v[10:11], v[12:13]
	v_fma_f64 v[38:39], -v[14:15], v[16:17], 1.0
	v_fmac_f64_e32 v[16:17], v[16:17], v[38:39]
	v_fma_f64 v[38:39], -v[14:15], v[16:17], 1.0
	v_fmac_f64_e32 v[16:17], v[16:17], v[38:39]
	v_mul_f64 v[38:39], v[36:37], v[16:17]
	v_fma_f64 v[14:15], -v[14:15], v[38:39], v[36:37]
	v_div_fmas_f64 v[14:15], v[14:15], v[16:17], v[38:39]
	v_div_fixup_f64 v[12:13], v[14:15], v[10:11], v[12:13]
	v_fma_f64 v[12:13], v[12:13], v[12:13], 1.0
	v_cmp_gt_f64_e32 vcc, s[88:89], v[12:13]
	v_cndmask_b32_e64 v14, 0, 1, vcc
	v_lshlrev_b32_e32 v14, 8, v14
	v_ldexp_f64 v[12:13], v[12:13], v14
	v_rsq_f64_e32 v[14:15], v[12:13]
	v_mul_f64 v[16:17], v[12:13], v[14:15]
	v_mul_f64 v[14:15], v[14:15], 0.5
	v_fma_f64 v[36:37], -v[14:15], v[16:17], 0.5
	v_fmac_f64_e32 v[16:17], v[16:17], v[36:37]
	v_fmac_f64_e32 v[14:15], v[14:15], v[36:37]
	v_fma_f64 v[36:37], -v[16:17], v[16:17], v[12:13]
	v_fmac_f64_e32 v[16:17], v[36:37], v[14:15]
	v_fma_f64 v[36:37], -v[16:17], v[16:17], v[12:13]
	v_fmac_f64_e32 v[16:17], v[36:37], v[14:15]
	v_cndmask_b32_e32 v14, 0, v50, vcc
	v_ldexp_f64 v[14:15], v[16:17], v14
	v_cmp_class_f64_e32 vcc, v[12:13], v49
	v_cndmask_b32_e32 v13, v15, v13, vcc
	v_cndmask_b32_e32 v12, v14, v12, vcc
	v_mul_f64 v[14:15], v[10:11], v[12:13]
	s_or_b64 exec, exec, s[72:73]
	v_cmp_class_f64_e64 s[72:73], v[14:15], s5
	s_and_saveexec_b64 s[0:1], s[72:73]
	s_cbranch_execnz .LBB50_58
	s_branch .LBB50_59
.LBB50_119:                             ;   in Loop: Header=BB50_3 Depth=1
	s_and_b64 vcc, exec, s[68:69]
	s_cbranch_vccz .LBB50_141
; %bb.120:                              ;   in Loop: Header=BB50_3 Depth=1
	v_mov_b32_dpp v6, v4 row_shr:1 row_mask:0xf bank_mask:0xf
	v_mov_b32_dpp v7, v5 row_shr:1 row_mask:0xf bank_mask:0xf
	s_mov_b64 s[0:1], exec
	v_readlane_b32 s24, v62, 18
	v_readlane_b32 s25, v62, 19
	s_and_b64 s[24:25], s[0:1], s[24:25]
	s_mov_b64 exec, s[24:25]
	s_cbranch_execz .LBB50_122
; %bb.121:                              ;   in Loop: Header=BB50_3 Depth=1
	v_cmp_lt_f64_e32 vcc, v[4:5], v[6:7]
	v_cndmask_b32_e32 v5, v5, v7, vcc
	v_cndmask_b32_e32 v4, v4, v6, vcc
	ds_write_b64 v46, v[4:5]
.LBB50_122:                             ;   in Loop: Header=BB50_3 Depth=1
	s_or_b64 exec, exec, s[0:1]
	s_waitcnt lgkmcnt(0)
	s_barrier
	s_mov_b64 s[0:1], exec
	v_readlane_b32 s24, v62, 20
	v_readlane_b32 s25, v62, 21
	s_and_b64 s[24:25], s[0:1], s[24:25]
	s_mov_b64 exec, s[24:25]
	s_cbranch_execz .LBB50_124
; %bb.123:                              ;   in Loop: Header=BB50_3 Depth=1
	ds_read2st64_b64 v[4:7], v44 offset1:4
	s_waitcnt lgkmcnt(0)
	v_cmp_lt_f64_e32 vcc, v[4:5], v[6:7]
	v_cndmask_b32_e32 v5, v5, v7, vcc
	v_cndmask_b32_e32 v4, v4, v6, vcc
	ds_write_b64 v44, v[4:5]
.LBB50_124:                             ;   in Loop: Header=BB50_3 Depth=1
	s_or_b64 exec, exec, s[0:1]
	s_waitcnt lgkmcnt(0)
	s_barrier
	s_mov_b64 s[0:1], exec
	v_readlane_b32 s24, v62, 22
	v_readlane_b32 s25, v62, 23
	s_and_b64 s[24:25], s[0:1], s[24:25]
	s_mov_b64 exec, s[24:25]
	s_cbranch_execz .LBB50_126
; %bb.125:                              ;   in Loop: Header=BB50_3 Depth=1
	ds_read2st64_b64 v[4:7], v44 offset1:2
	s_waitcnt lgkmcnt(0)
	v_cmp_lt_f64_e32 vcc, v[4:5], v[6:7]
	v_cndmask_b32_e32 v5, v5, v7, vcc
	v_cndmask_b32_e32 v4, v4, v6, vcc
	ds_write_b64 v44, v[4:5]
.LBB50_126:                             ;   in Loop: Header=BB50_3 Depth=1
	s_or_b64 exec, exec, s[0:1]
	s_waitcnt lgkmcnt(0)
	s_barrier
	s_and_saveexec_b64 s[0:1], s[10:11]
	s_cbranch_execz .LBB50_128
; %bb.127:                              ;   in Loop: Header=BB50_3 Depth=1
	ds_read2st64_b64 v[4:7], v44 offset1:1
	s_waitcnt lgkmcnt(0)
	v_cmp_lt_f64_e32 vcc, v[4:5], v[6:7]
	v_cndmask_b32_e32 v5, v5, v7, vcc
	v_cndmask_b32_e32 v4, v4, v6, vcc
	ds_write_b64 v44, v[4:5]
.LBB50_128:                             ;   in Loop: Header=BB50_3 Depth=1
	s_or_b64 exec, exec, s[0:1]
	s_waitcnt lgkmcnt(0)
	s_barrier
	s_and_saveexec_b64 s[0:1], s[12:13]
	s_cbranch_execz .LBB50_130
; %bb.129:                              ;   in Loop: Header=BB50_3 Depth=1
	ds_read2_b64 v[4:7], v44 offset1:32
	s_waitcnt lgkmcnt(0)
	v_cmp_lt_f64_e32 vcc, v[4:5], v[6:7]
	v_cndmask_b32_e32 v5, v5, v7, vcc
	v_cndmask_b32_e32 v4, v4, v6, vcc
	ds_write_b64 v44, v[4:5]
.LBB50_130:                             ;   in Loop: Header=BB50_3 Depth=1
	s_or_b64 exec, exec, s[0:1]
	s_waitcnt lgkmcnt(0)
	s_barrier
	s_and_saveexec_b64 s[0:1], s[14:15]
	s_cbranch_execz .LBB50_132
; %bb.131:                              ;   in Loop: Header=BB50_3 Depth=1
	ds_read2_b64 v[4:7], v44 offset1:16
	s_waitcnt lgkmcnt(0)
	v_cmp_lt_f64_e32 vcc, v[4:5], v[6:7]
	v_cndmask_b32_e32 v5, v5, v7, vcc
	v_cndmask_b32_e32 v4, v4, v6, vcc
	ds_write_b64 v44, v[4:5]
.LBB50_132:                             ;   in Loop: Header=BB50_3 Depth=1
	;; [unrolled: 13-line block ×5, first 2 shown]
	s_or_b64 exec, exec, s[0:1]
	s_waitcnt lgkmcnt(0)
	s_barrier
	s_and_saveexec_b64 s[24:25], s[22:23]
	s_cbranch_execz .LBB50_140
; %bb.139:                              ;   in Loop: Header=BB50_3 Depth=1
	ds_read_b128 v[4:7], v19
	s_waitcnt lgkmcnt(0)
	v_cmp_lt_f64_e32 vcc, v[4:5], v[6:7]
	v_cndmask_b32_e32 v5, v5, v7, vcc
	v_cndmask_b32_e32 v4, v4, v6, vcc
	ds_write_b64 v19, v[4:5]
.LBB50_140:                             ;   in Loop: Header=BB50_3 Depth=1
	s_or_b64 exec, exec, s[24:25]
	v_readlane_b32 s0, v62, 12
	v_readlane_b32 s1, v62, 13
	s_waitcnt lgkmcnt(0)
	s_barrier
	ds_read_b64 v[4:5], v19
	s_load_dwordx2 s[0:1], s[0:1], 0x0
	s_waitcnt lgkmcnt(0)
	v_div_scale_f64 v[6:7], s[24:25], s[0:1], s[0:1], v[4:5]
	v_rcp_f64_e32 v[8:9], v[6:7]
	v_div_scale_f64 v[10:11], vcc, v[4:5], s[0:1], v[4:5]
	v_fma_f64 v[12:13], -v[6:7], v[8:9], 1.0
	v_fmac_f64_e32 v[8:9], v[8:9], v[12:13]
	v_fma_f64 v[12:13], -v[6:7], v[8:9], 1.0
	v_fmac_f64_e32 v[8:9], v[8:9], v[12:13]
	v_mul_f64 v[12:13], v[10:11], v[8:9]
	v_fma_f64 v[6:7], -v[6:7], v[12:13], v[10:11]
	v_div_fmas_f64 v[6:7], v[6:7], v[8:9], v[12:13]
	v_div_fixup_f64 v[4:5], v[6:7], s[0:1], v[4:5]
.LBB50_141:                             ;   in Loop: Header=BB50_3 Depth=1
	s_andn2_b64 vcc, exec, s[34:35]
	s_cbranch_vccnz .LBB50_163
; %bb.142:                              ;   in Loop: Header=BB50_3 Depth=1
	v_mov_b32_dpp v6, v2 row_shr:1 row_mask:0xf bank_mask:0xf
	v_mov_b32_dpp v7, v3 row_shr:1 row_mask:0xf bank_mask:0xf
	s_mov_b64 s[0:1], exec
	v_readlane_b32 s24, v62, 18
	v_readlane_b32 s25, v62, 19
	s_and_b64 s[24:25], s[0:1], s[24:25]
	s_mov_b64 exec, s[24:25]
	s_cbranch_execz .LBB50_144
; %bb.143:                              ;   in Loop: Header=BB50_3 Depth=1
	v_cmp_lt_f64_e32 vcc, v[2:3], v[6:7]
	v_cndmask_b32_e32 v3, v3, v7, vcc
	v_cndmask_b32_e32 v2, v2, v6, vcc
	ds_write_b64 v46, v[2:3]
.LBB50_144:                             ;   in Loop: Header=BB50_3 Depth=1
	s_or_b64 exec, exec, s[0:1]
	s_waitcnt lgkmcnt(0)
	s_barrier
	s_mov_b64 s[0:1], exec
	v_readlane_b32 s24, v62, 20
	v_readlane_b32 s25, v62, 21
	s_and_b64 s[24:25], s[0:1], s[24:25]
	s_mov_b64 exec, s[24:25]
	s_cbranch_execz .LBB50_146
; %bb.145:                              ;   in Loop: Header=BB50_3 Depth=1
	ds_read2st64_b64 v[6:9], v44 offset1:4
	s_waitcnt lgkmcnt(0)
	v_cmp_lt_f64_e32 vcc, v[6:7], v[8:9]
	v_cndmask_b32_e32 v3, v7, v9, vcc
	v_cndmask_b32_e32 v2, v6, v8, vcc
	ds_write_b64 v44, v[2:3]
.LBB50_146:                             ;   in Loop: Header=BB50_3 Depth=1
	s_or_b64 exec, exec, s[0:1]
	s_waitcnt lgkmcnt(0)
	s_barrier
	s_mov_b64 s[0:1], exec
	v_readlane_b32 s24, v62, 22
	v_readlane_b32 s25, v62, 23
	s_and_b64 s[24:25], s[0:1], s[24:25]
	s_mov_b64 exec, s[24:25]
	s_cbranch_execz .LBB50_148
; %bb.147:                              ;   in Loop: Header=BB50_3 Depth=1
	ds_read2st64_b64 v[6:9], v44 offset1:2
	s_waitcnt lgkmcnt(0)
	v_cmp_lt_f64_e32 vcc, v[6:7], v[8:9]
	v_cndmask_b32_e32 v3, v7, v9, vcc
	v_cndmask_b32_e32 v2, v6, v8, vcc
	ds_write_b64 v44, v[2:3]
.LBB50_148:                             ;   in Loop: Header=BB50_3 Depth=1
	s_or_b64 exec, exec, s[0:1]
	s_waitcnt lgkmcnt(0)
	s_barrier
	s_and_saveexec_b64 s[0:1], s[10:11]
	s_cbranch_execz .LBB50_150
; %bb.149:                              ;   in Loop: Header=BB50_3 Depth=1
	ds_read2st64_b64 v[6:9], v44 offset1:1
	s_waitcnt lgkmcnt(0)
	v_cmp_lt_f64_e32 vcc, v[6:7], v[8:9]
	v_cndmask_b32_e32 v3, v7, v9, vcc
	v_cndmask_b32_e32 v2, v6, v8, vcc
	ds_write_b64 v44, v[2:3]
.LBB50_150:                             ;   in Loop: Header=BB50_3 Depth=1
	s_or_b64 exec, exec, s[0:1]
	s_waitcnt lgkmcnt(0)
	s_barrier
	s_and_saveexec_b64 s[0:1], s[12:13]
	s_cbranch_execz .LBB50_152
; %bb.151:                              ;   in Loop: Header=BB50_3 Depth=1
	ds_read2_b64 v[6:9], v44 offset1:32
	s_waitcnt lgkmcnt(0)
	v_cmp_lt_f64_e32 vcc, v[6:7], v[8:9]
	v_cndmask_b32_e32 v3, v7, v9, vcc
	v_cndmask_b32_e32 v2, v6, v8, vcc
	ds_write_b64 v44, v[2:3]
.LBB50_152:                             ;   in Loop: Header=BB50_3 Depth=1
	s_or_b64 exec, exec, s[0:1]
	s_waitcnt lgkmcnt(0)
	s_barrier
	s_and_saveexec_b64 s[0:1], s[14:15]
	s_cbranch_execz .LBB50_154
; %bb.153:                              ;   in Loop: Header=BB50_3 Depth=1
	ds_read2_b64 v[6:9], v44 offset1:16
	s_waitcnt lgkmcnt(0)
	v_cmp_lt_f64_e32 vcc, v[6:7], v[8:9]
	v_cndmask_b32_e32 v3, v7, v9, vcc
	v_cndmask_b32_e32 v2, v6, v8, vcc
	ds_write_b64 v44, v[2:3]
.LBB50_154:                             ;   in Loop: Header=BB50_3 Depth=1
	;; [unrolled: 13-line block ×5, first 2 shown]
	s_or_b64 exec, exec, s[0:1]
	s_waitcnt lgkmcnt(0)
	s_barrier
	s_and_saveexec_b64 s[24:25], s[22:23]
	s_cbranch_execz .LBB50_162
; %bb.161:                              ;   in Loop: Header=BB50_3 Depth=1
	ds_read_b128 v[6:9], v19
	s_waitcnt lgkmcnt(0)
	v_cmp_lt_f64_e32 vcc, v[6:7], v[8:9]
	v_cndmask_b32_e32 v3, v7, v9, vcc
	v_cndmask_b32_e32 v2, v6, v8, vcc
	ds_write_b64 v19, v[2:3]
.LBB50_162:                             ;   in Loop: Header=BB50_3 Depth=1
	s_or_b64 exec, exec, s[24:25]
	v_readlane_b32 s0, v62, 12
	v_readlane_b32 s1, v62, 13
	s_waitcnt lgkmcnt(0)
	s_barrier
	ds_read_b64 v[2:3], v19
	s_load_dwordx2 s[0:1], s[0:1], 0x0
	s_waitcnt lgkmcnt(0)
	v_div_scale_f64 v[6:7], s[24:25], s[0:1], s[0:1], v[2:3]
	v_rcp_f64_e32 v[8:9], v[6:7]
	v_div_scale_f64 v[10:11], vcc, v[2:3], s[0:1], v[2:3]
	v_fma_f64 v[12:13], -v[6:7], v[8:9], 1.0
	v_fmac_f64_e32 v[8:9], v[8:9], v[12:13]
	v_fma_f64 v[12:13], -v[6:7], v[8:9], 1.0
	v_fmac_f64_e32 v[8:9], v[8:9], v[12:13]
	v_mul_f64 v[12:13], v[10:11], v[8:9]
	v_fma_f64 v[6:7], -v[6:7], v[12:13], v[10:11]
	v_div_fmas_f64 v[6:7], v[6:7], v[8:9], v[12:13]
	v_div_fixup_f64 v[2:3], v[6:7], s[0:1], v[2:3]
.LBB50_163:                             ;   in Loop: Header=BB50_3 Depth=1
	s_mov_b64 s[24:25], exec
	v_readlane_b32 s0, v62, 16
	v_readlane_b32 s1, v62, 17
	s_and_b64 s[0:1], s[24:25], s[0:1]
	s_mov_b64 exec, s[0:1]
	s_cbranch_execz .LBB50_175
; %bb.164:                              ;   in Loop: Header=BB50_3 Depth=1
	s_mov_b64 s[26:27], 0
	v_mov_b32_e32 v6, v43
	s_branch .LBB50_166
.LBB50_165:                             ;   in Loop: Header=BB50_166 Depth=2
	s_or_b64 exec, exec, s[28:29]
	v_add_u32_e32 v6, 0x200, v6
	v_cmp_le_u32_e32 vcc, s4, v6
	s_or_b64 s[26:27], vcc, s[26:27]
	s_andn2_b64 exec, exec, s[26:27]
	s_cbranch_execz .LBB50_175
.LBB50_166:                             ;   Parent Loop BB50_3 Depth=1
                                        ; =>  This Loop Header: Depth=2
                                        ;       Child Loop BB50_169 Depth 3
                                        ;       Child Loop BB50_172 Depth 3
	v_cmp_gt_i32_e32 vcc, s33, v6
	s_and_saveexec_b64 s[28:29], vcc
	s_cbranch_execz .LBB50_165
; %bb.167:                              ;   in Loop: Header=BB50_166 Depth=2
	v_ashrrev_i32_e32 v7, 31, v6
	v_lshlrev_b64 v[8:9], 2, v[6:7]
	v_mov_b32_e32 v11, s45
	v_add_co_u32_e32 v10, vcc, s44, v8
	v_addc_co_u32_e32 v11, vcc, v11, v9, vcc
	global_load_dword v12, v[10:11], off
	v_mov_b32_e32 v11, s47
	v_add_co_u32_e32 v10, vcc, s46, v8
	v_addc_co_u32_e32 v11, vcc, v11, v9, vcc
	global_load_dword v11, v[10:11], off
	s_waitcnt vmcnt(1)
	v_add_u32_e32 v10, v47, v12
	s_waitcnt vmcnt(0)
	v_subrev_u32_e32 v16, s8, v11
	v_cmp_lt_i32_e32 vcc, v10, v16
	s_and_saveexec_b64 s[30:31], vcc
	s_cbranch_execz .LBB50_170
; %bb.168:                              ;   in Loop: Header=BB50_166 Depth=2
	v_ashrrev_i32_e32 v11, 31, v10
	v_lshlrev_b64 v[14:15], 4, v[10:11]
	v_mov_b32_e32 v11, s51
	v_add_co_u32_e32 v12, vcc, s50, v14
	v_addc_co_u32_e32 v13, vcc, v11, v15, vcc
	v_mov_b32_e32 v11, s83
	v_add_co_u32_e32 v14, vcc, s82, v14
	v_addc_co_u32_e32 v15, vcc, v11, v15, vcc
	s_mov_b64 s[60:61], 0
.LBB50_169:                             ;   Parent Loop BB50_3 Depth=1
                                        ;     Parent Loop BB50_166 Depth=2
                                        ; =>    This Inner Loop Header: Depth=3
	global_load_dwordx4 v[20:23], v[14:15], off
	v_add_co_u32_e32 v14, vcc, 32, v14
	v_add_u32_e32 v10, 2, v10
	v_addc_co_u32_e32 v15, vcc, 0, v15, vcc
	v_cmp_ge_i32_e32 vcc, v10, v16
	s_or_b64 s[60:61], vcc, s[60:61]
	s_waitcnt vmcnt(0)
	global_store_dwordx4 v[12:13], v[20:23], off
	v_add_co_u32_e32 v12, vcc, 32, v12
	v_addc_co_u32_e32 v13, vcc, 0, v13, vcc
	s_andn2_b64 exec, exec, s[60:61]
	s_cbranch_execnz .LBB50_169
.LBB50_170:                             ;   in Loop: Header=BB50_166 Depth=2
	s_or_b64 exec, exec, s[30:31]
	v_mov_b32_e32 v11, s37
	v_add_co_u32_e32 v10, vcc, s36, v8
	v_addc_co_u32_e32 v11, vcc, v11, v9, vcc
	global_load_dword v10, v[10:11], off
	v_mov_b32_e32 v11, s39
	v_add_co_u32_e32 v8, vcc, s38, v8
	v_addc_co_u32_e32 v9, vcc, v11, v9, vcc
	global_load_dword v9, v[8:9], off
	s_waitcnt vmcnt(1)
	v_add_u32_e32 v8, v48, v10
	s_waitcnt vmcnt(0)
	v_subrev_u32_e32 v14, s9, v9
	v_cmp_lt_i32_e32 vcc, v8, v14
	s_and_saveexec_b64 s[30:31], vcc
	s_cbranch_execz .LBB50_173
; %bb.171:                              ;   in Loop: Header=BB50_166 Depth=2
	v_ashrrev_i32_e32 v9, 31, v8
	v_lshlrev_b64 v[12:13], 4, v[8:9]
	v_mov_b32_e32 v9, s43
	v_add_co_u32_e32 v10, vcc, s42, v12
	v_addc_co_u32_e32 v11, vcc, v9, v13, vcc
	v_mov_b32_e32 v9, s85
	v_add_co_u32_e32 v12, vcc, s84, v12
	v_addc_co_u32_e32 v13, vcc, v9, v13, vcc
	s_mov_b64 s[60:61], 0
.LBB50_172:                             ;   Parent Loop BB50_3 Depth=1
                                        ;     Parent Loop BB50_166 Depth=2
                                        ; =>    This Inner Loop Header: Depth=3
	global_load_dwordx4 v[20:23], v[12:13], off
	v_add_co_u32_e32 v12, vcc, 32, v12
	v_add_u32_e32 v8, 2, v8
	v_addc_co_u32_e32 v13, vcc, 0, v13, vcc
	v_cmp_ge_i32_e32 vcc, v8, v14
	s_or_b64 s[60:61], vcc, s[60:61]
	s_waitcnt vmcnt(0)
	global_store_dwordx4 v[10:11], v[20:23], off
	v_add_co_u32_e32 v10, vcc, 32, v10
	v_addc_co_u32_e32 v11, vcc, 0, v11, vcc
	s_andn2_b64 exec, exec, s[60:61]
	s_cbranch_execnz .LBB50_172
.LBB50_173:                             ;   in Loop: Header=BB50_166 Depth=2
	s_or_b64 exec, exec, s[30:31]
	s_and_b64 exec, exec, s[2:3]
	s_cbranch_execz .LBB50_165
; %bb.174:                              ;   in Loop: Header=BB50_166 Depth=2
	v_lshlrev_b64 v[12:13], 4, v[6:7]
	v_mov_b32_e32 v7, s67
	v_add_co_u32_e32 v8, vcc, s66, v12
	v_addc_co_u32_e32 v9, vcc, v7, v13, vcc
	global_load_dwordx4 v[8:11], v[8:9], off
	v_mov_b32_e32 v7, s65
	v_add_co_u32_e32 v12, vcc, s64, v12
	v_addc_co_u32_e32 v13, vcc, v7, v13, vcc
	s_waitcnt vmcnt(0)
	global_store_dwordx4 v[12:13], v[8:11], off
	s_branch .LBB50_165
.LBB50_175:                             ;   in Loop: Header=BB50_3 Depth=1
	s_or_b64 exec, exec, s[24:25]
	s_mov_b64 s[26:27], -1
	s_and_b64 vcc, exec, s[70:71]
	s_cbranch_vccz .LBB50_185
; %bb.176:                              ;   in Loop: Header=BB50_3 Depth=1
	v_readlane_b32 s24, v62, 24
	v_readlane_b32 s25, v62, 25
	s_mov_b64 s[0:1], -1
	s_and_b64 vcc, exec, s[24:25]
                                        ; implicit-def: $sgpr28_sgpr29
	s_cbranch_vccz .LBB50_182
; %bb.177:                              ;   in Loop: Header=BB50_3 Depth=1
	v_readlane_b32 s24, v62, 14
	v_readlane_b32 s25, v62, 15
	s_and_b64 vcc, exec, s[24:25]
                                        ; implicit-def: $sgpr28_sgpr29
	s_cbranch_vccz .LBB50_179
; %bb.178:                              ;   in Loop: Header=BB50_3 Depth=1
	v_readlane_b32 s28, v62, 0
	v_readlane_b32 s30, v62, 2
	;; [unrolled: 1-line block ×4, first 2 shown]
	v_cmp_ge_f64_e32 vcc, s[30:31], v[2:3]
	s_mov_b64 s[0:1], 0
	s_and_b64 s[28:29], vcc, exec
.LBB50_179:                             ;   in Loop: Header=BB50_3 Depth=1
	s_andn2_b64 vcc, exec, s[0:1]
	s_cbranch_vccnz .LBB50_181
; %bb.180:                              ;   in Loop: Header=BB50_3 Depth=1
	v_readlane_b32 s60, v62, 0
	v_readlane_b32 s62, v62, 2
	;; [unrolled: 1-line block ×3, first 2 shown]
	v_cmp_ge_f64_e32 vcc, s[62:63], v[4:5]
	s_andn2_b64 s[0:1], s[28:29], exec
	s_and_b64 s[24:25], vcc, exec
	s_or_b64 s[28:29], s[0:1], s[24:25]
	v_readlane_b32 s61, v62, 1
.LBB50_181:                             ;   in Loop: Header=BB50_3 Depth=1
	s_mov_b64 s[0:1], 0
.LBB50_182:                             ;   in Loop: Header=BB50_3 Depth=1
	s_andn2_b64 vcc, exec, s[0:1]
	s_cbranch_vccnz .LBB50_184
; %bb.183:                              ;   in Loop: Header=BB50_3 Depth=1
	v_readlane_b32 s60, v62, 0
	v_readlane_b32 s62, v62, 2
	;; [unrolled: 1-line block ×3, first 2 shown]
	v_cmp_ge_f64_e32 vcc, s[62:63], v[4:5]
	v_cmp_ge_f64_e64 s[24:25], s[62:63], v[2:3]
	s_and_b64 s[0:1], vcc, s[24:25]
	s_andn2_b64 s[24:25], s[28:29], exec
	s_and_b64 s[0:1], s[0:1], exec
	s_or_b64 s[28:29], s[24:25], s[0:1]
	v_readlane_b32 s61, v62, 1
.LBB50_184:                             ;   in Loop: Header=BB50_3 Depth=1
	s_xor_b64 s[24:25], s[28:29], -1
	v_mov_b32_e32 v6, s6
	s_and_saveexec_b64 s[0:1], s[24:25]
	s_cbranch_execz .LBB50_2
	s_branch .LBB50_186
.LBB50_185:                             ;   in Loop: Header=BB50_3 Depth=1
	s_mov_b64 s[24:25], -1
	v_mov_b32_e32 v6, s6
	s_and_saveexec_b64 s[0:1], s[24:25]
	s_cbranch_execz .LBB50_2
.LBB50_186:                             ;   in Loop: Header=BB50_3 Depth=1
	v_readlane_b32 s24, v62, 4
	s_add_i32 s6, s6, 1
	v_readlane_b32 s25, v62, 5
	s_cmp_eq_u32 s6, s25
	s_mov_b32 s27, s25
	s_cselect_b64 s[24:25], -1, 0
	v_mov_b32_e32 v6, s27
	s_orn2_b64 s[26:27], s[24:25], exec
	s_branch .LBB50_2
.LBB50_187:
	s_or_b64 exec, exec, s[76:77]
	v_readlane_b32 s20, v62, 8
	v_readlane_b32 s21, v62, 9
	;; [unrolled: 1-line block ×4, first 2 shown]
.LBB50_188:
	v_readlane_b32 s0, v62, 6
	v_readlane_b32 s1, v62, 7
	s_or_b64 exec, exec, s[0:1]
	s_andn2_b64 vcc, exec, s[70:71]
	s_cbranch_vccnz .LBB50_213
; %bb.189:
	v_mov_b32_dpp v7, v6 row_shr:1 row_mask:0xf bank_mask:0xf
	v_cmp_ne_u32_e32 vcc, 0, v42
	s_and_saveexec_b64 s[0:1], vcc
	s_cbranch_execz .LBB50_191
; %bb.190:
	v_lshlrev_b32_e32 v1, 2, v1
	v_max_i32_e32 v6, v6, v7
	ds_write_b32 v1, v6 offset:4096
.LBB50_191:
	s_or_b64 exec, exec, s[0:1]
	s_movk_i32 s0, 0x100
	v_cmp_gt_u32_e32 vcc, s0, v0
	v_lshlrev_b32_e32 v1, 2, v0
	s_waitcnt lgkmcnt(0)
	s_barrier
	s_and_saveexec_b64 s[0:1], vcc
	s_cbranch_execz .LBB50_193
; %bb.192:
	ds_read2st64_b32 v[6:7], v1 offset0:16 offset1:20
	s_waitcnt lgkmcnt(0)
	v_max_i32_e32 v6, v6, v7
	ds_write_b32 v1, v6 offset:4096
.LBB50_193:
	s_or_b64 exec, exec, s[0:1]
	s_movk_i32 s0, 0x80
	v_cmp_gt_u32_e32 vcc, s0, v0
	s_waitcnt lgkmcnt(0)
	s_barrier
	s_and_saveexec_b64 s[0:1], vcc
	s_cbranch_execz .LBB50_195
; %bb.194:
	ds_read2st64_b32 v[6:7], v1 offset0:16 offset1:18
	s_waitcnt lgkmcnt(0)
	v_max_i32_e32 v6, v6, v7
	ds_write_b32 v1, v6 offset:4096
.LBB50_195:
	s_or_b64 exec, exec, s[0:1]
	v_cmp_gt_u32_e32 vcc, 64, v0
	s_waitcnt lgkmcnt(0)
	s_barrier
	s_and_saveexec_b64 s[0:1], vcc
	s_cbranch_execz .LBB50_197
; %bb.196:
	ds_read2st64_b32 v[6:7], v1 offset0:16 offset1:17
	s_waitcnt lgkmcnt(0)
	v_max_i32_e32 v6, v6, v7
	ds_write_b32 v1, v6 offset:4096
.LBB50_197:
	s_or_b64 exec, exec, s[0:1]
	v_cmp_gt_u32_e32 vcc, 32, v0
	s_waitcnt lgkmcnt(0)
	s_barrier
	s_and_saveexec_b64 s[0:1], vcc
	s_cbranch_execz .LBB50_199
; %bb.198:
	v_add_u32_e32 v6, 0x1000, v1
	ds_read2_b32 v[6:7], v6 offset1:32
	s_waitcnt lgkmcnt(0)
	v_max_i32_e32 v6, v6, v7
	ds_write_b32 v1, v6 offset:4096
.LBB50_199:
	s_or_b64 exec, exec, s[0:1]
	v_cmp_gt_u32_e32 vcc, 16, v0
	s_waitcnt lgkmcnt(0)
	s_barrier
	s_and_saveexec_b64 s[0:1], vcc
	s_cbranch_execz .LBB50_201
; %bb.200:
	v_add_u32_e32 v6, 0x1000, v1
	ds_read2_b32 v[6:7], v6 offset1:16
	s_waitcnt lgkmcnt(0)
	v_max_i32_e32 v6, v6, v7
	ds_write_b32 v1, v6 offset:4096
.LBB50_201:
	;; [unrolled: 13-line block ×5, first 2 shown]
	s_or_b64 exec, exec, s[0:1]
	v_cmp_eq_u32_e32 vcc, 0, v0
	s_waitcnt lgkmcnt(0)
	s_barrier
	s_and_saveexec_b64 s[0:1], vcc
	s_cbranch_execz .LBB50_209
; %bb.208:
	v_mov_b32_e32 v1, 0
	ds_read_b64 v[6:7], v1 offset:4096
	s_waitcnt lgkmcnt(0)
	v_max_i32_e32 v6, v6, v7
	ds_write_b32 v1, v6 offset:4096
.LBB50_209:
	s_or_b64 exec, exec, s[0:1]
	s_waitcnt lgkmcnt(0)
	s_barrier
	s_and_saveexec_b64 s[0:1], vcc
	s_cbranch_execz .LBB50_212
; %bb.210:
	v_mbcnt_lo_u32_b32 v1, exec_lo, 0
	v_mbcnt_hi_u32_b32 v1, exec_hi, v1
	v_cmp_eq_u32_e32 vcc, 0, v1
	s_and_b64 exec, exec, vcc
	s_cbranch_execz .LBB50_212
; %bb.211:
	v_mov_b32_e32 v1, 0
	ds_read_b32 v6, v1 offset:4096
	v_readlane_b32 s4, v62, 0
	v_readlane_b32 s5, v62, 1
	;; [unrolled: 1-line block ×4, first 2 shown]
	s_waitcnt lgkmcnt(0)
	v_add_u32_e32 v6, 1, v6
	s_nop 0
	global_atomic_smax v1, v6, s[4:5]
.LBB50_212:
	s_or_b64 exec, exec, s[0:1]
.LBB50_213:
	v_cmp_eq_u32_e32 vcc, 0, v0
	s_mov_b32 s0, 0
	s_and_b64 s[2:3], vcc, s[68:69]
	s_and_saveexec_b64 s[4:5], s[2:3]
	s_cbranch_execz .LBB50_218
; %bb.214:
	v_mov_b32_e32 v0, 0
	global_load_dwordx2 v[6:7], v0, s[20:21] glc
	s_brev_b32 s1, 1
	s_mov_b64 s[6:7], 0
                                        ; implicit-def: $sgpr8_sgpr9
                                        ; implicit-def: $sgpr10_sgpr11
	s_waitcnt vmcnt(0)
	v_cmp_eq_u64_e64 s[12:13], s[0:1], v[6:7]
	v_cmp_eq_f64_e64 s[0:1], 0, v[4:5]
	s_branch .LBB50_216
.LBB50_215:                             ;   in Loop: Header=BB50_216 Depth=1
	s_or_b64 exec, exec, s[14:15]
	s_and_b64 s[2:3], exec, s[8:9]
	s_or_b64 s[6:7], s[2:3], s[6:7]
	s_andn2_b64 s[2:3], s[12:13], exec
	s_and_b64 s[12:13], s[10:11], exec
	s_or_b64 s[12:13], s[2:3], s[12:13]
	s_andn2_b64 exec, exec, s[6:7]
	s_cbranch_execz .LBB50_218
.LBB50_216:                             ; =>This Inner Loop Header: Depth=1
	v_cmp_lt_f64_e64 s[2:3], v[6:7], v[4:5]
	s_and_b64 s[14:15], s[0:1], s[12:13]
	s_or_b64 s[2:3], s[2:3], s[14:15]
	s_andn2_b64 s[10:11], s[10:11], exec
	s_or_b64 s[8:9], s[8:9], exec
	s_and_saveexec_b64 s[14:15], s[2:3]
	s_cbranch_execz .LBB50_215
; %bb.217:                              ;   in Loop: Header=BB50_216 Depth=1
	global_atomic_cmpswap_x2 v[8:9], v0, v[4:7], s[20:21] glc
	s_andn2_b64 s[8:9], s[8:9], exec
	s_andn2_b64 s[10:11], s[10:11], exec
                                        ; implicit-def: $sgpr12_sgpr13
	s_waitcnt vmcnt(0)
	v_cmp_eq_u64_e64 s[2:3], v[8:9], v[6:7]
	v_cndmask_b32_e64 v7, v9, v7, s[2:3]
	v_cndmask_b32_e64 v6, v8, v6, s[2:3]
	s_and_b64 s[2:3], s[2:3], exec
	v_cmp_class_f64_e64 s[16:17], v[6:7], 32
	s_or_b64 s[8:9], s[8:9], s[2:3]
	s_and_b64 s[2:3], s[16:17], exec
	s_or_b64 s[10:11], s[10:11], s[2:3]
	v_pk_mov_b32 v[6:7], v[8:9], v[8:9] op_sel:[0,1]
	s_branch .LBB50_215
.LBB50_218:
	s_or_b64 exec, exec, s[4:5]
	s_and_b64 s[0:1], vcc, s[34:35]
	s_and_saveexec_b64 s[2:3], s[0:1]
	s_cbranch_execz .LBB50_223
; %bb.219:
	v_mov_b32_e32 v0, 0
	global_load_dwordx2 v[4:5], v0, s[22:23] glc
	s_mov_b32 s0, 0
	s_brev_b32 s1, 1
	s_mov_b64 s[2:3], 0
	v_cmp_eq_f64_e32 vcc, 0, v[2:3]
                                        ; implicit-def: $sgpr4_sgpr5
                                        ; implicit-def: $sgpr6_sgpr7
	s_waitcnt vmcnt(0)
	v_cmp_eq_u64_e64 s[8:9], s[0:1], v[4:5]
	s_branch .LBB50_221
.LBB50_220:                             ;   in Loop: Header=BB50_221 Depth=1
	s_or_b64 exec, exec, s[10:11]
	s_and_b64 s[0:1], exec, s[4:5]
	s_or_b64 s[2:3], s[0:1], s[2:3]
	s_andn2_b64 s[0:1], s[8:9], exec
	s_and_b64 s[8:9], s[6:7], exec
	s_or_b64 s[8:9], s[0:1], s[8:9]
	s_andn2_b64 exec, exec, s[2:3]
	s_cbranch_execz .LBB50_223
.LBB50_221:                             ; =>This Inner Loop Header: Depth=1
	v_cmp_lt_f64_e64 s[0:1], v[4:5], v[2:3]
	s_and_b64 s[10:11], vcc, s[8:9]
	s_or_b64 s[0:1], s[0:1], s[10:11]
	s_andn2_b64 s[6:7], s[6:7], exec
	s_or_b64 s[4:5], s[4:5], exec
	s_and_saveexec_b64 s[10:11], s[0:1]
	s_cbranch_execz .LBB50_220
; %bb.222:                              ;   in Loop: Header=BB50_221 Depth=1
	global_atomic_cmpswap_x2 v[6:7], v0, v[2:5], s[22:23] glc
	s_andn2_b64 s[4:5], s[4:5], exec
	s_andn2_b64 s[6:7], s[6:7], exec
                                        ; implicit-def: $sgpr8_sgpr9
	s_waitcnt vmcnt(0)
	v_cmp_eq_u64_e64 s[0:1], v[6:7], v[4:5]
	v_cndmask_b32_e64 v5, v7, v5, s[0:1]
	v_cndmask_b32_e64 v4, v6, v4, s[0:1]
	s_and_b64 s[0:1], s[0:1], exec
	v_cmp_class_f64_e64 s[12:13], v[4:5], 32
	s_or_b64 s[4:5], s[4:5], s[0:1]
	s_and_b64 s[0:1], s[12:13], exec
	s_or_b64 s[6:7], s[6:7], s[0:1]
	v_pk_mov_b32 v[4:5], v[6:7], v[6:7] op_sel:[0,1]
	s_branch .LBB50_220
.LBB50_223:
	s_endpgm
	.section	.rodata,"a",@progbits
	.p2align	6, 0x0
	.amdhsa_kernel _ZN9rocsparseL6kernelILi1024ELi2E21rocsparse_complex_numIdEiiEEvbbbT3_PS3_NS_15floating_traitsIT1_E6data_tES3_T2_PKS9_SB_PKS3_PKS6_21rocsparse_index_base_SB_SB_SD_PS6_SH_SG_SB_SB_SD_SH_SH_SG_SH_SH_PS8_SI_PKS8_
		.amdhsa_group_segment_fixed_size 6144
		.amdhsa_private_segment_fixed_size 0
		.amdhsa_kernarg_size 208
		.amdhsa_user_sgpr_count 6
		.amdhsa_user_sgpr_private_segment_buffer 1
		.amdhsa_user_sgpr_dispatch_ptr 0
		.amdhsa_user_sgpr_queue_ptr 0
		.amdhsa_user_sgpr_kernarg_segment_ptr 1
		.amdhsa_user_sgpr_dispatch_id 0
		.amdhsa_user_sgpr_flat_scratch_init 0
		.amdhsa_user_sgpr_kernarg_preload_length 0
		.amdhsa_user_sgpr_kernarg_preload_offset 0
		.amdhsa_user_sgpr_private_segment_size 0
		.amdhsa_uses_dynamic_stack 0
		.amdhsa_system_sgpr_private_segment_wavefront_offset 0
		.amdhsa_system_sgpr_workgroup_id_x 1
		.amdhsa_system_sgpr_workgroup_id_y 0
		.amdhsa_system_sgpr_workgroup_id_z 0
		.amdhsa_system_sgpr_workgroup_info 0
		.amdhsa_system_vgpr_workitem_id 0
		.amdhsa_next_free_vgpr 63
		.amdhsa_next_free_sgpr 96
		.amdhsa_accum_offset 64
		.amdhsa_reserve_vcc 1
		.amdhsa_reserve_flat_scratch 0
		.amdhsa_float_round_mode_32 0
		.amdhsa_float_round_mode_16_64 0
		.amdhsa_float_denorm_mode_32 3
		.amdhsa_float_denorm_mode_16_64 3
		.amdhsa_dx10_clamp 1
		.amdhsa_ieee_mode 1
		.amdhsa_fp16_overflow 0
		.amdhsa_tg_split 0
		.amdhsa_exception_fp_ieee_invalid_op 0
		.amdhsa_exception_fp_denorm_src 0
		.amdhsa_exception_fp_ieee_div_zero 0
		.amdhsa_exception_fp_ieee_overflow 0
		.amdhsa_exception_fp_ieee_underflow 0
		.amdhsa_exception_fp_ieee_inexact 0
		.amdhsa_exception_int_div_zero 0
	.end_amdhsa_kernel
	.section	.text._ZN9rocsparseL6kernelILi1024ELi2E21rocsparse_complex_numIdEiiEEvbbbT3_PS3_NS_15floating_traitsIT1_E6data_tES3_T2_PKS9_SB_PKS3_PKS6_21rocsparse_index_base_SB_SB_SD_PS6_SH_SG_SB_SB_SD_SH_SH_SG_SH_SH_PS8_SI_PKS8_,"axG",@progbits,_ZN9rocsparseL6kernelILi1024ELi2E21rocsparse_complex_numIdEiiEEvbbbT3_PS3_NS_15floating_traitsIT1_E6data_tES3_T2_PKS9_SB_PKS3_PKS6_21rocsparse_index_base_SB_SB_SD_PS6_SH_SG_SB_SB_SD_SH_SH_SG_SH_SH_PS8_SI_PKS8_,comdat
.Lfunc_end50:
	.size	_ZN9rocsparseL6kernelILi1024ELi2E21rocsparse_complex_numIdEiiEEvbbbT3_PS3_NS_15floating_traitsIT1_E6data_tES3_T2_PKS9_SB_PKS3_PKS6_21rocsparse_index_base_SB_SB_SD_PS6_SH_SG_SB_SB_SD_SH_SH_SG_SH_SH_PS8_SI_PKS8_, .Lfunc_end50-_ZN9rocsparseL6kernelILi1024ELi2E21rocsparse_complex_numIdEiiEEvbbbT3_PS3_NS_15floating_traitsIT1_E6data_tES3_T2_PKS9_SB_PKS3_PKS6_21rocsparse_index_base_SB_SB_SD_PS6_SH_SG_SB_SB_SD_SH_SH_SG_SH_SH_PS8_SI_PKS8_
                                        ; -- End function
	.section	.AMDGPU.csdata,"",@progbits
; Kernel info:
; codeLenInByte = 9616
; NumSgprs: 100
; NumVgprs: 63
; NumAgprs: 0
; TotalNumVgprs: 63
; ScratchSize: 0
; MemoryBound: 1
; FloatMode: 240
; IeeeMode: 1
; LDSByteSize: 6144 bytes/workgroup (compile time only)
; SGPRBlocks: 12
; VGPRBlocks: 7
; NumSGPRsForWavesPerEU: 100
; NumVGPRsForWavesPerEU: 63
; AccumOffset: 64
; Occupancy: 8
; WaveLimiterHint : 1
; COMPUTE_PGM_RSRC2:SCRATCH_EN: 0
; COMPUTE_PGM_RSRC2:USER_SGPR: 6
; COMPUTE_PGM_RSRC2:TRAP_HANDLER: 0
; COMPUTE_PGM_RSRC2:TGID_X_EN: 1
; COMPUTE_PGM_RSRC2:TGID_Y_EN: 0
; COMPUTE_PGM_RSRC2:TGID_Z_EN: 0
; COMPUTE_PGM_RSRC2:TIDIG_COMP_CNT: 0
; COMPUTE_PGM_RSRC3_GFX90A:ACCUM_OFFSET: 15
; COMPUTE_PGM_RSRC3_GFX90A:TG_SPLIT: 0
	.section	.text._ZN9rocsparseL6kernelILi1024ELi4E21rocsparse_complex_numIdEiiEEvbbbT3_PS3_NS_15floating_traitsIT1_E6data_tES3_T2_PKS9_SB_PKS3_PKS6_21rocsparse_index_base_SB_SB_SD_PS6_SH_SG_SB_SB_SD_SH_SH_SG_SH_SH_PS8_SI_PKS8_,"axG",@progbits,_ZN9rocsparseL6kernelILi1024ELi4E21rocsparse_complex_numIdEiiEEvbbbT3_PS3_NS_15floating_traitsIT1_E6data_tES3_T2_PKS9_SB_PKS3_PKS6_21rocsparse_index_base_SB_SB_SD_PS6_SH_SG_SB_SB_SD_SH_SH_SG_SH_SH_PS8_SI_PKS8_,comdat
	.globl	_ZN9rocsparseL6kernelILi1024ELi4E21rocsparse_complex_numIdEiiEEvbbbT3_PS3_NS_15floating_traitsIT1_E6data_tES3_T2_PKS9_SB_PKS3_PKS6_21rocsparse_index_base_SB_SB_SD_PS6_SH_SG_SB_SB_SD_SH_SH_SG_SH_SH_PS8_SI_PKS8_ ; -- Begin function _ZN9rocsparseL6kernelILi1024ELi4E21rocsparse_complex_numIdEiiEEvbbbT3_PS3_NS_15floating_traitsIT1_E6data_tES3_T2_PKS9_SB_PKS3_PKS6_21rocsparse_index_base_SB_SB_SD_PS6_SH_SG_SB_SB_SD_SH_SH_SG_SH_SH_PS8_SI_PKS8_
	.p2align	8
	.type	_ZN9rocsparseL6kernelILi1024ELi4E21rocsparse_complex_numIdEiiEEvbbbT3_PS3_NS_15floating_traitsIT1_E6data_tES3_T2_PKS9_SB_PKS3_PKS6_21rocsparse_index_base_SB_SB_SD_PS6_SH_SG_SB_SB_SD_SH_SH_SG_SH_SH_PS8_SI_PKS8_,@function
_ZN9rocsparseL6kernelILi1024ELi4E21rocsparse_complex_numIdEiiEEvbbbT3_PS3_NS_15floating_traitsIT1_E6data_tES3_T2_PKS9_SB_PKS3_PKS6_21rocsparse_index_base_SB_SB_SD_PS6_SH_SG_SB_SB_SD_SH_SH_SG_SH_SH_PS8_SI_PKS8_: ; @_ZN9rocsparseL6kernelILi1024ELi4E21rocsparse_complex_numIdEiiEEvbbbT3_PS3_NS_15floating_traitsIT1_E6data_tES3_T2_PKS9_SB_PKS3_PKS6_21rocsparse_index_base_SB_SB_SD_PS6_SH_SG_SB_SB_SD_SH_SH_SG_SH_SH_PS8_SI_PKS8_
; %bb.0:
	s_load_dword s0, s[4:5], 0x0
	s_load_dwordx2 s[2:3], s[4:5], 0x0
	s_load_dwordx4 s[20:23], s[4:5], 0xb8
	s_load_dwordx4 s[8:11], s[4:5], 0x8
                                        ; implicit-def: $vgpr62 : SGPR spill to VGPR lane
	s_load_dword s33, s[4:5], 0x18
	s_waitcnt lgkmcnt(0)
	s_bitcmp1_b32 s0, 0
	s_cselect_b64 s[68:69], -1, 0
	s_bitcmp1_b32 s0, 8
	v_writelane_b32 v62, s8, 0
	v_writelane_b32 v62, s9, 1
	;; [unrolled: 1-line block ×3, first 2 shown]
	s_cselect_b64 s[34:35], -1, 0
	s_bitcmp1_b32 s2, 16
	v_writelane_b32 v62, s11, 3
	s_cselect_b64 s[26:27], -1, 0
	v_lshrrev_b32_e32 v1, 2, v0
	s_lshl_b32 s2, s6, 10
	s_mov_b32 s1, s3
	v_or_b32_e32 v43, s2, v1
	v_mov_b32_e32 v6, 0
	v_writelane_b32 v62, s0, 4
	s_cmp_gt_i32 s3, 0
	v_pk_mov_b32 v[4:5], 0, 0
	v_and_b32_e32 v42, 3, v0
	v_lshlrev_b32_e32 v44, 3, v0
	s_mov_b32 s70, 0
	v_mov_b32_e32 v7, v6
	v_cmp_gt_i32_e32 vcc, s33, v43
	v_writelane_b32 v62, s1, 5
	s_cselect_b64 s[0:1], -1, 0
	s_mov_b64 s[74:75], 0
	v_pk_mov_b32 v[2:3], v[4:5], v[4:5] op_sel:[0,1]
	ds_write_b64 v44, v[6:7]
	s_waitcnt lgkmcnt(0)
	s_barrier
	s_and_b64 s[0:1], s[0:1], vcc
	s_mov_b64 s[6:7], exec
	v_writelane_b32 v62, s6, 6
	s_and_b64 s[0:1], s[6:7], s[0:1]
	v_writelane_b32 v62, s7, 7
	s_mov_b64 exec, s[0:1]
	s_cbranch_execz .LBB51_184
; %bb.1:
	s_load_dwordx2 s[0:1], s[4:5], 0xc8
	v_writelane_b32 v62, s20, 8
	v_writelane_b32 v62, s21, 9
	;; [unrolled: 1-line block ×4, first 2 shown]
	s_waitcnt lgkmcnt(0)
	v_writelane_b32 v62, s0, 12
	v_writelane_b32 v62, s1, 13
	s_xor_b64 s[0:1], s[34:35], -1
	v_writelane_b32 v62, s0, 14
	s_addk_i32 s2, 0x400
	s_load_dwordx4 s[64:67], s[4:5], 0xa8
	s_load_dwordx8 s[36:43], s[4:5], 0x78
	s_load_dwordx8 s[44:51], s[4:5], 0x48
	;; [unrolled: 1-line block ×3, first 2 shown]
	v_writelane_b32 v62, s1, 15
	s_load_dword s71, s[4:5], 0x40
	s_load_dwordx2 s[80:81], s[4:5], 0x68
	s_load_dword s0, s[4:5], 0x70
	s_load_dwordx2 s[82:83], s[4:5], 0x98
	s_load_dword s1, s[4:5], 0xa0
	v_cmp_gt_u32_e64 s[4:5], s2, v43
	v_writelane_b32 v62, s4, 16
	v_writelane_b32 v62, s5, 17
	v_cmp_eq_u32_e64 s[4:5], 3, v42
	v_writelane_b32 v62, s4, 18
	s_movk_i32 s3, 0x80
	v_writelane_b32 v62, s5, 19
	v_cmp_gt_u32_e64 s[4:5], s3, v0
	v_writelane_b32 v62, s4, 20
	v_writelane_b32 v62, s5, 21
	s_and_b64 s[4:5], s[34:35], s[26:27]
	s_xor_b64 s[4:5], s[4:5], -1
	v_pk_mov_b32 v[2:3], 0, 0
	s_mov_b32 s86, 0
	s_waitcnt lgkmcnt(0)
	v_subrev_u32_e32 v45, s71, v42
	v_lshlrev_b32_e32 v46, 3, v1
	v_cmp_gt_u32_e64 s[6:7], 64, v0
	v_cmp_gt_u32_e64 s[8:9], 32, v0
	;; [unrolled: 1-line block ×6, first 2 shown]
	v_cmp_eq_u32_e64 s[18:19], 0, v0
	v_subrev_u32_e32 v47, s0, v42
	v_subrev_u32_e32 v48, s1, v42
	v_cmp_eq_u32_e64 s[20:21], 0, v42
	v_writelane_b32 v62, s4, 22
	s_brev_b32 s87, 8
	v_mov_b32_e32 v49, 0x260
	s_movk_i32 s3, 0x1f8
	v_mov_b32_e32 v19, 0
	v_mov_b32_e32 v50, 0xffffff80
	v_pk_mov_b32 v[4:5], v[2:3], v[2:3] op_sel:[0,1]
	v_writelane_b32 v62, s5, 23
	s_branch .LBB51_3
.LBB51_2:                               ;   in Loop: Header=BB51_3 Depth=1
	s_or_b64 exec, exec, s[28:29]
	s_and_b64 s[4:5], exec, s[24:25]
	s_or_b64 s[74:75], s[4:5], s[74:75]
	s_andn2_b64 exec, exec, s[74:75]
	s_cbranch_execz .LBB51_183
.LBB51_3:                               ; =>This Loop Header: Depth=1
                                        ;     Child Loop BB51_7 Depth 2
                                        ;       Child Loop BB51_12 Depth 3
                                        ;         Child Loop BB51_16 Depth 4
                                        ;         Child Loop BB51_51 Depth 4
	;; [unrolled: 1-line block ×5, first 2 shown]
                                        ;     Child Loop BB51_162 Depth 2
                                        ;       Child Loop BB51_165 Depth 3
                                        ;       Child Loop BB51_168 Depth 3
	s_mov_b32 s4, 0
	v_cndmask_b32_e64 v5, v5, 0, s[34:35]
	v_cndmask_b32_e64 v4, v4, 0, s[34:35]
	v_cndmask_b32_e64 v3, v3, 0, s[26:27]
	v_cndmask_b32_e64 v2, v2, 0, s[26:27]
	s_branch .LBB51_7
.LBB51_4:                               ;   in Loop: Header=BB51_7 Depth=2
	s_or_b64 exec, exec, s[92:93]
.LBB51_5:                               ;   in Loop: Header=BB51_7 Depth=2
	s_or_b64 exec, exec, s[90:91]
.LBB51_6:                               ;   in Loop: Header=BB51_7 Depth=2
	s_or_b64 exec, exec, s[88:89]
	s_add_i32 s4, s4, 1
	s_cmp_eq_u32 s4, 4
	s_cbranch_scc1 .LBB51_119
.LBB51_7:                               ;   Parent Loop BB51_3 Depth=1
                                        ; =>  This Loop Header: Depth=2
                                        ;       Child Loop BB51_12 Depth 3
                                        ;         Child Loop BB51_16 Depth 4
                                        ;         Child Loop BB51_51 Depth 4
	;; [unrolled: 1-line block ×5, first 2 shown]
	v_lshl_add_u32 v20, s4, 8, v43
	v_cmp_gt_i32_e32 vcc, s33, v20
	s_and_saveexec_b64 s[88:89], vcc
	s_cbranch_execz .LBB51_6
; %bb.8:                                ;   in Loop: Header=BB51_7 Depth=2
	v_ashrrev_i32_e32 v21, 31, v20
	v_lshlrev_b64 v[6:7], 2, v[20:21]
	v_mov_b32_e32 v9, s53
	v_add_co_u32_e32 v8, vcc, s52, v6
	v_addc_co_u32_e32 v9, vcc, v9, v7, vcc
	global_load_dword v10, v[8:9], off
	v_mov_b32_e32 v9, s55
	v_add_co_u32_e32 v8, vcc, s54, v6
	v_addc_co_u32_e32 v9, vcc, v9, v7, vcc
	global_load_dword v8, v[8:9], off
	s_waitcnt vmcnt(1)
	v_add_u32_e32 v22, v45, v10
	s_waitcnt vmcnt(0)
	v_subrev_u32_e32 v21, s71, v8
	v_cmp_lt_i32_e32 vcc, v22, v21
	s_and_saveexec_b64 s[90:91], vcc
	s_cbranch_execz .LBB51_5
; %bb.9:                                ;   in Loop: Header=BB51_7 Depth=2
	v_mov_b32_e32 v9, s47
	v_add_co_u32_e32 v8, vcc, s46, v6
	v_addc_co_u32_e32 v9, vcc, v9, v7, vcc
	v_mov_b32_e32 v10, s45
	v_add_co_u32_e32 v6, vcc, s44, v6
	v_addc_co_u32_e32 v7, vcc, v10, v7, vcc
	global_load_dword v6, v[6:7], off
	s_nop 0
	global_load_dword v7, v[8:9], off
	v_mov_b32_e32 v10, s49
	v_mov_b32_e32 v11, s51
	s_mov_b64 s[92:93], 0
	s_waitcnt vmcnt(1)
	v_subrev_u32_e32 v24, s0, v6
	v_ashrrev_i32_e32 v25, 31, v24
	s_waitcnt vmcnt(0)
	v_sub_u32_e32 v51, v7, v6
	v_lshlrev_b64 v[6:7], 2, v[24:25]
	v_lshlrev_b64 v[8:9], 4, v[24:25]
	v_add_co_u32_e32 v25, vcc, s48, v6
	v_addc_co_u32_e32 v52, vcc, v10, v7, vcc
	v_add_co_u32_e32 v53, vcc, s50, v8
	v_cmp_lt_i32_e64 s[22:23], 0, v51
	v_addc_co_u32_e32 v54, vcc, v11, v9, vcc
	s_branch .LBB51_12
.LBB51_10:                              ;   in Loop: Header=BB51_12 Depth=3
	s_or_b64 exec, exec, s[28:29]
.LBB51_11:                              ;   in Loop: Header=BB51_12 Depth=3
	s_or_b64 exec, exec, s[24:25]
	v_add_u32_e32 v22, 4, v22
	v_cmp_ge_i32_e32 vcc, v22, v21
	s_or_b64 s[92:93], vcc, s[92:93]
	s_andn2_b64 exec, exec, s[92:93]
	s_cbranch_execz .LBB51_4
.LBB51_12:                              ;   Parent Loop BB51_3 Depth=1
                                        ;     Parent Loop BB51_7 Depth=2
                                        ; =>    This Loop Header: Depth=3
                                        ;         Child Loop BB51_16 Depth 4
                                        ;         Child Loop BB51_51 Depth 4
	;; [unrolled: 1-line block ×5, first 2 shown]
	v_ashrrev_i32_e32 v23, 31, v22
	v_lshlrev_b64 v[6:7], 2, v[22:23]
	v_mov_b32_e32 v8, s57
	v_add_co_u32_e32 v6, vcc, s56, v6
	v_addc_co_u32_e32 v7, vcc, v8, v7, vcc
	global_load_dword v6, v[6:7], off
	v_mov_b32_e32 v9, s37
	v_mov_b32_e32 v10, s39
	v_pk_mov_b32 v[28:29], 0, 0
	v_mov_b32_e32 v18, 0
	v_pk_mov_b32 v[30:31], v[28:29], v[28:29] op_sel:[0,1]
	v_mov_b32_e32 v34, 0
	s_waitcnt vmcnt(0)
	v_subrev_u32_e32 v26, s71, v6
	v_ashrrev_i32_e32 v27, 31, v26
	v_lshlrev_b64 v[6:7], 2, v[26:27]
	v_add_co_u32_e32 v8, vcc, s36, v6
	v_addc_co_u32_e32 v9, vcc, v9, v7, vcc
	v_add_co_u32_e32 v6, vcc, s38, v6
	v_addc_co_u32_e32 v7, vcc, v10, v7, vcc
	global_load_dword v8, v[8:9], off
	s_nop 0
	global_load_dword v6, v[6:7], off
	s_waitcnt vmcnt(1)
	v_subrev_u32_e32 v32, s1, v8
	s_waitcnt vmcnt(0)
	v_sub_u32_e32 v55, v6, v8
	s_and_saveexec_b64 s[24:25], s[22:23]
	s_cbranch_execz .LBB51_20
; %bb.13:                               ;   in Loop: Header=BB51_12 Depth=3
	v_ashrrev_i32_e32 v33, 31, v32
	v_lshlrev_b64 v[6:7], 2, v[32:33]
	v_mov_b32_e32 v8, s41
	v_add_co_u32_e32 v6, vcc, s40, v6
	v_addc_co_u32_e32 v7, vcc, v8, v7, vcc
	v_lshlrev_b64 v[8:9], 4, v[32:33]
	v_mov_b32_e32 v10, s43
	v_add_co_u32_e32 v8, vcc, s42, v8
	v_mov_b32_e32 v34, 0
	v_pk_mov_b32 v[28:29], 0, 0
	v_addc_co_u32_e32 v9, vcc, v10, v9, vcc
	s_mov_b64 s[60:61], 0
	v_mov_b32_e32 v18, v34
	v_pk_mov_b32 v[30:31], v[28:29], v[28:29] op_sel:[0,1]
                                        ; implicit-def: $sgpr62_sgpr63
	s_branch .LBB51_16
.LBB51_14:                              ;   in Loop: Header=BB51_16 Depth=4
	s_or_b64 exec, exec, s[28:29]
	v_cmp_le_i32_e32 vcc, v10, v11
	v_addc_co_u32_e32 v18, vcc, 0, v18, vcc
	v_cmp_ge_i32_e32 vcc, v10, v11
	v_addc_co_u32_e32 v34, vcc, 0, v34, vcc
	v_cmp_ge_i32_e32 vcc, v18, v51
	s_andn2_b64 s[28:29], s[62:63], exec
	s_and_b64 s[30:31], vcc, exec
	s_or_b64 s[62:63], s[28:29], s[30:31]
.LBB51_15:                              ;   in Loop: Header=BB51_16 Depth=4
	s_or_b64 exec, exec, s[72:73]
	s_and_b64 s[28:29], exec, s[62:63]
	s_or_b64 s[60:61], s[28:29], s[60:61]
	s_andn2_b64 exec, exec, s[60:61]
	s_cbranch_execz .LBB51_19
.LBB51_16:                              ;   Parent Loop BB51_3 Depth=1
                                        ;     Parent Loop BB51_7 Depth=2
                                        ;       Parent Loop BB51_12 Depth=3
                                        ; =>      This Inner Loop Header: Depth=4
	v_cmp_lt_i32_e32 vcc, v34, v55
	s_or_b64 s[62:63], s[62:63], exec
	s_and_saveexec_b64 s[72:73], vcc
	s_cbranch_execz .LBB51_15
; %bb.17:                               ;   in Loop: Header=BB51_16 Depth=4
	v_lshlrev_b64 v[10:11], 2, v[18:19]
	v_add_co_u32_e32 v10, vcc, v25, v10
	v_addc_co_u32_e32 v11, vcc, v52, v11, vcc
	v_mov_b32_e32 v35, v19
	global_load_dword v12, v[10:11], off
	v_lshlrev_b64 v[10:11], 2, v[34:35]
	v_add_co_u32_e32 v10, vcc, v6, v10
	v_addc_co_u32_e32 v11, vcc, v7, v11, vcc
	global_load_dword v11, v[10:11], off
	s_waitcnt vmcnt(1)
	v_subrev_u32_e32 v10, s0, v12
	s_waitcnt vmcnt(0)
	v_subrev_u32_e32 v11, s1, v11
	v_cmp_eq_u32_e32 vcc, v10, v11
	s_and_saveexec_b64 s[28:29], vcc
	s_cbranch_execz .LBB51_14
; %bb.18:                               ;   in Loop: Header=BB51_16 Depth=4
	v_lshlrev_b64 v[12:13], 4, v[18:19]
	v_add_co_u32_e32 v12, vcc, v53, v12
	v_addc_co_u32_e32 v13, vcc, v54, v13, vcc
	v_lshlrev_b64 v[16:17], 4, v[34:35]
	v_add_co_u32_e32 v16, vcc, v8, v16
	v_addc_co_u32_e32 v17, vcc, v9, v17, vcc
	global_load_dwordx4 v[12:15], v[12:13], off
	s_nop 0
	global_load_dwordx4 v[36:39], v[16:17], off
	s_waitcnt vmcnt(0)
	v_fmac_f64_e32 v[28:29], v[12:13], v[36:37]
	v_fmac_f64_e32 v[30:31], v[14:15], v[36:37]
	v_fma_f64 v[28:29], -v[14:15], v[38:39], v[28:29]
	v_fmac_f64_e32 v[30:31], v[12:13], v[38:39]
	s_branch .LBB51_14
.LBB51_19:                              ;   in Loop: Header=BB51_12 Depth=3
	s_or_b64 exec, exec, s[60:61]
.LBB51_20:                              ;   in Loop: Header=BB51_12 Depth=3
	s_or_b64 exec, exec, s[24:25]
	v_lshlrev_b64 v[6:7], 4, v[22:23]
	v_mov_b32_e32 v8, s59
	v_add_co_u32_e32 v6, vcc, s58, v6
	v_addc_co_u32_e32 v7, vcc, v8, v7, vcc
	global_load_dwordx4 v[6:9], v[6:7], off
	v_cmp_le_i32_e64 s[24:25], v20, v26
	v_cmp_gt_i32_e32 vcc, v20, v26
	s_waitcnt vmcnt(0)
	v_add_f64 v[10:11], v[6:7], -v[28:29]
	v_add_f64 v[12:13], v[8:9], -v[30:31]
	s_and_saveexec_b64 s[60:61], vcc
	s_cbranch_execz .LBB51_30
; %bb.21:                               ;   in Loop: Header=BB51_12 Depth=3
	v_lshlrev_b64 v[14:15], 4, v[26:27]
	v_mov_b32_e32 v16, s65
	v_add_co_u32_e32 v14, vcc, s64, v14
	v_addc_co_u32_e32 v15, vcc, v16, v15, vcc
	global_load_dwordx4 v[14:17], v[14:15], off
                                        ; implicit-def: $vgpr40_vgpr41
	s_waitcnt vmcnt(0)
	v_xor_b32_e32 v23, 0x80000000, v15
	v_cmp_gt_f64_e32 vcc, 0, v[14:15]
	v_xor_b32_e32 v33, 0x80000000, v17
	v_cndmask_b32_e32 v37, v15, v23, vcc
	v_cmp_gt_f64_e32 vcc, 0, v[16:17]
	v_mov_b32_e32 v36, v14
	v_cndmask_b32_e32 v39, v17, v33, vcc
	v_mov_b32_e32 v38, v16
	v_cmp_ngt_f64_e32 vcc, v[36:37], v[38:39]
	s_and_saveexec_b64 s[28:29], vcc
	s_xor_b64 s[28:29], exec, s[28:29]
	s_cbranch_execz .LBB51_25
; %bb.22:                               ;   in Loop: Header=BB51_12 Depth=3
	v_cmp_neq_f64_e32 vcc, 0, v[16:17]
	v_pk_mov_b32 v[40:41], 0, 0
	s_and_saveexec_b64 s[30:31], vcc
	s_cbranch_execz .LBB51_24
; %bb.23:                               ;   in Loop: Header=BB51_12 Depth=3
	v_div_scale_f64 v[40:41], s[62:63], v[38:39], v[38:39], v[36:37]
	v_rcp_f64_e32 v[56:57], v[40:41]
	v_div_scale_f64 v[58:59], vcc, v[36:37], v[38:39], v[36:37]
	v_fma_f64 v[60:61], -v[40:41], v[56:57], 1.0
	v_fmac_f64_e32 v[56:57], v[56:57], v[60:61]
	v_fma_f64 v[60:61], -v[40:41], v[56:57], 1.0
	v_fmac_f64_e32 v[56:57], v[56:57], v[60:61]
	v_mul_f64 v[60:61], v[58:59], v[56:57]
	v_fma_f64 v[40:41], -v[40:41], v[60:61], v[58:59]
	v_div_fmas_f64 v[40:41], v[40:41], v[56:57], v[60:61]
	v_div_fixup_f64 v[36:37], v[40:41], v[38:39], v[36:37]
	v_fma_f64 v[36:37], v[36:37], v[36:37], 1.0
	v_cmp_gt_f64_e32 vcc, s[86:87], v[36:37]
	v_cndmask_b32_e64 v23, 0, 1, vcc
	v_lshlrev_b32_e32 v23, 8, v23
	v_ldexp_f64 v[36:37], v[36:37], v23
	v_rsq_f64_e32 v[40:41], v[36:37]
	v_cndmask_b32_e32 v23, 0, v50, vcc
	v_cmp_class_f64_e32 vcc, v[36:37], v49
	v_mul_f64 v[56:57], v[36:37], v[40:41]
	v_mul_f64 v[40:41], v[40:41], 0.5
	v_fma_f64 v[58:59], -v[40:41], v[56:57], 0.5
	v_fmac_f64_e32 v[56:57], v[56:57], v[58:59]
	v_fmac_f64_e32 v[40:41], v[40:41], v[58:59]
	v_fma_f64 v[58:59], -v[56:57], v[56:57], v[36:37]
	v_fmac_f64_e32 v[56:57], v[58:59], v[40:41]
	v_fma_f64 v[58:59], -v[56:57], v[56:57], v[36:37]
	v_fmac_f64_e32 v[56:57], v[58:59], v[40:41]
	v_ldexp_f64 v[40:41], v[56:57], v23
	v_cndmask_b32_e32 v37, v41, v37, vcc
	v_cndmask_b32_e32 v36, v40, v36, vcc
	v_mul_f64 v[40:41], v[38:39], v[36:37]
.LBB51_24:                              ;   in Loop: Header=BB51_12 Depth=3
	s_or_b64 exec, exec, s[30:31]
                                        ; implicit-def: $vgpr36_vgpr37
                                        ; implicit-def: $vgpr38_vgpr39
.LBB51_25:                              ;   in Loop: Header=BB51_12 Depth=3
	s_andn2_saveexec_b64 s[28:29], s[28:29]
	s_cbranch_execz .LBB51_27
; %bb.26:                               ;   in Loop: Header=BB51_12 Depth=3
	v_div_scale_f64 v[40:41], s[30:31], v[36:37], v[36:37], v[38:39]
	v_rcp_f64_e32 v[56:57], v[40:41]
	v_div_scale_f64 v[58:59], vcc, v[38:39], v[36:37], v[38:39]
	v_fma_f64 v[60:61], -v[40:41], v[56:57], 1.0
	v_fmac_f64_e32 v[56:57], v[56:57], v[60:61]
	v_fma_f64 v[60:61], -v[40:41], v[56:57], 1.0
	v_fmac_f64_e32 v[56:57], v[56:57], v[60:61]
	v_mul_f64 v[60:61], v[58:59], v[56:57]
	v_fma_f64 v[40:41], -v[40:41], v[60:61], v[58:59]
	v_div_fmas_f64 v[40:41], v[40:41], v[56:57], v[60:61]
	v_div_fixup_f64 v[38:39], v[40:41], v[36:37], v[38:39]
	v_fma_f64 v[38:39], v[38:39], v[38:39], 1.0
	v_cmp_gt_f64_e32 vcc, s[86:87], v[38:39]
	v_cndmask_b32_e64 v23, 0, 1, vcc
	v_lshlrev_b32_e32 v23, 8, v23
	v_ldexp_f64 v[38:39], v[38:39], v23
	v_rsq_f64_e32 v[40:41], v[38:39]
	v_cndmask_b32_e32 v23, 0, v50, vcc
	v_cmp_class_f64_e32 vcc, v[38:39], v49
	v_mul_f64 v[56:57], v[38:39], v[40:41]
	v_mul_f64 v[40:41], v[40:41], 0.5
	v_fma_f64 v[58:59], -v[40:41], v[56:57], 0.5
	v_fmac_f64_e32 v[56:57], v[56:57], v[58:59]
	v_fmac_f64_e32 v[40:41], v[40:41], v[58:59]
	v_fma_f64 v[58:59], -v[56:57], v[56:57], v[38:39]
	v_fmac_f64_e32 v[56:57], v[58:59], v[40:41]
	v_fma_f64 v[58:59], -v[56:57], v[56:57], v[38:39]
	v_fmac_f64_e32 v[56:57], v[58:59], v[40:41]
	v_ldexp_f64 v[40:41], v[56:57], v23
	v_cndmask_b32_e32 v39, v41, v39, vcc
	v_cndmask_b32_e32 v38, v40, v38, vcc
	v_mul_f64 v[40:41], v[36:37], v[38:39]
.LBB51_27:                              ;   in Loop: Header=BB51_12 Depth=3
	s_or_b64 exec, exec, s[28:29]
	v_pk_mov_b32 v[38:39], 0, 0
	v_cmp_lt_f64_e32 vcc, 0, v[40:41]
	v_pk_mov_b32 v[36:37], v[38:39], v[38:39] op_sel:[0,1]
	s_and_saveexec_b64 s[28:29], vcc
	s_cbranch_execz .LBB51_29
; %bb.28:                               ;   in Loop: Header=BB51_12 Depth=3
	v_mul_f64 v[36:37], v[16:17], v[16:17]
	v_fmac_f64_e32 v[36:37], v[14:15], v[14:15]
	v_div_scale_f64 v[38:39], s[30:31], v[36:37], v[36:37], 1.0
	v_rcp_f64_e32 v[40:41], v[38:39]
	v_div_scale_f64 v[56:57], vcc, 1.0, v[36:37], 1.0
	v_fma_f64 v[58:59], -v[38:39], v[40:41], 1.0
	v_fmac_f64_e32 v[40:41], v[40:41], v[58:59]
	v_fma_f64 v[58:59], -v[38:39], v[40:41], 1.0
	v_fmac_f64_e32 v[40:41], v[40:41], v[58:59]
	v_mul_f64 v[58:59], v[56:57], v[40:41]
	v_fma_f64 v[38:39], -v[38:39], v[58:59], v[56:57]
	v_div_fmas_f64 v[38:39], v[38:39], v[40:41], v[58:59]
	v_div_fixup_f64 v[38:39], v[38:39], v[36:37], 1.0
	v_mul_f64 v[36:37], v[12:13], v[16:17]
	v_fmac_f64_e32 v[36:37], v[10:11], v[14:15]
	v_mul_f64 v[10:11], v[16:17], -v[10:11]
	v_fmac_f64_e32 v[10:11], v[12:13], v[14:15]
	v_mul_f64 v[36:37], v[36:37], v[38:39]
	v_mul_f64 v[38:39], v[10:11], v[38:39]
.LBB51_29:                              ;   in Loop: Header=BB51_12 Depth=3
	s_or_b64 exec, exec, s[28:29]
	v_pk_mov_b32 v[12:13], v[38:39], v[38:39] op_sel:[0,1]
	v_pk_mov_b32 v[10:11], v[36:37], v[36:37] op_sel:[0,1]
.LBB51_30:                              ;   in Loop: Header=BB51_12 Depth=3
	s_or_b64 exec, exec, s[60:61]
	v_xor_b32_e32 v14, 0x80000000, v11
	v_cmp_gt_f64_e32 vcc, 0, v[10:11]
	v_cndmask_b32_e32 v15, v11, v14, vcc
	v_cndmask_b32_e32 v14, v10, v10, vcc
	v_xor_b32_e32 v16, 0x80000000, v13
	v_cmp_gt_f64_e32 vcc, 0, v[12:13]
	v_cndmask_b32_e32 v17, v13, v16, vcc
	v_cndmask_b32_e32 v16, v12, v12, vcc
	v_cmp_ngt_f64_e32 vcc, v[14:15], v[16:17]
                                        ; implicit-def: $vgpr36_vgpr37
	s_and_saveexec_b64 s[28:29], vcc
	s_xor_b64 s[28:29], exec, s[28:29]
	s_cbranch_execnz .LBB51_34
; %bb.31:                               ;   in Loop: Header=BB51_12 Depth=3
	s_andn2_saveexec_b64 s[28:29], s[28:29]
	s_cbranch_execnz .LBB51_37
.LBB51_32:                              ;   in Loop: Header=BB51_12 Depth=3
	s_or_b64 exec, exec, s[28:29]
	v_cmp_class_f64_e64 s[94:95], v[36:37], s3
	s_and_saveexec_b64 s[72:73], s[94:95]
	s_cbranch_execnz .LBB51_38
.LBB51_33:                              ;   in Loop: Header=BB51_12 Depth=3
	s_or_b64 exec, exec, s[72:73]
	s_and_b64 s[28:29], s[94:95], s[26:27]
	s_and_saveexec_b64 s[24:25], s[28:29]
	s_cbranch_execz .LBB51_11
	s_branch .LBB51_79
.LBB51_34:                              ;   in Loop: Header=BB51_12 Depth=3
	v_cmp_neq_f64_e32 vcc, 0, v[12:13]
	v_pk_mov_b32 v[36:37], 0, 0
	s_and_saveexec_b64 s[30:31], vcc
	s_cbranch_execz .LBB51_36
; %bb.35:                               ;   in Loop: Header=BB51_12 Depth=3
	v_div_scale_f64 v[36:37], s[60:61], v[16:17], v[16:17], v[14:15]
	v_rcp_f64_e32 v[38:39], v[36:37]
	v_div_scale_f64 v[40:41], vcc, v[14:15], v[16:17], v[14:15]
	v_fma_f64 v[56:57], -v[36:37], v[38:39], 1.0
	v_fmac_f64_e32 v[38:39], v[38:39], v[56:57]
	v_fma_f64 v[56:57], -v[36:37], v[38:39], 1.0
	v_fmac_f64_e32 v[38:39], v[38:39], v[56:57]
	v_mul_f64 v[56:57], v[40:41], v[38:39]
	v_fma_f64 v[36:37], -v[36:37], v[56:57], v[40:41]
	v_div_fmas_f64 v[36:37], v[36:37], v[38:39], v[56:57]
	v_div_fixup_f64 v[14:15], v[36:37], v[16:17], v[14:15]
	v_fma_f64 v[14:15], v[14:15], v[14:15], 1.0
	v_cmp_gt_f64_e32 vcc, s[86:87], v[14:15]
	v_cndmask_b32_e64 v23, 0, 1, vcc
	v_lshlrev_b32_e32 v23, 8, v23
	v_ldexp_f64 v[14:15], v[14:15], v23
	v_rsq_f64_e32 v[36:37], v[14:15]
	v_cndmask_b32_e32 v23, 0, v50, vcc
	v_cmp_class_f64_e32 vcc, v[14:15], v49
	v_mul_f64 v[38:39], v[14:15], v[36:37]
	v_mul_f64 v[36:37], v[36:37], 0.5
	v_fma_f64 v[40:41], -v[36:37], v[38:39], 0.5
	v_fmac_f64_e32 v[38:39], v[38:39], v[40:41]
	v_fmac_f64_e32 v[36:37], v[36:37], v[40:41]
	v_fma_f64 v[40:41], -v[38:39], v[38:39], v[14:15]
	v_fmac_f64_e32 v[38:39], v[40:41], v[36:37]
	v_fma_f64 v[40:41], -v[38:39], v[38:39], v[14:15]
	v_fmac_f64_e32 v[38:39], v[40:41], v[36:37]
	v_ldexp_f64 v[36:37], v[38:39], v23
	v_cndmask_b32_e32 v15, v37, v15, vcc
	v_cndmask_b32_e32 v14, v36, v14, vcc
	v_mul_f64 v[36:37], v[16:17], v[14:15]
.LBB51_36:                              ;   in Loop: Header=BB51_12 Depth=3
	s_or_b64 exec, exec, s[30:31]
                                        ; implicit-def: $vgpr14_vgpr15
                                        ; implicit-def: $vgpr16_vgpr17
	s_andn2_saveexec_b64 s[28:29], s[28:29]
	s_cbranch_execz .LBB51_32
.LBB51_37:                              ;   in Loop: Header=BB51_12 Depth=3
	v_div_scale_f64 v[36:37], s[30:31], v[14:15], v[14:15], v[16:17]
	v_rcp_f64_e32 v[38:39], v[36:37]
	v_div_scale_f64 v[40:41], vcc, v[16:17], v[14:15], v[16:17]
	v_fma_f64 v[56:57], -v[36:37], v[38:39], 1.0
	v_fmac_f64_e32 v[38:39], v[38:39], v[56:57]
	v_fma_f64 v[56:57], -v[36:37], v[38:39], 1.0
	v_fmac_f64_e32 v[38:39], v[38:39], v[56:57]
	v_mul_f64 v[56:57], v[40:41], v[38:39]
	v_fma_f64 v[36:37], -v[36:37], v[56:57], v[40:41]
	v_div_fmas_f64 v[36:37], v[36:37], v[38:39], v[56:57]
	v_div_fixup_f64 v[16:17], v[36:37], v[14:15], v[16:17]
	v_fma_f64 v[16:17], v[16:17], v[16:17], 1.0
	v_cmp_gt_f64_e32 vcc, s[86:87], v[16:17]
	v_cndmask_b32_e64 v23, 0, 1, vcc
	v_lshlrev_b32_e32 v23, 8, v23
	v_ldexp_f64 v[16:17], v[16:17], v23
	v_rsq_f64_e32 v[36:37], v[16:17]
	v_cndmask_b32_e32 v23, 0, v50, vcc
	v_cmp_class_f64_e32 vcc, v[16:17], v49
	v_mul_f64 v[38:39], v[16:17], v[36:37]
	v_mul_f64 v[36:37], v[36:37], 0.5
	v_fma_f64 v[40:41], -v[36:37], v[38:39], 0.5
	v_fmac_f64_e32 v[38:39], v[38:39], v[40:41]
	v_fmac_f64_e32 v[36:37], v[36:37], v[40:41]
	v_fma_f64 v[40:41], -v[38:39], v[38:39], v[16:17]
	v_fmac_f64_e32 v[38:39], v[40:41], v[36:37]
	v_fma_f64 v[40:41], -v[38:39], v[38:39], v[16:17]
	v_fmac_f64_e32 v[38:39], v[40:41], v[36:37]
	v_ldexp_f64 v[36:37], v[38:39], v23
	v_cndmask_b32_e32 v17, v37, v17, vcc
	v_cndmask_b32_e32 v16, v36, v16, vcc
	v_mul_f64 v[36:37], v[14:15], v[16:17]
	s_or_b64 exec, exec, s[28:29]
	v_cmp_class_f64_e64 s[94:95], v[36:37], s3
	s_and_saveexec_b64 s[72:73], s[94:95]
	s_cbranch_execz .LBB51_33
.LBB51_38:                              ;   in Loop: Header=BB51_12 Depth=3
	s_and_saveexec_b64 s[28:29], s[24:25]
	s_xor_b64 s[24:25], exec, s[28:29]
	s_cbranch_execz .LBB51_63
; %bb.39:                               ;   in Loop: Header=BB51_12 Depth=3
	v_cmp_ge_i32_e32 vcc, v20, v26
	s_and_saveexec_b64 s[28:29], vcc
	s_xor_b64 s[60:61], exec, s[28:29]
	s_cbranch_execz .LBB51_47
; %bb.40:                               ;   in Loop: Header=BB51_12 Depth=3
	v_lshlrev_b64 v[14:15], 4, v[26:27]
	v_mov_b32_e32 v17, s67
	v_add_co_u32_e32 v16, vcc, s66, v14
	v_addc_co_u32_e32 v17, vcc, v17, v15, vcc
	s_andn2_b64 vcc, exec, s[34:35]
	global_store_dwordx4 v[16:17], v[10:13], off
	s_cbranch_vccnz .LBB51_46
; %bb.41:                               ;   in Loop: Header=BB51_12 Depth=3
	v_mov_b32_e32 v16, s65
	v_add_co_u32_e32 v14, vcc, s64, v14
	v_addc_co_u32_e32 v15, vcc, v16, v15, vcc
	global_load_dwordx4 v[14:17], v[14:15], off
	s_waitcnt vmcnt(0)
	v_add_f64 v[10:11], v[14:15], -v[10:11]
	v_add_f64 v[16:17], v[16:17], -v[12:13]
	v_xor_b32_e32 v12, 0x80000000, v11
	v_cmp_gt_f64_e32 vcc, 0, v[10:11]
	v_xor_b32_e32 v13, 0x80000000, v17
	v_cndmask_b32_e32 v11, v11, v12, vcc
	v_cndmask_b32_e32 v10, v10, v10, vcc
	v_cmp_gt_f64_e32 vcc, 0, v[16:17]
	v_cndmask_b32_e32 v13, v17, v13, vcc
	v_cndmask_b32_e32 v12, v16, v16, vcc
	v_cmp_ngt_f64_e32 vcc, v[10:11], v[12:13]
                                        ; implicit-def: $vgpr14_vgpr15
	s_and_saveexec_b64 s[28:29], vcc
	s_xor_b64 s[28:29], exec, s[28:29]
	s_cbranch_execnz .LBB51_107
; %bb.42:                               ;   in Loop: Header=BB51_12 Depth=3
	s_andn2_saveexec_b64 s[28:29], s[28:29]
	s_cbranch_execnz .LBB51_110
.LBB51_43:                              ;   in Loop: Header=BB51_12 Depth=3
	s_or_b64 exec, exec, s[28:29]
	v_cmp_class_f64_e64 s[30:31], v[14:15], s3
	s_and_saveexec_b64 s[28:29], s[30:31]
.LBB51_44:                              ;   in Loop: Header=BB51_12 Depth=3
	v_cmp_lt_f64_e32 vcc, v[4:5], v[14:15]
	v_cndmask_b32_e32 v5, v5, v15, vcc
	v_cndmask_b32_e32 v4, v4, v14, vcc
.LBB51_45:                              ;   in Loop: Header=BB51_12 Depth=3
	s_or_b64 exec, exec, s[28:29]
.LBB51_46:                              ;   in Loop: Header=BB51_12 Depth=3
                                        ; implicit-def: $vgpr10_vgpr11
.LBB51_47:                              ;   in Loop: Header=BB51_12 Depth=3
	s_andn2_saveexec_b64 s[78:79], s[60:61]
	s_cbranch_execz .LBB51_62
; %bb.48:                               ;   in Loop: Header=BB51_12 Depth=3
	v_cmp_lt_i32_e32 vcc, v34, v55
	s_and_saveexec_b64 s[60:61], vcc
	s_cbranch_execz .LBB51_61
; %bb.49:                               ;   in Loop: Header=BB51_12 Depth=3
	s_mov_b64 s[62:63], 0
	v_mov_b32_e32 v16, v34
                                        ; implicit-def: $sgpr28_sgpr29
                                        ; implicit-def: $sgpr76_sgpr77
                                        ; implicit-def: $sgpr30_sgpr31
	s_branch .LBB51_51
.LBB51_50:                              ;   in Loop: Header=BB51_51 Depth=4
	s_or_b64 exec, exec, s[84:85]
	s_and_b64 s[84:85], exec, s[76:77]
	s_or_b64 s[62:63], s[84:85], s[62:63]
	s_andn2_b64 s[28:29], s[28:29], exec
	s_and_b64 s[84:85], s[30:31], exec
	s_or_b64 s[28:29], s[28:29], s[84:85]
	s_andn2_b64 exec, exec, s[62:63]
	s_cbranch_execz .LBB51_53
.LBB51_51:                              ;   Parent Loop BB51_3 Depth=1
                                        ;     Parent Loop BB51_7 Depth=2
                                        ;       Parent Loop BB51_12 Depth=3
                                        ; =>      This Inner Loop Header: Depth=4
	v_add_u32_e32 v14, v32, v16
	v_ashrrev_i32_e32 v15, 31, v14
	v_lshlrev_b64 v[36:37], 2, v[14:15]
	v_mov_b32_e32 v17, s41
	v_add_co_u32_e32 v36, vcc, s40, v36
	v_addc_co_u32_e32 v37, vcc, v17, v37, vcc
	global_load_dword v17, v[36:37], off
	s_or_b64 s[30:31], s[30:31], exec
	s_or_b64 s[76:77], s[76:77], exec
	s_waitcnt vmcnt(0)
	v_subrev_u32_e32 v17, s1, v17
	v_cmp_ne_u32_e32 vcc, v17, v20
	s_and_saveexec_b64 s[84:85], vcc
	s_cbranch_execz .LBB51_50
; %bb.52:                               ;   in Loop: Header=BB51_51 Depth=4
	v_add_u32_e32 v16, 1, v16
	v_cmp_ge_i32_e32 vcc, v16, v55
	s_andn2_b64 s[76:77], s[76:77], exec
	s_and_b64 vcc, vcc, exec
	s_andn2_b64 s[30:31], s[30:31], exec
	s_or_b64 s[76:77], s[76:77], vcc
	s_branch .LBB51_50
.LBB51_53:                              ;   in Loop: Header=BB51_12 Depth=3
	s_or_b64 exec, exec, s[62:63]
	s_and_saveexec_b64 s[30:31], s[28:29]
	s_xor_b64 s[62:63], exec, s[30:31]
	s_cbranch_execz .LBB51_60
; %bb.54:                               ;   in Loop: Header=BB51_12 Depth=3
	v_lshlrev_b64 v[14:15], 4, v[14:15]
	v_mov_b32_e32 v17, s83
	v_add_co_u32_e32 v16, vcc, s82, v14
	v_addc_co_u32_e32 v17, vcc, v17, v15, vcc
	s_andn2_b64 vcc, exec, s[34:35]
	global_store_dwordx4 v[16:17], v[10:13], off
	s_cbranch_vccnz .LBB51_60
; %bb.55:                               ;   in Loop: Header=BB51_12 Depth=3
	v_mov_b32_e32 v16, s43
	v_add_co_u32_e32 v14, vcc, s42, v14
	v_addc_co_u32_e32 v15, vcc, v16, v15, vcc
	global_load_dwordx4 v[14:17], v[14:15], off
	s_waitcnt vmcnt(0)
	v_add_f64 v[10:11], v[14:15], -v[10:11]
	v_add_f64 v[16:17], v[16:17], -v[12:13]
	v_xor_b32_e32 v12, 0x80000000, v11
	v_cmp_gt_f64_e32 vcc, 0, v[10:11]
	v_xor_b32_e32 v13, 0x80000000, v17
	v_cndmask_b32_e32 v11, v11, v12, vcc
	v_cndmask_b32_e32 v10, v10, v10, vcc
	v_cmp_gt_f64_e32 vcc, 0, v[16:17]
	v_cndmask_b32_e32 v13, v17, v13, vcc
	v_cndmask_b32_e32 v12, v16, v16, vcc
	v_cmp_ngt_f64_e32 vcc, v[10:11], v[12:13]
                                        ; implicit-def: $vgpr14_vgpr15
	s_and_saveexec_b64 s[28:29], vcc
	s_xor_b64 s[28:29], exec, s[28:29]
	s_cbranch_execnz .LBB51_115
; %bb.56:                               ;   in Loop: Header=BB51_12 Depth=3
	s_andn2_saveexec_b64 s[28:29], s[28:29]
	s_cbranch_execnz .LBB51_118
.LBB51_57:                              ;   in Loop: Header=BB51_12 Depth=3
	s_or_b64 exec, exec, s[28:29]
	v_cmp_class_f64_e64 s[30:31], v[14:15], s3
	s_and_saveexec_b64 s[28:29], s[30:31]
.LBB51_58:                              ;   in Loop: Header=BB51_12 Depth=3
	v_cmp_lt_f64_e32 vcc, v[4:5], v[14:15]
	v_cndmask_b32_e32 v5, v5, v15, vcc
	v_cndmask_b32_e32 v4, v4, v14, vcc
.LBB51_59:                              ;   in Loop: Header=BB51_12 Depth=3
	s_or_b64 exec, exec, s[28:29]
.LBB51_60:                              ;   in Loop: Header=BB51_12 Depth=3
	s_or_b64 exec, exec, s[62:63]
.LBB51_61:                              ;   in Loop: Header=BB51_12 Depth=3
	s_or_b64 exec, exec, s[60:61]
.LBB51_62:                              ;   in Loop: Header=BB51_12 Depth=3
	s_or_b64 exec, exec, s[78:79]
                                        ; implicit-def: $vgpr10_vgpr11
.LBB51_63:                              ;   in Loop: Header=BB51_12 Depth=3
	s_andn2_saveexec_b64 s[24:25], s[24:25]
	s_cbranch_execz .LBB51_78
; %bb.64:                               ;   in Loop: Header=BB51_12 Depth=3
	v_cmp_lt_i32_e32 vcc, v18, v51
	s_and_saveexec_b64 s[78:79], vcc
	s_cbranch_execz .LBB51_77
; %bb.65:                               ;   in Loop: Header=BB51_12 Depth=3
	s_mov_b64 s[60:61], 0
	v_mov_b32_e32 v16, v18
                                        ; implicit-def: $sgpr28_sgpr29
                                        ; implicit-def: $sgpr62_sgpr63
                                        ; implicit-def: $sgpr30_sgpr31
	s_branch .LBB51_67
.LBB51_66:                              ;   in Loop: Header=BB51_67 Depth=4
	s_or_b64 exec, exec, s[76:77]
	s_and_b64 s[76:77], exec, s[62:63]
	s_or_b64 s[60:61], s[76:77], s[60:61]
	s_andn2_b64 s[28:29], s[28:29], exec
	s_and_b64 s[76:77], s[30:31], exec
	s_or_b64 s[28:29], s[28:29], s[76:77]
	s_andn2_b64 exec, exec, s[60:61]
	s_cbranch_execz .LBB51_69
.LBB51_67:                              ;   Parent Loop BB51_3 Depth=1
                                        ;     Parent Loop BB51_7 Depth=2
                                        ;       Parent Loop BB51_12 Depth=3
                                        ; =>      This Inner Loop Header: Depth=4
	v_add_u32_e32 v14, v24, v16
	v_ashrrev_i32_e32 v15, 31, v14
	v_lshlrev_b64 v[36:37], 2, v[14:15]
	v_mov_b32_e32 v17, s49
	v_add_co_u32_e32 v36, vcc, s48, v36
	v_addc_co_u32_e32 v37, vcc, v17, v37, vcc
	global_load_dword v17, v[36:37], off
	s_or_b64 s[30:31], s[30:31], exec
	s_or_b64 s[62:63], s[62:63], exec
	s_waitcnt vmcnt(0)
	v_subrev_u32_e32 v17, s0, v17
	v_cmp_ne_u32_e32 vcc, v17, v26
	s_and_saveexec_b64 s[76:77], vcc
	s_cbranch_execz .LBB51_66
; %bb.68:                               ;   in Loop: Header=BB51_67 Depth=4
	v_add_u32_e32 v16, 1, v16
	v_cmp_ge_i32_e32 vcc, v16, v51
	s_andn2_b64 s[62:63], s[62:63], exec
	s_and_b64 s[84:85], vcc, exec
	s_andn2_b64 s[30:31], s[30:31], exec
	s_or_b64 s[62:63], s[62:63], s[84:85]
	s_branch .LBB51_66
.LBB51_69:                              ;   in Loop: Header=BB51_12 Depth=3
	s_or_b64 exec, exec, s[60:61]
	s_and_saveexec_b64 s[30:31], s[28:29]
	s_xor_b64 s[60:61], exec, s[30:31]
	s_cbranch_execz .LBB51_76
; %bb.70:                               ;   in Loop: Header=BB51_12 Depth=3
	v_lshlrev_b64 v[14:15], 4, v[14:15]
	v_mov_b32_e32 v17, s81
	v_add_co_u32_e32 v16, vcc, s80, v14
	v_addc_co_u32_e32 v17, vcc, v17, v15, vcc
	s_andn2_b64 vcc, exec, s[34:35]
	global_store_dwordx4 v[16:17], v[10:13], off
	s_cbranch_vccnz .LBB51_76
; %bb.71:                               ;   in Loop: Header=BB51_12 Depth=3
	v_mov_b32_e32 v16, s51
	v_add_co_u32_e32 v14, vcc, s50, v14
	v_addc_co_u32_e32 v15, vcc, v16, v15, vcc
	global_load_dwordx4 v[14:17], v[14:15], off
	s_waitcnt vmcnt(0)
	v_add_f64 v[10:11], v[14:15], -v[10:11]
	v_add_f64 v[16:17], v[16:17], -v[12:13]
	v_xor_b32_e32 v12, 0x80000000, v11
	v_cmp_gt_f64_e32 vcc, 0, v[10:11]
	v_xor_b32_e32 v13, 0x80000000, v17
	v_cndmask_b32_e32 v11, v11, v12, vcc
	v_cndmask_b32_e32 v10, v10, v10, vcc
	v_cmp_gt_f64_e32 vcc, 0, v[16:17]
	v_cndmask_b32_e32 v13, v17, v13, vcc
	v_cndmask_b32_e32 v12, v16, v16, vcc
	v_cmp_ngt_f64_e32 vcc, v[10:11], v[12:13]
                                        ; implicit-def: $vgpr14_vgpr15
	s_and_saveexec_b64 s[28:29], vcc
	s_xor_b64 s[28:29], exec, s[28:29]
	s_cbranch_execnz .LBB51_111
; %bb.72:                               ;   in Loop: Header=BB51_12 Depth=3
	s_andn2_saveexec_b64 s[28:29], s[28:29]
	s_cbranch_execnz .LBB51_114
.LBB51_73:                              ;   in Loop: Header=BB51_12 Depth=3
	s_or_b64 exec, exec, s[28:29]
	v_cmp_class_f64_e64 s[30:31], v[14:15], s3
	s_and_saveexec_b64 s[28:29], s[30:31]
.LBB51_74:                              ;   in Loop: Header=BB51_12 Depth=3
	v_cmp_lt_f64_e32 vcc, v[4:5], v[14:15]
	v_cndmask_b32_e32 v5, v5, v15, vcc
	v_cndmask_b32_e32 v4, v4, v14, vcc
.LBB51_75:                              ;   in Loop: Header=BB51_12 Depth=3
	s_or_b64 exec, exec, s[28:29]
.LBB51_76:                              ;   in Loop: Header=BB51_12 Depth=3
	s_or_b64 exec, exec, s[60:61]
.LBB51_77:                              ;   in Loop: Header=BB51_12 Depth=3
	s_or_b64 exec, exec, s[78:79]
.LBB51_78:                              ;   in Loop: Header=BB51_12 Depth=3
	s_or_b64 exec, exec, s[24:25]
	s_or_b64 exec, exec, s[72:73]
	s_and_b64 s[28:29], s[94:95], s[26:27]
	s_and_saveexec_b64 s[24:25], s[28:29]
	s_cbranch_execz .LBB51_11
.LBB51_79:                              ;   in Loop: Header=BB51_12 Depth=3
	v_cmp_ge_i32_e32 vcc, v34, v55
	s_and_saveexec_b64 s[28:29], vcc
	s_xor_b64 s[60:61], exec, s[28:29]
	s_cbranch_execnz .LBB51_86
; %bb.80:                               ;   in Loop: Header=BB51_12 Depth=3
	s_andn2_saveexec_b64 s[60:61], s[60:61]
	s_cbranch_execnz .LBB51_100
.LBB51_81:                              ;   in Loop: Header=BB51_12 Depth=3
	s_or_b64 exec, exec, s[60:61]
	v_cmp_eq_u32_e32 vcc, v20, v26
	s_and_saveexec_b64 s[28:29], vcc
	s_cbranch_execz .LBB51_83
.LBB51_82:                              ;   in Loop: Header=BB51_12 Depth=3
	v_lshlrev_b64 v[10:11], 4, v[26:27]
	v_mov_b32_e32 v12, s65
	v_add_co_u32_e32 v10, vcc, s64, v10
	v_addc_co_u32_e32 v11, vcc, v12, v11, vcc
	global_load_dwordx4 v[10:13], v[10:11], off
	s_waitcnt vmcnt(0)
	v_add_f64 v[28:29], v[28:29], v[10:11]
	v_add_f64 v[30:31], v[30:31], v[12:13]
.LBB51_83:                              ;   in Loop: Header=BB51_12 Depth=3
	s_or_b64 exec, exec, s[28:29]
	v_add_f64 v[6:7], v[6:7], -v[28:29]
	v_add_f64 v[12:13], v[8:9], -v[30:31]
	v_xor_b32_e32 v8, 0x80000000, v7
	v_cmp_gt_f64_e32 vcc, 0, v[6:7]
	v_cndmask_b32_e32 v7, v7, v8, vcc
	v_cndmask_b32_e32 v6, v6, v6, vcc
	v_xor_b32_e32 v8, 0x80000000, v13
	v_cmp_gt_f64_e32 vcc, 0, v[12:13]
	v_cndmask_b32_e32 v9, v13, v8, vcc
	v_cndmask_b32_e32 v8, v12, v12, vcc
	v_cmp_ngt_f64_e32 vcc, v[6:7], v[8:9]
                                        ; implicit-def: $vgpr10_vgpr11
	s_and_saveexec_b64 s[28:29], vcc
	s_xor_b64 s[28:29], exec, s[28:29]
	s_cbranch_execnz .LBB51_91
; %bb.84:                               ;   in Loop: Header=BB51_12 Depth=3
	s_andn2_saveexec_b64 s[28:29], s[28:29]
	s_cbranch_execnz .LBB51_94
.LBB51_85:                              ;   in Loop: Header=BB51_12 Depth=3
	s_or_b64 exec, exec, s[28:29]
	v_cmp_class_f64_e64 s[30:31], v[10:11], s3
	s_and_saveexec_b64 s[28:29], s[30:31]
	s_cbranch_execz .LBB51_10
	s_branch .LBB51_95
.LBB51_86:                              ;   in Loop: Header=BB51_12 Depth=3
	v_cmp_lt_i32_e32 vcc, v18, v51
	s_and_saveexec_b64 s[62:63], vcc
	s_cbranch_execz .LBB51_99
; %bb.87:                               ;   in Loop: Header=BB51_12 Depth=3
	s_mov_b64 s[78:79], 0
                                        ; implicit-def: $sgpr72_sgpr73
                                        ; implicit-def: $sgpr30_sgpr31
                                        ; implicit-def: $sgpr28_sgpr29
	s_branch .LBB51_89
.LBB51_88:                              ;   in Loop: Header=BB51_89 Depth=4
	s_or_b64 exec, exec, s[76:77]
	s_and_b64 s[76:77], exec, s[30:31]
	s_or_b64 s[78:79], s[76:77], s[78:79]
	s_andn2_b64 s[72:73], s[72:73], exec
	s_and_b64 s[76:77], s[28:29], exec
	s_or_b64 s[72:73], s[72:73], s[76:77]
	s_andn2_b64 exec, exec, s[78:79]
	s_cbranch_execz .LBB51_96
.LBB51_89:                              ;   Parent Loop BB51_3 Depth=1
                                        ;     Parent Loop BB51_7 Depth=2
                                        ;       Parent Loop BB51_12 Depth=3
                                        ; =>      This Inner Loop Header: Depth=4
	v_add_u32_e32 v10, v24, v18
	v_ashrrev_i32_e32 v11, 31, v10
	v_lshlrev_b64 v[12:13], 2, v[10:11]
	v_mov_b32_e32 v14, s49
	v_add_co_u32_e32 v12, vcc, s48, v12
	v_addc_co_u32_e32 v13, vcc, v14, v13, vcc
	global_load_dword v12, v[12:13], off
	s_or_b64 s[28:29], s[28:29], exec
	s_or_b64 s[30:31], s[30:31], exec
	s_waitcnt vmcnt(0)
	v_subrev_u32_e32 v12, s0, v12
	v_cmp_ne_u32_e32 vcc, v12, v26
	s_and_saveexec_b64 s[76:77], vcc
	s_cbranch_execz .LBB51_88
; %bb.90:                               ;   in Loop: Header=BB51_89 Depth=4
	v_add_u32_e32 v18, 1, v18
	v_cmp_ge_i32_e32 vcc, v18, v51
	s_andn2_b64 s[30:31], s[30:31], exec
	s_and_b64 s[84:85], vcc, exec
	s_andn2_b64 s[28:29], s[28:29], exec
	s_or_b64 s[30:31], s[30:31], s[84:85]
	s_branch .LBB51_88
.LBB51_91:                              ;   in Loop: Header=BB51_12 Depth=3
	v_cmp_neq_f64_e32 vcc, 0, v[12:13]
	v_pk_mov_b32 v[10:11], 0, 0
	s_and_saveexec_b64 s[30:31], vcc
	s_cbranch_execz .LBB51_93
; %bb.92:                               ;   in Loop: Header=BB51_12 Depth=3
	v_div_scale_f64 v[10:11], s[60:61], v[8:9], v[8:9], v[6:7]
	v_rcp_f64_e32 v[12:13], v[10:11]
	v_div_scale_f64 v[14:15], vcc, v[6:7], v[8:9], v[6:7]
	v_fma_f64 v[16:17], -v[10:11], v[12:13], 1.0
	v_fmac_f64_e32 v[12:13], v[12:13], v[16:17]
	v_fma_f64 v[16:17], -v[10:11], v[12:13], 1.0
	v_fmac_f64_e32 v[12:13], v[12:13], v[16:17]
	v_mul_f64 v[16:17], v[14:15], v[12:13]
	v_fma_f64 v[10:11], -v[10:11], v[16:17], v[14:15]
	v_div_fmas_f64 v[10:11], v[10:11], v[12:13], v[16:17]
	v_div_fixup_f64 v[6:7], v[10:11], v[8:9], v[6:7]
	v_fma_f64 v[6:7], v[6:7], v[6:7], 1.0
	v_cmp_gt_f64_e32 vcc, s[86:87], v[6:7]
	v_cndmask_b32_e64 v10, 0, 1, vcc
	v_lshlrev_b32_e32 v10, 8, v10
	v_ldexp_f64 v[6:7], v[6:7], v10
	v_rsq_f64_e32 v[10:11], v[6:7]
	v_mul_f64 v[12:13], v[6:7], v[10:11]
	v_mul_f64 v[10:11], v[10:11], 0.5
	v_fma_f64 v[14:15], -v[10:11], v[12:13], 0.5
	v_fmac_f64_e32 v[12:13], v[12:13], v[14:15]
	v_fmac_f64_e32 v[10:11], v[10:11], v[14:15]
	v_fma_f64 v[14:15], -v[12:13], v[12:13], v[6:7]
	v_fmac_f64_e32 v[12:13], v[14:15], v[10:11]
	v_fma_f64 v[14:15], -v[12:13], v[12:13], v[6:7]
	v_fmac_f64_e32 v[12:13], v[14:15], v[10:11]
	v_cndmask_b32_e32 v10, 0, v50, vcc
	v_ldexp_f64 v[10:11], v[12:13], v10
	v_cmp_class_f64_e32 vcc, v[6:7], v49
	v_cndmask_b32_e32 v7, v11, v7, vcc
	v_cndmask_b32_e32 v6, v10, v6, vcc
	v_mul_f64 v[10:11], v[8:9], v[6:7]
.LBB51_93:                              ;   in Loop: Header=BB51_12 Depth=3
	s_or_b64 exec, exec, s[30:31]
                                        ; implicit-def: $vgpr6_vgpr7
                                        ; implicit-def: $vgpr8_vgpr9
	s_andn2_saveexec_b64 s[28:29], s[28:29]
	s_cbranch_execz .LBB51_85
.LBB51_94:                              ;   in Loop: Header=BB51_12 Depth=3
	v_div_scale_f64 v[10:11], s[30:31], v[6:7], v[6:7], v[8:9]
	v_rcp_f64_e32 v[12:13], v[10:11]
	v_div_scale_f64 v[14:15], vcc, v[8:9], v[6:7], v[8:9]
	v_fma_f64 v[16:17], -v[10:11], v[12:13], 1.0
	v_fmac_f64_e32 v[12:13], v[12:13], v[16:17]
	v_fma_f64 v[16:17], -v[10:11], v[12:13], 1.0
	v_fmac_f64_e32 v[12:13], v[12:13], v[16:17]
	v_mul_f64 v[16:17], v[14:15], v[12:13]
	v_fma_f64 v[10:11], -v[10:11], v[16:17], v[14:15]
	v_div_fmas_f64 v[10:11], v[10:11], v[12:13], v[16:17]
	v_div_fixup_f64 v[8:9], v[10:11], v[6:7], v[8:9]
	v_fma_f64 v[8:9], v[8:9], v[8:9], 1.0
	v_cmp_gt_f64_e32 vcc, s[86:87], v[8:9]
	v_cndmask_b32_e64 v10, 0, 1, vcc
	v_lshlrev_b32_e32 v10, 8, v10
	v_ldexp_f64 v[8:9], v[8:9], v10
	v_rsq_f64_e32 v[10:11], v[8:9]
	v_mul_f64 v[12:13], v[8:9], v[10:11]
	v_mul_f64 v[10:11], v[10:11], 0.5
	v_fma_f64 v[14:15], -v[10:11], v[12:13], 0.5
	v_fmac_f64_e32 v[12:13], v[12:13], v[14:15]
	v_fmac_f64_e32 v[10:11], v[10:11], v[14:15]
	v_fma_f64 v[14:15], -v[12:13], v[12:13], v[8:9]
	v_fmac_f64_e32 v[12:13], v[14:15], v[10:11]
	v_fma_f64 v[14:15], -v[12:13], v[12:13], v[8:9]
	v_fmac_f64_e32 v[12:13], v[14:15], v[10:11]
	v_cndmask_b32_e32 v10, 0, v50, vcc
	v_ldexp_f64 v[10:11], v[12:13], v10
	v_cmp_class_f64_e32 vcc, v[8:9], v49
	v_cndmask_b32_e32 v9, v11, v9, vcc
	v_cndmask_b32_e32 v8, v10, v8, vcc
	v_mul_f64 v[10:11], v[6:7], v[8:9]
	s_or_b64 exec, exec, s[28:29]
	v_cmp_class_f64_e64 s[30:31], v[10:11], s3
	s_and_saveexec_b64 s[28:29], s[30:31]
	s_cbranch_execz .LBB51_10
.LBB51_95:                              ;   in Loop: Header=BB51_12 Depth=3
	v_cmp_lt_f64_e32 vcc, v[2:3], v[10:11]
	v_cndmask_b32_e32 v3, v3, v11, vcc
	v_cndmask_b32_e32 v2, v2, v10, vcc
	s_branch .LBB51_10
.LBB51_96:                              ;   in Loop: Header=BB51_12 Depth=3
	s_or_b64 exec, exec, s[78:79]
	s_and_saveexec_b64 s[28:29], s[72:73]
	s_xor_b64 s[28:29], exec, s[28:29]
	s_cbranch_execz .LBB51_98
; %bb.97:                               ;   in Loop: Header=BB51_12 Depth=3
	v_lshlrev_b64 v[10:11], 4, v[10:11]
	v_mov_b32_e32 v12, s51
	v_add_co_u32_e32 v14, vcc, s50, v10
	v_addc_co_u32_e32 v15, vcc, v12, v11, vcc
	v_lshlrev_b64 v[10:11], 4, v[26:27]
	v_mov_b32_e32 v12, s65
	v_add_co_u32_e32 v10, vcc, s64, v10
	v_addc_co_u32_e32 v11, vcc, v12, v11, vcc
	global_load_dwordx4 v[10:13], v[10:11], off
	s_nop 0
	global_load_dwordx4 v[14:17], v[14:15], off
	s_waitcnt vmcnt(0)
	v_mul_f64 v[32:33], v[12:13], -v[16:17]
	v_mul_f64 v[12:13], v[12:13], v[14:15]
	v_fmac_f64_e32 v[32:33], v[14:15], v[10:11]
	v_fmac_f64_e32 v[12:13], v[16:17], v[10:11]
	v_add_f64 v[28:29], v[28:29], v[32:33]
	v_add_f64 v[30:31], v[30:31], v[12:13]
.LBB51_98:                              ;   in Loop: Header=BB51_12 Depth=3
	s_or_b64 exec, exec, s[28:29]
.LBB51_99:                              ;   in Loop: Header=BB51_12 Depth=3
	s_or_b64 exec, exec, s[62:63]
                                        ; implicit-def: $vgpr34
                                        ; implicit-def: $vgpr32
                                        ; implicit-def: $vgpr55
	s_andn2_saveexec_b64 s[60:61], s[60:61]
	s_cbranch_execz .LBB51_81
.LBB51_100:                             ;   in Loop: Header=BB51_12 Depth=3
	s_mov_b64 s[72:73], 0
                                        ; implicit-def: $sgpr62_sgpr63
                                        ; implicit-def: $sgpr30_sgpr31
                                        ; implicit-def: $sgpr28_sgpr29
	s_branch .LBB51_102
.LBB51_101:                             ;   in Loop: Header=BB51_102 Depth=4
	s_or_b64 exec, exec, s[76:77]
	s_and_b64 s[76:77], exec, s[30:31]
	s_or_b64 s[72:73], s[76:77], s[72:73]
	s_andn2_b64 s[62:63], s[62:63], exec
	s_and_b64 s[76:77], s[28:29], exec
	s_or_b64 s[62:63], s[62:63], s[76:77]
	s_andn2_b64 exec, exec, s[72:73]
	s_cbranch_execz .LBB51_104
.LBB51_102:                             ;   Parent Loop BB51_3 Depth=1
                                        ;     Parent Loop BB51_7 Depth=2
                                        ;       Parent Loop BB51_12 Depth=3
                                        ; =>      This Inner Loop Header: Depth=4
	v_add_u32_e32 v10, v32, v34
	v_ashrrev_i32_e32 v11, 31, v10
	v_lshlrev_b64 v[12:13], 2, v[10:11]
	v_mov_b32_e32 v14, s41
	v_add_co_u32_e32 v12, vcc, s40, v12
	v_addc_co_u32_e32 v13, vcc, v14, v13, vcc
	global_load_dword v12, v[12:13], off
	s_or_b64 s[28:29], s[28:29], exec
	s_or_b64 s[30:31], s[30:31], exec
	s_waitcnt vmcnt(0)
	v_subrev_u32_e32 v12, s1, v12
	v_cmp_ne_u32_e32 vcc, v12, v20
	s_and_saveexec_b64 s[76:77], vcc
	s_cbranch_execz .LBB51_101
; %bb.103:                              ;   in Loop: Header=BB51_102 Depth=4
	v_add_u32_e32 v34, 1, v34
	v_cmp_ge_i32_e32 vcc, v34, v55
	s_andn2_b64 s[30:31], s[30:31], exec
	s_and_b64 s[78:79], vcc, exec
	s_andn2_b64 s[28:29], s[28:29], exec
	s_or_b64 s[30:31], s[30:31], s[78:79]
	s_branch .LBB51_101
.LBB51_104:                             ;   in Loop: Header=BB51_12 Depth=3
	s_or_b64 exec, exec, s[72:73]
	s_and_saveexec_b64 s[28:29], s[62:63]
	s_xor_b64 s[28:29], exec, s[28:29]
	s_cbranch_execz .LBB51_106
; %bb.105:                              ;   in Loop: Header=BB51_12 Depth=3
	v_lshlrev_b64 v[10:11], 4, v[10:11]
	v_mov_b32_e32 v12, s43
	v_add_co_u32_e32 v10, vcc, s42, v10
	v_addc_co_u32_e32 v11, vcc, v12, v11, vcc
	global_load_dwordx4 v[10:13], v[10:11], off
	s_waitcnt vmcnt(0)
	v_add_f64 v[28:29], v[28:29], v[10:11]
	v_add_f64 v[30:31], v[30:31], v[12:13]
.LBB51_106:                             ;   in Loop: Header=BB51_12 Depth=3
	s_or_b64 exec, exec, s[28:29]
	s_or_b64 exec, exec, s[60:61]
	v_cmp_eq_u32_e32 vcc, v20, v26
	s_and_saveexec_b64 s[28:29], vcc
	s_cbranch_execnz .LBB51_82
	s_branch .LBB51_83
.LBB51_107:                             ;   in Loop: Header=BB51_12 Depth=3
	v_cmp_neq_f64_e32 vcc, 0, v[16:17]
	v_pk_mov_b32 v[14:15], 0, 0
	s_and_saveexec_b64 s[30:31], vcc
	s_cbranch_execz .LBB51_109
; %bb.108:                              ;   in Loop: Header=BB51_12 Depth=3
	v_div_scale_f64 v[14:15], s[62:63], v[12:13], v[12:13], v[10:11]
	v_rcp_f64_e32 v[16:17], v[14:15]
	v_div_scale_f64 v[36:37], vcc, v[10:11], v[12:13], v[10:11]
	v_fma_f64 v[38:39], -v[14:15], v[16:17], 1.0
	v_fmac_f64_e32 v[16:17], v[16:17], v[38:39]
	v_fma_f64 v[38:39], -v[14:15], v[16:17], 1.0
	v_fmac_f64_e32 v[16:17], v[16:17], v[38:39]
	v_mul_f64 v[38:39], v[36:37], v[16:17]
	v_fma_f64 v[14:15], -v[14:15], v[38:39], v[36:37]
	v_div_fmas_f64 v[14:15], v[14:15], v[16:17], v[38:39]
	v_div_fixup_f64 v[10:11], v[14:15], v[12:13], v[10:11]
	v_fma_f64 v[10:11], v[10:11], v[10:11], 1.0
	v_cmp_gt_f64_e32 vcc, s[86:87], v[10:11]
	v_cndmask_b32_e64 v14, 0, 1, vcc
	v_lshlrev_b32_e32 v14, 8, v14
	v_ldexp_f64 v[10:11], v[10:11], v14
	v_rsq_f64_e32 v[14:15], v[10:11]
	v_mul_f64 v[16:17], v[10:11], v[14:15]
	v_mul_f64 v[14:15], v[14:15], 0.5
	v_fma_f64 v[36:37], -v[14:15], v[16:17], 0.5
	v_fmac_f64_e32 v[16:17], v[16:17], v[36:37]
	v_fmac_f64_e32 v[14:15], v[14:15], v[36:37]
	v_fma_f64 v[36:37], -v[16:17], v[16:17], v[10:11]
	v_fmac_f64_e32 v[16:17], v[36:37], v[14:15]
	v_fma_f64 v[36:37], -v[16:17], v[16:17], v[10:11]
	v_fmac_f64_e32 v[16:17], v[36:37], v[14:15]
	v_cndmask_b32_e32 v14, 0, v50, vcc
	v_ldexp_f64 v[14:15], v[16:17], v14
	v_cmp_class_f64_e32 vcc, v[10:11], v49
	v_cndmask_b32_e32 v11, v15, v11, vcc
	v_cndmask_b32_e32 v10, v14, v10, vcc
	v_mul_f64 v[14:15], v[12:13], v[10:11]
.LBB51_109:                             ;   in Loop: Header=BB51_12 Depth=3
	s_or_b64 exec, exec, s[30:31]
                                        ; implicit-def: $vgpr10_vgpr11
                                        ; implicit-def: $vgpr12_vgpr13
	s_andn2_saveexec_b64 s[28:29], s[28:29]
	s_cbranch_execz .LBB51_43
.LBB51_110:                             ;   in Loop: Header=BB51_12 Depth=3
	v_div_scale_f64 v[14:15], s[30:31], v[10:11], v[10:11], v[12:13]
	v_rcp_f64_e32 v[16:17], v[14:15]
	v_div_scale_f64 v[36:37], vcc, v[12:13], v[10:11], v[12:13]
	v_fma_f64 v[38:39], -v[14:15], v[16:17], 1.0
	v_fmac_f64_e32 v[16:17], v[16:17], v[38:39]
	v_fma_f64 v[38:39], -v[14:15], v[16:17], 1.0
	v_fmac_f64_e32 v[16:17], v[16:17], v[38:39]
	v_mul_f64 v[38:39], v[36:37], v[16:17]
	v_fma_f64 v[14:15], -v[14:15], v[38:39], v[36:37]
	v_div_fmas_f64 v[14:15], v[14:15], v[16:17], v[38:39]
	v_div_fixup_f64 v[12:13], v[14:15], v[10:11], v[12:13]
	v_fma_f64 v[12:13], v[12:13], v[12:13], 1.0
	v_cmp_gt_f64_e32 vcc, s[86:87], v[12:13]
	v_cndmask_b32_e64 v14, 0, 1, vcc
	v_lshlrev_b32_e32 v14, 8, v14
	v_ldexp_f64 v[12:13], v[12:13], v14
	v_rsq_f64_e32 v[14:15], v[12:13]
	v_mul_f64 v[16:17], v[12:13], v[14:15]
	v_mul_f64 v[14:15], v[14:15], 0.5
	v_fma_f64 v[36:37], -v[14:15], v[16:17], 0.5
	v_fmac_f64_e32 v[16:17], v[16:17], v[36:37]
	v_fmac_f64_e32 v[14:15], v[14:15], v[36:37]
	v_fma_f64 v[36:37], -v[16:17], v[16:17], v[12:13]
	v_fmac_f64_e32 v[16:17], v[36:37], v[14:15]
	v_fma_f64 v[36:37], -v[16:17], v[16:17], v[12:13]
	v_fmac_f64_e32 v[16:17], v[36:37], v[14:15]
	v_cndmask_b32_e32 v14, 0, v50, vcc
	v_ldexp_f64 v[14:15], v[16:17], v14
	v_cmp_class_f64_e32 vcc, v[12:13], v49
	v_cndmask_b32_e32 v13, v15, v13, vcc
	v_cndmask_b32_e32 v12, v14, v12, vcc
	v_mul_f64 v[14:15], v[10:11], v[12:13]
	s_or_b64 exec, exec, s[28:29]
	v_cmp_class_f64_e64 s[30:31], v[14:15], s3
	s_and_saveexec_b64 s[28:29], s[30:31]
	s_cbranch_execnz .LBB51_44
	s_branch .LBB51_45
.LBB51_111:                             ;   in Loop: Header=BB51_12 Depth=3
	v_cmp_neq_f64_e32 vcc, 0, v[16:17]
	v_pk_mov_b32 v[14:15], 0, 0
	s_and_saveexec_b64 s[30:31], vcc
	s_cbranch_execz .LBB51_113
; %bb.112:                              ;   in Loop: Header=BB51_12 Depth=3
	v_div_scale_f64 v[14:15], s[62:63], v[12:13], v[12:13], v[10:11]
	v_rcp_f64_e32 v[16:17], v[14:15]
	v_div_scale_f64 v[36:37], vcc, v[10:11], v[12:13], v[10:11]
	v_fma_f64 v[38:39], -v[14:15], v[16:17], 1.0
	v_fmac_f64_e32 v[16:17], v[16:17], v[38:39]
	v_fma_f64 v[38:39], -v[14:15], v[16:17], 1.0
	v_fmac_f64_e32 v[16:17], v[16:17], v[38:39]
	v_mul_f64 v[38:39], v[36:37], v[16:17]
	v_fma_f64 v[14:15], -v[14:15], v[38:39], v[36:37]
	v_div_fmas_f64 v[14:15], v[14:15], v[16:17], v[38:39]
	v_div_fixup_f64 v[10:11], v[14:15], v[12:13], v[10:11]
	v_fma_f64 v[10:11], v[10:11], v[10:11], 1.0
	v_cmp_gt_f64_e32 vcc, s[86:87], v[10:11]
	v_cndmask_b32_e64 v14, 0, 1, vcc
	v_lshlrev_b32_e32 v14, 8, v14
	v_ldexp_f64 v[10:11], v[10:11], v14
	v_rsq_f64_e32 v[14:15], v[10:11]
	v_mul_f64 v[16:17], v[10:11], v[14:15]
	v_mul_f64 v[14:15], v[14:15], 0.5
	v_fma_f64 v[36:37], -v[14:15], v[16:17], 0.5
	v_fmac_f64_e32 v[16:17], v[16:17], v[36:37]
	v_fmac_f64_e32 v[14:15], v[14:15], v[36:37]
	v_fma_f64 v[36:37], -v[16:17], v[16:17], v[10:11]
	v_fmac_f64_e32 v[16:17], v[36:37], v[14:15]
	v_fma_f64 v[36:37], -v[16:17], v[16:17], v[10:11]
	v_fmac_f64_e32 v[16:17], v[36:37], v[14:15]
	v_cndmask_b32_e32 v14, 0, v50, vcc
	v_ldexp_f64 v[14:15], v[16:17], v14
	v_cmp_class_f64_e32 vcc, v[10:11], v49
	v_cndmask_b32_e32 v11, v15, v11, vcc
	v_cndmask_b32_e32 v10, v14, v10, vcc
	v_mul_f64 v[14:15], v[12:13], v[10:11]
.LBB51_113:                             ;   in Loop: Header=BB51_12 Depth=3
	s_or_b64 exec, exec, s[30:31]
                                        ; implicit-def: $vgpr10_vgpr11
                                        ; implicit-def: $vgpr12_vgpr13
	s_andn2_saveexec_b64 s[28:29], s[28:29]
	s_cbranch_execz .LBB51_73
.LBB51_114:                             ;   in Loop: Header=BB51_12 Depth=3
	v_div_scale_f64 v[14:15], s[30:31], v[10:11], v[10:11], v[12:13]
	v_rcp_f64_e32 v[16:17], v[14:15]
	v_div_scale_f64 v[36:37], vcc, v[12:13], v[10:11], v[12:13]
	v_fma_f64 v[38:39], -v[14:15], v[16:17], 1.0
	v_fmac_f64_e32 v[16:17], v[16:17], v[38:39]
	v_fma_f64 v[38:39], -v[14:15], v[16:17], 1.0
	v_fmac_f64_e32 v[16:17], v[16:17], v[38:39]
	v_mul_f64 v[38:39], v[36:37], v[16:17]
	v_fma_f64 v[14:15], -v[14:15], v[38:39], v[36:37]
	v_div_fmas_f64 v[14:15], v[14:15], v[16:17], v[38:39]
	v_div_fixup_f64 v[12:13], v[14:15], v[10:11], v[12:13]
	v_fma_f64 v[12:13], v[12:13], v[12:13], 1.0
	v_cmp_gt_f64_e32 vcc, s[86:87], v[12:13]
	v_cndmask_b32_e64 v14, 0, 1, vcc
	v_lshlrev_b32_e32 v14, 8, v14
	v_ldexp_f64 v[12:13], v[12:13], v14
	v_rsq_f64_e32 v[14:15], v[12:13]
	v_mul_f64 v[16:17], v[12:13], v[14:15]
	v_mul_f64 v[14:15], v[14:15], 0.5
	v_fma_f64 v[36:37], -v[14:15], v[16:17], 0.5
	v_fmac_f64_e32 v[16:17], v[16:17], v[36:37]
	v_fmac_f64_e32 v[14:15], v[14:15], v[36:37]
	v_fma_f64 v[36:37], -v[16:17], v[16:17], v[12:13]
	v_fmac_f64_e32 v[16:17], v[36:37], v[14:15]
	v_fma_f64 v[36:37], -v[16:17], v[16:17], v[12:13]
	v_fmac_f64_e32 v[16:17], v[36:37], v[14:15]
	v_cndmask_b32_e32 v14, 0, v50, vcc
	v_ldexp_f64 v[14:15], v[16:17], v14
	v_cmp_class_f64_e32 vcc, v[12:13], v49
	v_cndmask_b32_e32 v13, v15, v13, vcc
	v_cndmask_b32_e32 v12, v14, v12, vcc
	v_mul_f64 v[14:15], v[10:11], v[12:13]
	s_or_b64 exec, exec, s[28:29]
	v_cmp_class_f64_e64 s[30:31], v[14:15], s3
	s_and_saveexec_b64 s[28:29], s[30:31]
	s_cbranch_execnz .LBB51_74
	s_branch .LBB51_75
.LBB51_115:                             ;   in Loop: Header=BB51_12 Depth=3
	v_cmp_neq_f64_e32 vcc, 0, v[16:17]
	v_pk_mov_b32 v[14:15], 0, 0
	s_and_saveexec_b64 s[30:31], vcc
	s_cbranch_execz .LBB51_117
; %bb.116:                              ;   in Loop: Header=BB51_12 Depth=3
	v_div_scale_f64 v[14:15], s[76:77], v[12:13], v[12:13], v[10:11]
	v_rcp_f64_e32 v[16:17], v[14:15]
	v_div_scale_f64 v[36:37], vcc, v[10:11], v[12:13], v[10:11]
	v_fma_f64 v[38:39], -v[14:15], v[16:17], 1.0
	v_fmac_f64_e32 v[16:17], v[16:17], v[38:39]
	v_fma_f64 v[38:39], -v[14:15], v[16:17], 1.0
	v_fmac_f64_e32 v[16:17], v[16:17], v[38:39]
	v_mul_f64 v[38:39], v[36:37], v[16:17]
	v_fma_f64 v[14:15], -v[14:15], v[38:39], v[36:37]
	v_div_fmas_f64 v[14:15], v[14:15], v[16:17], v[38:39]
	v_div_fixup_f64 v[10:11], v[14:15], v[12:13], v[10:11]
	v_fma_f64 v[10:11], v[10:11], v[10:11], 1.0
	v_cmp_gt_f64_e32 vcc, s[86:87], v[10:11]
	v_cndmask_b32_e64 v14, 0, 1, vcc
	v_lshlrev_b32_e32 v14, 8, v14
	v_ldexp_f64 v[10:11], v[10:11], v14
	v_rsq_f64_e32 v[14:15], v[10:11]
	v_mul_f64 v[16:17], v[10:11], v[14:15]
	v_mul_f64 v[14:15], v[14:15], 0.5
	v_fma_f64 v[36:37], -v[14:15], v[16:17], 0.5
	v_fmac_f64_e32 v[16:17], v[16:17], v[36:37]
	v_fmac_f64_e32 v[14:15], v[14:15], v[36:37]
	v_fma_f64 v[36:37], -v[16:17], v[16:17], v[10:11]
	v_fmac_f64_e32 v[16:17], v[36:37], v[14:15]
	v_fma_f64 v[36:37], -v[16:17], v[16:17], v[10:11]
	v_fmac_f64_e32 v[16:17], v[36:37], v[14:15]
	v_cndmask_b32_e32 v14, 0, v50, vcc
	v_ldexp_f64 v[14:15], v[16:17], v14
	v_cmp_class_f64_e32 vcc, v[10:11], v49
	v_cndmask_b32_e32 v11, v15, v11, vcc
	v_cndmask_b32_e32 v10, v14, v10, vcc
	v_mul_f64 v[14:15], v[12:13], v[10:11]
.LBB51_117:                             ;   in Loop: Header=BB51_12 Depth=3
	s_or_b64 exec, exec, s[30:31]
                                        ; implicit-def: $vgpr10_vgpr11
                                        ; implicit-def: $vgpr12_vgpr13
	s_andn2_saveexec_b64 s[28:29], s[28:29]
	s_cbranch_execz .LBB51_57
.LBB51_118:                             ;   in Loop: Header=BB51_12 Depth=3
	v_div_scale_f64 v[14:15], s[30:31], v[10:11], v[10:11], v[12:13]
	v_rcp_f64_e32 v[16:17], v[14:15]
	v_div_scale_f64 v[36:37], vcc, v[12:13], v[10:11], v[12:13]
	v_fma_f64 v[38:39], -v[14:15], v[16:17], 1.0
	v_fmac_f64_e32 v[16:17], v[16:17], v[38:39]
	v_fma_f64 v[38:39], -v[14:15], v[16:17], 1.0
	v_fmac_f64_e32 v[16:17], v[16:17], v[38:39]
	v_mul_f64 v[38:39], v[36:37], v[16:17]
	v_fma_f64 v[14:15], -v[14:15], v[38:39], v[36:37]
	v_div_fmas_f64 v[14:15], v[14:15], v[16:17], v[38:39]
	v_div_fixup_f64 v[12:13], v[14:15], v[10:11], v[12:13]
	v_fma_f64 v[12:13], v[12:13], v[12:13], 1.0
	v_cmp_gt_f64_e32 vcc, s[86:87], v[12:13]
	v_cndmask_b32_e64 v14, 0, 1, vcc
	v_lshlrev_b32_e32 v14, 8, v14
	v_ldexp_f64 v[12:13], v[12:13], v14
	v_rsq_f64_e32 v[14:15], v[12:13]
	v_mul_f64 v[16:17], v[12:13], v[14:15]
	v_mul_f64 v[14:15], v[14:15], 0.5
	v_fma_f64 v[36:37], -v[14:15], v[16:17], 0.5
	v_fmac_f64_e32 v[16:17], v[16:17], v[36:37]
	v_fmac_f64_e32 v[14:15], v[14:15], v[36:37]
	v_fma_f64 v[36:37], -v[16:17], v[16:17], v[12:13]
	v_fmac_f64_e32 v[16:17], v[36:37], v[14:15]
	v_fma_f64 v[36:37], -v[16:17], v[16:17], v[12:13]
	v_fmac_f64_e32 v[16:17], v[36:37], v[14:15]
	v_cndmask_b32_e32 v14, 0, v50, vcc
	v_ldexp_f64 v[14:15], v[16:17], v14
	v_cmp_class_f64_e32 vcc, v[12:13], v49
	v_cndmask_b32_e32 v13, v15, v13, vcc
	v_cndmask_b32_e32 v12, v14, v12, vcc
	v_mul_f64 v[14:15], v[10:11], v[12:13]
	s_or_b64 exec, exec, s[28:29]
	v_cmp_class_f64_e64 s[30:31], v[14:15], s3
	s_and_saveexec_b64 s[28:29], s[30:31]
	s_cbranch_execnz .LBB51_58
	s_branch .LBB51_59
.LBB51_119:                             ;   in Loop: Header=BB51_3 Depth=1
	s_and_b64 vcc, exec, s[34:35]
	s_cbranch_vccz .LBB51_139
; %bb.120:                              ;   in Loop: Header=BB51_3 Depth=1
	v_mov_b32_dpp v6, v4 row_shr:1 row_mask:0xf bank_mask:0xf
	v_mov_b32_dpp v7, v5 row_shr:1 row_mask:0xf bank_mask:0xf
	v_cmp_lt_f64_e32 vcc, v[4:5], v[6:7]
	v_cndmask_b32_e32 v5, v5, v7, vcc
	v_cndmask_b32_e32 v4, v4, v6, vcc
	s_nop 0
	v_mov_b32_dpp v7, v5 row_shr:2 row_mask:0xf bank_mask:0xf
	v_mov_b32_dpp v6, v4 row_shr:2 row_mask:0xf bank_mask:0xf
	s_mov_b64 s[22:23], exec
	v_readlane_b32 s4, v62, 18
	v_readlane_b32 s5, v62, 19
	s_and_b64 s[4:5], s[22:23], s[4:5]
	s_mov_b64 exec, s[4:5]
	s_cbranch_execz .LBB51_122
; %bb.121:                              ;   in Loop: Header=BB51_3 Depth=1
	v_cmp_lt_f64_e32 vcc, v[4:5], v[6:7]
	v_cndmask_b32_e32 v5, v5, v7, vcc
	v_cndmask_b32_e32 v4, v4, v6, vcc
	ds_write_b64 v46, v[4:5]
.LBB51_122:                             ;   in Loop: Header=BB51_3 Depth=1
	s_or_b64 exec, exec, s[22:23]
	s_waitcnt lgkmcnt(0)
	s_barrier
	s_mov_b64 s[22:23], exec
	v_readlane_b32 s4, v62, 20
	v_readlane_b32 s5, v62, 21
	s_and_b64 s[4:5], s[22:23], s[4:5]
	s_mov_b64 exec, s[4:5]
	s_cbranch_execz .LBB51_124
; %bb.123:                              ;   in Loop: Header=BB51_3 Depth=1
	ds_read2st64_b64 v[4:7], v44 offset1:2
	s_waitcnt lgkmcnt(0)
	v_cmp_lt_f64_e32 vcc, v[4:5], v[6:7]
	v_cndmask_b32_e32 v5, v5, v7, vcc
	v_cndmask_b32_e32 v4, v4, v6, vcc
	ds_write_b64 v44, v[4:5]
.LBB51_124:                             ;   in Loop: Header=BB51_3 Depth=1
	s_or_b64 exec, exec, s[22:23]
	s_waitcnt lgkmcnt(0)
	s_barrier
	s_and_saveexec_b64 s[22:23], s[6:7]
	s_cbranch_execz .LBB51_126
; %bb.125:                              ;   in Loop: Header=BB51_3 Depth=1
	ds_read2st64_b64 v[4:7], v44 offset1:1
	s_waitcnt lgkmcnt(0)
	v_cmp_lt_f64_e32 vcc, v[4:5], v[6:7]
	v_cndmask_b32_e32 v5, v5, v7, vcc
	v_cndmask_b32_e32 v4, v4, v6, vcc
	ds_write_b64 v44, v[4:5]
.LBB51_126:                             ;   in Loop: Header=BB51_3 Depth=1
	s_or_b64 exec, exec, s[22:23]
	s_waitcnt lgkmcnt(0)
	s_barrier
	s_and_saveexec_b64 s[22:23], s[8:9]
	s_cbranch_execz .LBB51_128
; %bb.127:                              ;   in Loop: Header=BB51_3 Depth=1
	ds_read2_b64 v[4:7], v44 offset1:32
	s_waitcnt lgkmcnt(0)
	v_cmp_lt_f64_e32 vcc, v[4:5], v[6:7]
	v_cndmask_b32_e32 v5, v5, v7, vcc
	v_cndmask_b32_e32 v4, v4, v6, vcc
	ds_write_b64 v44, v[4:5]
.LBB51_128:                             ;   in Loop: Header=BB51_3 Depth=1
	s_or_b64 exec, exec, s[22:23]
	s_waitcnt lgkmcnt(0)
	s_barrier
	s_and_saveexec_b64 s[22:23], s[10:11]
	s_cbranch_execz .LBB51_130
; %bb.129:                              ;   in Loop: Header=BB51_3 Depth=1
	ds_read2_b64 v[4:7], v44 offset1:16
	s_waitcnt lgkmcnt(0)
	v_cmp_lt_f64_e32 vcc, v[4:5], v[6:7]
	v_cndmask_b32_e32 v5, v5, v7, vcc
	v_cndmask_b32_e32 v4, v4, v6, vcc
	ds_write_b64 v44, v[4:5]
.LBB51_130:                             ;   in Loop: Header=BB51_3 Depth=1
	;; [unrolled: 13-line block ×5, first 2 shown]
	s_or_b64 exec, exec, s[22:23]
	s_waitcnt lgkmcnt(0)
	s_barrier
	s_and_saveexec_b64 s[22:23], s[18:19]
	s_cbranch_execz .LBB51_138
; %bb.137:                              ;   in Loop: Header=BB51_3 Depth=1
	ds_read_b128 v[4:7], v19
	s_waitcnt lgkmcnt(0)
	v_cmp_lt_f64_e32 vcc, v[4:5], v[6:7]
	v_cndmask_b32_e32 v5, v5, v7, vcc
	v_cndmask_b32_e32 v4, v4, v6, vcc
	ds_write_b64 v19, v[4:5]
.LBB51_138:                             ;   in Loop: Header=BB51_3 Depth=1
	s_or_b64 exec, exec, s[22:23]
	v_readlane_b32 s4, v62, 12
	v_readlane_b32 s5, v62, 13
	s_waitcnt lgkmcnt(0)
	s_barrier
	ds_read_b64 v[4:5], v19
	s_load_dwordx2 s[4:5], s[4:5], 0x0
	s_waitcnt lgkmcnt(0)
	v_div_scale_f64 v[6:7], s[22:23], s[4:5], s[4:5], v[4:5]
	v_rcp_f64_e32 v[8:9], v[6:7]
	v_div_scale_f64 v[10:11], vcc, v[4:5], s[4:5], v[4:5]
	v_fma_f64 v[12:13], -v[6:7], v[8:9], 1.0
	v_fmac_f64_e32 v[8:9], v[8:9], v[12:13]
	v_fma_f64 v[12:13], -v[6:7], v[8:9], 1.0
	v_fmac_f64_e32 v[8:9], v[8:9], v[12:13]
	v_mul_f64 v[12:13], v[10:11], v[8:9]
	v_fma_f64 v[6:7], -v[6:7], v[12:13], v[10:11]
	v_div_fmas_f64 v[6:7], v[6:7], v[8:9], v[12:13]
	v_div_fixup_f64 v[4:5], v[6:7], s[4:5], v[4:5]
.LBB51_139:                             ;   in Loop: Header=BB51_3 Depth=1
	s_andn2_b64 vcc, exec, s[26:27]
	s_cbranch_vccnz .LBB51_159
; %bb.140:                              ;   in Loop: Header=BB51_3 Depth=1
	v_mov_b32_dpp v6, v2 row_shr:1 row_mask:0xf bank_mask:0xf
	v_mov_b32_dpp v7, v3 row_shr:1 row_mask:0xf bank_mask:0xf
	v_cmp_lt_f64_e32 vcc, v[2:3], v[6:7]
	v_cndmask_b32_e32 v3, v3, v7, vcc
	v_cndmask_b32_e32 v2, v2, v6, vcc
	s_nop 0
	v_mov_b32_dpp v7, v3 row_shr:2 row_mask:0xf bank_mask:0xf
	v_mov_b32_dpp v6, v2 row_shr:2 row_mask:0xf bank_mask:0xf
	s_mov_b64 s[22:23], exec
	v_readlane_b32 s4, v62, 18
	v_readlane_b32 s5, v62, 19
	s_and_b64 s[4:5], s[22:23], s[4:5]
	s_mov_b64 exec, s[4:5]
	s_cbranch_execz .LBB51_142
; %bb.141:                              ;   in Loop: Header=BB51_3 Depth=1
	v_cmp_lt_f64_e32 vcc, v[2:3], v[6:7]
	v_cndmask_b32_e32 v3, v3, v7, vcc
	v_cndmask_b32_e32 v2, v2, v6, vcc
	ds_write_b64 v46, v[2:3]
.LBB51_142:                             ;   in Loop: Header=BB51_3 Depth=1
	s_or_b64 exec, exec, s[22:23]
	s_waitcnt lgkmcnt(0)
	s_barrier
	s_mov_b64 s[22:23], exec
	v_readlane_b32 s4, v62, 20
	v_readlane_b32 s5, v62, 21
	s_and_b64 s[4:5], s[22:23], s[4:5]
	s_mov_b64 exec, s[4:5]
	s_cbranch_execz .LBB51_144
; %bb.143:                              ;   in Loop: Header=BB51_3 Depth=1
	ds_read2st64_b64 v[6:9], v44 offset1:2
	s_waitcnt lgkmcnt(0)
	v_cmp_lt_f64_e32 vcc, v[6:7], v[8:9]
	v_cndmask_b32_e32 v3, v7, v9, vcc
	v_cndmask_b32_e32 v2, v6, v8, vcc
	ds_write_b64 v44, v[2:3]
.LBB51_144:                             ;   in Loop: Header=BB51_3 Depth=1
	s_or_b64 exec, exec, s[22:23]
	s_waitcnt lgkmcnt(0)
	s_barrier
	s_and_saveexec_b64 s[22:23], s[6:7]
	s_cbranch_execz .LBB51_146
; %bb.145:                              ;   in Loop: Header=BB51_3 Depth=1
	ds_read2st64_b64 v[6:9], v44 offset1:1
	s_waitcnt lgkmcnt(0)
	v_cmp_lt_f64_e32 vcc, v[6:7], v[8:9]
	v_cndmask_b32_e32 v3, v7, v9, vcc
	v_cndmask_b32_e32 v2, v6, v8, vcc
	ds_write_b64 v44, v[2:3]
.LBB51_146:                             ;   in Loop: Header=BB51_3 Depth=1
	s_or_b64 exec, exec, s[22:23]
	s_waitcnt lgkmcnt(0)
	s_barrier
	s_and_saveexec_b64 s[22:23], s[8:9]
	s_cbranch_execz .LBB51_148
; %bb.147:                              ;   in Loop: Header=BB51_3 Depth=1
	ds_read2_b64 v[6:9], v44 offset1:32
	s_waitcnt lgkmcnt(0)
	v_cmp_lt_f64_e32 vcc, v[6:7], v[8:9]
	v_cndmask_b32_e32 v3, v7, v9, vcc
	v_cndmask_b32_e32 v2, v6, v8, vcc
	ds_write_b64 v44, v[2:3]
.LBB51_148:                             ;   in Loop: Header=BB51_3 Depth=1
	s_or_b64 exec, exec, s[22:23]
	s_waitcnt lgkmcnt(0)
	s_barrier
	s_and_saveexec_b64 s[22:23], s[10:11]
	s_cbranch_execz .LBB51_150
; %bb.149:                              ;   in Loop: Header=BB51_3 Depth=1
	ds_read2_b64 v[6:9], v44 offset1:16
	s_waitcnt lgkmcnt(0)
	v_cmp_lt_f64_e32 vcc, v[6:7], v[8:9]
	v_cndmask_b32_e32 v3, v7, v9, vcc
	v_cndmask_b32_e32 v2, v6, v8, vcc
	ds_write_b64 v44, v[2:3]
.LBB51_150:                             ;   in Loop: Header=BB51_3 Depth=1
	;; [unrolled: 13-line block ×5, first 2 shown]
	s_or_b64 exec, exec, s[22:23]
	s_waitcnt lgkmcnt(0)
	s_barrier
	s_and_saveexec_b64 s[22:23], s[18:19]
	s_cbranch_execz .LBB51_158
; %bb.157:                              ;   in Loop: Header=BB51_3 Depth=1
	ds_read_b128 v[6:9], v19
	s_waitcnt lgkmcnt(0)
	v_cmp_lt_f64_e32 vcc, v[6:7], v[8:9]
	v_cndmask_b32_e32 v3, v7, v9, vcc
	v_cndmask_b32_e32 v2, v6, v8, vcc
	ds_write_b64 v19, v[2:3]
.LBB51_158:                             ;   in Loop: Header=BB51_3 Depth=1
	s_or_b64 exec, exec, s[22:23]
	v_readlane_b32 s4, v62, 12
	v_readlane_b32 s5, v62, 13
	s_waitcnt lgkmcnt(0)
	s_barrier
	ds_read_b64 v[2:3], v19
	s_load_dwordx2 s[4:5], s[4:5], 0x0
	s_waitcnt lgkmcnt(0)
	v_div_scale_f64 v[6:7], s[22:23], s[4:5], s[4:5], v[2:3]
	v_rcp_f64_e32 v[8:9], v[6:7]
	v_div_scale_f64 v[10:11], vcc, v[2:3], s[4:5], v[2:3]
	v_fma_f64 v[12:13], -v[6:7], v[8:9], 1.0
	v_fmac_f64_e32 v[8:9], v[8:9], v[12:13]
	v_fma_f64 v[12:13], -v[6:7], v[8:9], 1.0
	v_fmac_f64_e32 v[8:9], v[8:9], v[12:13]
	v_mul_f64 v[12:13], v[10:11], v[8:9]
	v_fma_f64 v[6:7], -v[6:7], v[12:13], v[10:11]
	v_div_fmas_f64 v[6:7], v[6:7], v[8:9], v[12:13]
	v_div_fixup_f64 v[2:3], v[6:7], s[4:5], v[2:3]
.LBB51_159:                             ;   in Loop: Header=BB51_3 Depth=1
	s_mov_b64 s[22:23], exec
	v_readlane_b32 s4, v62, 16
	v_readlane_b32 s5, v62, 17
	s_and_b64 s[4:5], s[22:23], s[4:5]
	s_mov_b64 exec, s[4:5]
	s_cbranch_execz .LBB51_171
; %bb.160:                              ;   in Loop: Header=BB51_3 Depth=1
	s_mov_b64 s[24:25], 0
	v_mov_b32_e32 v6, v43
	s_branch .LBB51_162
.LBB51_161:                             ;   in Loop: Header=BB51_162 Depth=2
	s_or_b64 exec, exec, s[60:61]
	v_add_u32_e32 v6, 0x100, v6
	v_cmp_le_u32_e32 vcc, s2, v6
	s_or_b64 s[24:25], vcc, s[24:25]
	s_andn2_b64 exec, exec, s[24:25]
	s_cbranch_execz .LBB51_171
.LBB51_162:                             ;   Parent Loop BB51_3 Depth=1
                                        ; =>  This Loop Header: Depth=2
                                        ;       Child Loop BB51_165 Depth 3
                                        ;       Child Loop BB51_168 Depth 3
	v_cmp_gt_i32_e32 vcc, s33, v6
	s_and_saveexec_b64 s[60:61], vcc
	s_cbranch_execz .LBB51_161
; %bb.163:                              ;   in Loop: Header=BB51_162 Depth=2
	v_ashrrev_i32_e32 v7, 31, v6
	v_lshlrev_b64 v[8:9], 2, v[6:7]
	v_mov_b32_e32 v11, s45
	v_add_co_u32_e32 v10, vcc, s44, v8
	v_addc_co_u32_e32 v11, vcc, v11, v9, vcc
	global_load_dword v12, v[10:11], off
	v_mov_b32_e32 v11, s47
	v_add_co_u32_e32 v10, vcc, s46, v8
	v_addc_co_u32_e32 v11, vcc, v11, v9, vcc
	global_load_dword v11, v[10:11], off
	s_waitcnt vmcnt(1)
	v_add_u32_e32 v10, v47, v12
	s_waitcnt vmcnt(0)
	v_subrev_u32_e32 v16, s0, v11
	v_cmp_lt_i32_e32 vcc, v10, v16
	s_and_saveexec_b64 s[28:29], vcc
	s_cbranch_execz .LBB51_166
; %bb.164:                              ;   in Loop: Header=BB51_162 Depth=2
	v_ashrrev_i32_e32 v11, 31, v10
	v_lshlrev_b64 v[14:15], 4, v[10:11]
	v_mov_b32_e32 v11, s51
	v_add_co_u32_e32 v12, vcc, s50, v14
	v_addc_co_u32_e32 v13, vcc, v11, v15, vcc
	v_mov_b32_e32 v11, s81
	v_add_co_u32_e32 v14, vcc, s80, v14
	v_addc_co_u32_e32 v15, vcc, v11, v15, vcc
	s_mov_b64 s[30:31], 0
.LBB51_165:                             ;   Parent Loop BB51_3 Depth=1
                                        ;     Parent Loop BB51_162 Depth=2
                                        ; =>    This Inner Loop Header: Depth=3
	global_load_dwordx4 v[20:23], v[14:15], off
	v_add_co_u32_e32 v14, vcc, 64, v14
	v_add_u32_e32 v10, 4, v10
	v_addc_co_u32_e32 v15, vcc, 0, v15, vcc
	v_cmp_ge_i32_e32 vcc, v10, v16
	s_or_b64 s[30:31], vcc, s[30:31]
	s_waitcnt vmcnt(0)
	global_store_dwordx4 v[12:13], v[20:23], off
	v_add_co_u32_e32 v12, vcc, 64, v12
	v_addc_co_u32_e32 v13, vcc, 0, v13, vcc
	s_andn2_b64 exec, exec, s[30:31]
	s_cbranch_execnz .LBB51_165
.LBB51_166:                             ;   in Loop: Header=BB51_162 Depth=2
	s_or_b64 exec, exec, s[28:29]
	v_mov_b32_e32 v11, s37
	v_add_co_u32_e32 v10, vcc, s36, v8
	v_addc_co_u32_e32 v11, vcc, v11, v9, vcc
	global_load_dword v10, v[10:11], off
	v_mov_b32_e32 v11, s39
	v_add_co_u32_e32 v8, vcc, s38, v8
	v_addc_co_u32_e32 v9, vcc, v11, v9, vcc
	global_load_dword v9, v[8:9], off
	s_waitcnt vmcnt(1)
	v_add_u32_e32 v8, v48, v10
	s_waitcnt vmcnt(0)
	v_subrev_u32_e32 v14, s1, v9
	v_cmp_lt_i32_e32 vcc, v8, v14
	s_and_saveexec_b64 s[28:29], vcc
	s_cbranch_execz .LBB51_169
; %bb.167:                              ;   in Loop: Header=BB51_162 Depth=2
	v_ashrrev_i32_e32 v9, 31, v8
	v_lshlrev_b64 v[12:13], 4, v[8:9]
	v_mov_b32_e32 v9, s43
	v_add_co_u32_e32 v10, vcc, s42, v12
	v_addc_co_u32_e32 v11, vcc, v9, v13, vcc
	v_mov_b32_e32 v9, s83
	v_add_co_u32_e32 v12, vcc, s82, v12
	v_addc_co_u32_e32 v13, vcc, v9, v13, vcc
	s_mov_b64 s[30:31], 0
.LBB51_168:                             ;   Parent Loop BB51_3 Depth=1
                                        ;     Parent Loop BB51_162 Depth=2
                                        ; =>    This Inner Loop Header: Depth=3
	global_load_dwordx4 v[20:23], v[12:13], off
	v_add_co_u32_e32 v12, vcc, 64, v12
	v_add_u32_e32 v8, 4, v8
	v_addc_co_u32_e32 v13, vcc, 0, v13, vcc
	v_cmp_ge_i32_e32 vcc, v8, v14
	s_or_b64 s[30:31], vcc, s[30:31]
	s_waitcnt vmcnt(0)
	global_store_dwordx4 v[10:11], v[20:23], off
	v_add_co_u32_e32 v10, vcc, 64, v10
	v_addc_co_u32_e32 v11, vcc, 0, v11, vcc
	s_andn2_b64 exec, exec, s[30:31]
	s_cbranch_execnz .LBB51_168
.LBB51_169:                             ;   in Loop: Header=BB51_162 Depth=2
	s_or_b64 exec, exec, s[28:29]
	s_and_b64 exec, exec, s[20:21]
	s_cbranch_execz .LBB51_161
; %bb.170:                              ;   in Loop: Header=BB51_162 Depth=2
	v_lshlrev_b64 v[12:13], 4, v[6:7]
	v_mov_b32_e32 v7, s67
	v_add_co_u32_e32 v8, vcc, s66, v12
	v_addc_co_u32_e32 v9, vcc, v7, v13, vcc
	global_load_dwordx4 v[8:11], v[8:9], off
	v_mov_b32_e32 v7, s65
	v_add_co_u32_e32 v12, vcc, s64, v12
	v_addc_co_u32_e32 v13, vcc, v7, v13, vcc
	s_waitcnt vmcnt(0)
	global_store_dwordx4 v[12:13], v[8:11], off
	s_branch .LBB51_161
.LBB51_171:                             ;   in Loop: Header=BB51_3 Depth=1
	s_or_b64 exec, exec, s[22:23]
	s_mov_b64 s[24:25], -1
	s_mov_b64 s[22:23], -1
	s_and_b64 vcc, exec, s[68:69]
	s_cbranch_vccz .LBB51_181
; %bb.172:                              ;   in Loop: Header=BB51_3 Depth=1
	v_readlane_b32 s4, v62, 22
	v_readlane_b32 s5, v62, 23
	s_and_b64 vcc, exec, s[4:5]
                                        ; implicit-def: $sgpr28_sgpr29
	s_cbranch_vccz .LBB51_178
; %bb.173:                              ;   in Loop: Header=BB51_3 Depth=1
	v_readlane_b32 s4, v62, 14
	v_readlane_b32 s5, v62, 15
	s_and_b64 vcc, exec, s[4:5]
                                        ; implicit-def: $sgpr28_sgpr29
	s_cbranch_vccz .LBB51_175
; %bb.174:                              ;   in Loop: Header=BB51_3 Depth=1
	v_readlane_b32 s28, v62, 0
	v_readlane_b32 s30, v62, 2
	;; [unrolled: 1-line block ×4, first 2 shown]
	v_cmp_ge_f64_e32 vcc, s[30:31], v[2:3]
	s_mov_b64 s[22:23], 0
	s_and_b64 s[28:29], vcc, exec
.LBB51_175:                             ;   in Loop: Header=BB51_3 Depth=1
	s_andn2_b64 vcc, exec, s[22:23]
	s_cbranch_vccnz .LBB51_177
; %bb.176:                              ;   in Loop: Header=BB51_3 Depth=1
	v_readlane_b32 s60, v62, 0
	v_readlane_b32 s62, v62, 2
	;; [unrolled: 1-line block ×3, first 2 shown]
	v_cmp_ge_f64_e32 vcc, s[62:63], v[4:5]
	s_andn2_b64 s[4:5], s[28:29], exec
	s_and_b64 s[22:23], vcc, exec
	s_or_b64 s[28:29], s[4:5], s[22:23]
	v_readlane_b32 s61, v62, 1
.LBB51_177:                             ;   in Loop: Header=BB51_3 Depth=1
	s_mov_b64 s[22:23], 0
.LBB51_178:                             ;   in Loop: Header=BB51_3 Depth=1
	s_andn2_b64 vcc, exec, s[22:23]
	s_cbranch_vccnz .LBB51_180
; %bb.179:                              ;   in Loop: Header=BB51_3 Depth=1
	v_readlane_b32 s60, v62, 0
	v_readlane_b32 s62, v62, 2
	v_readlane_b32 s63, v62, 3
	v_cmp_ge_f64_e32 vcc, s[62:63], v[4:5]
	v_cmp_ge_f64_e64 s[22:23], s[62:63], v[2:3]
	s_and_b64 s[4:5], vcc, s[22:23]
	s_andn2_b64 s[22:23], s[28:29], exec
	s_and_b64 s[4:5], s[4:5], exec
	s_or_b64 s[28:29], s[22:23], s[4:5]
	v_readlane_b32 s61, v62, 1
.LBB51_180:                             ;   in Loop: Header=BB51_3 Depth=1
	s_xor_b64 s[22:23], s[28:29], -1
.LBB51_181:                             ;   in Loop: Header=BB51_3 Depth=1
	v_mov_b32_e32 v6, s70
	s_and_saveexec_b64 s[28:29], s[22:23]
	s_cbranch_execz .LBB51_2
; %bb.182:                              ;   in Loop: Header=BB51_3 Depth=1
	v_readlane_b32 s4, v62, 4
	s_add_i32 s70, s70, 1
	v_readlane_b32 s5, v62, 5
	s_cmp_eq_u32 s70, s5
	s_mov_b32 s23, s5
	s_cselect_b64 s[4:5], -1, 0
	v_mov_b32_e32 v6, s23
	s_orn2_b64 s[24:25], s[4:5], exec
	s_branch .LBB51_2
.LBB51_183:
	s_or_b64 exec, exec, s[74:75]
	v_readlane_b32 s20, v62, 8
	v_readlane_b32 s21, v62, 9
	;; [unrolled: 1-line block ×4, first 2 shown]
.LBB51_184:
	v_readlane_b32 s0, v62, 6
	v_readlane_b32 s1, v62, 7
	s_or_b64 exec, exec, s[0:1]
	s_andn2_b64 vcc, exec, s[68:69]
	s_cbranch_vccnz .LBB51_207
; %bb.185:
	v_mov_b32_dpp v7, v6 row_shr:1 row_mask:0xf bank_mask:0xf
	v_max_i32_e32 v6, v6, v7
	v_cmp_eq_u32_e32 vcc, 3, v42
	s_nop 0
	v_mov_b32_dpp v7, v6 row_shr:2 row_mask:0xf bank_mask:0xf
	s_and_saveexec_b64 s[0:1], vcc
	s_cbranch_execz .LBB51_187
; %bb.186:
	v_lshlrev_b32_e32 v1, 2, v1
	v_max_i32_e32 v6, v6, v7
	ds_write_b32 v1, v6 offset:2048
.LBB51_187:
	s_or_b64 exec, exec, s[0:1]
	s_movk_i32 s0, 0x80
	v_cmp_gt_u32_e32 vcc, s0, v0
	v_lshlrev_b32_e32 v1, 2, v0
	s_waitcnt lgkmcnt(0)
	s_barrier
	s_and_saveexec_b64 s[0:1], vcc
	s_cbranch_execz .LBB51_189
; %bb.188:
	ds_read2st64_b32 v[6:7], v1 offset0:8 offset1:10
	s_waitcnt lgkmcnt(0)
	v_max_i32_e32 v6, v6, v7
	ds_write_b32 v1, v6 offset:2048
.LBB51_189:
	s_or_b64 exec, exec, s[0:1]
	v_cmp_gt_u32_e32 vcc, 64, v0
	s_waitcnt lgkmcnt(0)
	s_barrier
	s_and_saveexec_b64 s[0:1], vcc
	s_cbranch_execz .LBB51_191
; %bb.190:
	ds_read2st64_b32 v[6:7], v1 offset0:8 offset1:9
	s_waitcnt lgkmcnt(0)
	v_max_i32_e32 v6, v6, v7
	ds_write_b32 v1, v6 offset:2048
.LBB51_191:
	s_or_b64 exec, exec, s[0:1]
	v_cmp_gt_u32_e32 vcc, 32, v0
	s_waitcnt lgkmcnt(0)
	s_barrier
	s_and_saveexec_b64 s[0:1], vcc
	s_cbranch_execz .LBB51_193
; %bb.192:
	v_add_u32_e32 v6, 0x800, v1
	ds_read2_b32 v[6:7], v6 offset1:32
	s_waitcnt lgkmcnt(0)
	v_max_i32_e32 v6, v6, v7
	ds_write_b32 v1, v6 offset:2048
.LBB51_193:
	s_or_b64 exec, exec, s[0:1]
	v_cmp_gt_u32_e32 vcc, 16, v0
	s_waitcnt lgkmcnt(0)
	s_barrier
	s_and_saveexec_b64 s[0:1], vcc
	s_cbranch_execz .LBB51_195
; %bb.194:
	v_add_u32_e32 v6, 0x800, v1
	ds_read2_b32 v[6:7], v6 offset1:16
	s_waitcnt lgkmcnt(0)
	v_max_i32_e32 v6, v6, v7
	ds_write_b32 v1, v6 offset:2048
.LBB51_195:
	;; [unrolled: 13-line block ×5, first 2 shown]
	s_or_b64 exec, exec, s[0:1]
	v_cmp_eq_u32_e32 vcc, 0, v0
	s_waitcnt lgkmcnt(0)
	s_barrier
	s_and_saveexec_b64 s[0:1], vcc
	s_cbranch_execz .LBB51_203
; %bb.202:
	v_mov_b32_e32 v1, 0
	ds_read_b64 v[6:7], v1 offset:2048
	s_waitcnt lgkmcnt(0)
	v_max_i32_e32 v6, v6, v7
	ds_write_b32 v1, v6 offset:2048
.LBB51_203:
	s_or_b64 exec, exec, s[0:1]
	s_waitcnt lgkmcnt(0)
	s_barrier
	s_and_saveexec_b64 s[0:1], vcc
	s_cbranch_execz .LBB51_206
; %bb.204:
	v_mbcnt_lo_u32_b32 v1, exec_lo, 0
	v_mbcnt_hi_u32_b32 v1, exec_hi, v1
	v_cmp_eq_u32_e32 vcc, 0, v1
	s_and_b64 exec, exec, vcc
	s_cbranch_execz .LBB51_206
; %bb.205:
	v_mov_b32_e32 v1, 0
	ds_read_b32 v6, v1 offset:2048
	v_readlane_b32 s4, v62, 0
	v_readlane_b32 s5, v62, 1
	;; [unrolled: 1-line block ×4, first 2 shown]
	s_waitcnt lgkmcnt(0)
	v_add_u32_e32 v6, 1, v6
	s_nop 0
	global_atomic_smax v1, v6, s[4:5]
.LBB51_206:
	s_or_b64 exec, exec, s[0:1]
.LBB51_207:
	v_cmp_eq_u32_e32 vcc, 0, v0
	s_mov_b32 s0, 0
	s_and_b64 s[2:3], vcc, s[34:35]
	s_and_saveexec_b64 s[4:5], s[2:3]
	s_cbranch_execz .LBB51_212
; %bb.208:
	v_mov_b32_e32 v0, 0
	global_load_dwordx2 v[6:7], v0, s[20:21] glc
	s_brev_b32 s1, 1
	s_mov_b64 s[6:7], 0
                                        ; implicit-def: $sgpr8_sgpr9
                                        ; implicit-def: $sgpr10_sgpr11
	s_waitcnt vmcnt(0)
	v_cmp_eq_u64_e64 s[12:13], s[0:1], v[6:7]
	v_cmp_eq_f64_e64 s[0:1], 0, v[4:5]
	s_branch .LBB51_210
.LBB51_209:                             ;   in Loop: Header=BB51_210 Depth=1
	s_or_b64 exec, exec, s[14:15]
	s_and_b64 s[2:3], exec, s[8:9]
	s_or_b64 s[6:7], s[2:3], s[6:7]
	s_andn2_b64 s[2:3], s[12:13], exec
	s_and_b64 s[12:13], s[10:11], exec
	s_or_b64 s[12:13], s[2:3], s[12:13]
	s_andn2_b64 exec, exec, s[6:7]
	s_cbranch_execz .LBB51_212
.LBB51_210:                             ; =>This Inner Loop Header: Depth=1
	v_cmp_lt_f64_e64 s[2:3], v[6:7], v[4:5]
	s_and_b64 s[14:15], s[0:1], s[12:13]
	s_or_b64 s[2:3], s[2:3], s[14:15]
	s_andn2_b64 s[10:11], s[10:11], exec
	s_or_b64 s[8:9], s[8:9], exec
	s_and_saveexec_b64 s[14:15], s[2:3]
	s_cbranch_execz .LBB51_209
; %bb.211:                              ;   in Loop: Header=BB51_210 Depth=1
	global_atomic_cmpswap_x2 v[8:9], v0, v[4:7], s[20:21] glc
	s_andn2_b64 s[8:9], s[8:9], exec
	s_andn2_b64 s[10:11], s[10:11], exec
                                        ; implicit-def: $sgpr12_sgpr13
	s_waitcnt vmcnt(0)
	v_cmp_eq_u64_e64 s[2:3], v[8:9], v[6:7]
	v_cndmask_b32_e64 v7, v9, v7, s[2:3]
	v_cndmask_b32_e64 v6, v8, v6, s[2:3]
	s_and_b64 s[2:3], s[2:3], exec
	v_cmp_class_f64_e64 s[16:17], v[6:7], 32
	s_or_b64 s[8:9], s[8:9], s[2:3]
	s_and_b64 s[2:3], s[16:17], exec
	s_or_b64 s[10:11], s[10:11], s[2:3]
	v_pk_mov_b32 v[6:7], v[8:9], v[8:9] op_sel:[0,1]
	s_branch .LBB51_209
.LBB51_212:
	s_or_b64 exec, exec, s[4:5]
	s_and_b64 s[0:1], vcc, s[26:27]
	s_and_saveexec_b64 s[2:3], s[0:1]
	s_cbranch_execz .LBB51_217
; %bb.213:
	v_mov_b32_e32 v0, 0
	global_load_dwordx2 v[4:5], v0, s[22:23] glc
	s_mov_b32 s0, 0
	s_brev_b32 s1, 1
	s_mov_b64 s[2:3], 0
	v_cmp_eq_f64_e32 vcc, 0, v[2:3]
                                        ; implicit-def: $sgpr4_sgpr5
                                        ; implicit-def: $sgpr6_sgpr7
	s_waitcnt vmcnt(0)
	v_cmp_eq_u64_e64 s[8:9], s[0:1], v[4:5]
	s_branch .LBB51_215
.LBB51_214:                             ;   in Loop: Header=BB51_215 Depth=1
	s_or_b64 exec, exec, s[10:11]
	s_and_b64 s[0:1], exec, s[4:5]
	s_or_b64 s[2:3], s[0:1], s[2:3]
	s_andn2_b64 s[0:1], s[8:9], exec
	s_and_b64 s[8:9], s[6:7], exec
	s_or_b64 s[8:9], s[0:1], s[8:9]
	s_andn2_b64 exec, exec, s[2:3]
	s_cbranch_execz .LBB51_217
.LBB51_215:                             ; =>This Inner Loop Header: Depth=1
	v_cmp_lt_f64_e64 s[0:1], v[4:5], v[2:3]
	s_and_b64 s[10:11], vcc, s[8:9]
	s_or_b64 s[0:1], s[0:1], s[10:11]
	s_andn2_b64 s[6:7], s[6:7], exec
	s_or_b64 s[4:5], s[4:5], exec
	s_and_saveexec_b64 s[10:11], s[0:1]
	s_cbranch_execz .LBB51_214
; %bb.216:                              ;   in Loop: Header=BB51_215 Depth=1
	global_atomic_cmpswap_x2 v[6:7], v0, v[2:5], s[22:23] glc
	s_andn2_b64 s[4:5], s[4:5], exec
	s_andn2_b64 s[6:7], s[6:7], exec
                                        ; implicit-def: $sgpr8_sgpr9
	s_waitcnt vmcnt(0)
	v_cmp_eq_u64_e64 s[0:1], v[6:7], v[4:5]
	v_cndmask_b32_e64 v5, v7, v5, s[0:1]
	v_cndmask_b32_e64 v4, v6, v4, s[0:1]
	s_and_b64 s[0:1], s[0:1], exec
	v_cmp_class_f64_e64 s[12:13], v[4:5], 32
	s_or_b64 s[4:5], s[4:5], s[0:1]
	s_and_b64 s[0:1], s[12:13], exec
	s_or_b64 s[6:7], s[6:7], s[0:1]
	v_pk_mov_b32 v[4:5], v[6:7], v[6:7] op_sel:[0,1]
	s_branch .LBB51_214
.LBB51_217:
	s_endpgm
	.section	.rodata,"a",@progbits
	.p2align	6, 0x0
	.amdhsa_kernel _ZN9rocsparseL6kernelILi1024ELi4E21rocsparse_complex_numIdEiiEEvbbbT3_PS3_NS_15floating_traitsIT1_E6data_tES3_T2_PKS9_SB_PKS3_PKS6_21rocsparse_index_base_SB_SB_SD_PS6_SH_SG_SB_SB_SD_SH_SH_SG_SH_SH_PS8_SI_PKS8_
		.amdhsa_group_segment_fixed_size 3072
		.amdhsa_private_segment_fixed_size 0
		.amdhsa_kernarg_size 208
		.amdhsa_user_sgpr_count 6
		.amdhsa_user_sgpr_private_segment_buffer 1
		.amdhsa_user_sgpr_dispatch_ptr 0
		.amdhsa_user_sgpr_queue_ptr 0
		.amdhsa_user_sgpr_kernarg_segment_ptr 1
		.amdhsa_user_sgpr_dispatch_id 0
		.amdhsa_user_sgpr_flat_scratch_init 0
		.amdhsa_user_sgpr_kernarg_preload_length 0
		.amdhsa_user_sgpr_kernarg_preload_offset 0
		.amdhsa_user_sgpr_private_segment_size 0
		.amdhsa_uses_dynamic_stack 0
		.amdhsa_system_sgpr_private_segment_wavefront_offset 0
		.amdhsa_system_sgpr_workgroup_id_x 1
		.amdhsa_system_sgpr_workgroup_id_y 0
		.amdhsa_system_sgpr_workgroup_id_z 0
		.amdhsa_system_sgpr_workgroup_info 0
		.amdhsa_system_vgpr_workitem_id 0
		.amdhsa_next_free_vgpr 63
		.amdhsa_next_free_sgpr 96
		.amdhsa_accum_offset 64
		.amdhsa_reserve_vcc 1
		.amdhsa_reserve_flat_scratch 0
		.amdhsa_float_round_mode_32 0
		.amdhsa_float_round_mode_16_64 0
		.amdhsa_float_denorm_mode_32 3
		.amdhsa_float_denorm_mode_16_64 3
		.amdhsa_dx10_clamp 1
		.amdhsa_ieee_mode 1
		.amdhsa_fp16_overflow 0
		.amdhsa_tg_split 0
		.amdhsa_exception_fp_ieee_invalid_op 0
		.amdhsa_exception_fp_denorm_src 0
		.amdhsa_exception_fp_ieee_div_zero 0
		.amdhsa_exception_fp_ieee_overflow 0
		.amdhsa_exception_fp_ieee_underflow 0
		.amdhsa_exception_fp_ieee_inexact 0
		.amdhsa_exception_int_div_zero 0
	.end_amdhsa_kernel
	.section	.text._ZN9rocsparseL6kernelILi1024ELi4E21rocsparse_complex_numIdEiiEEvbbbT3_PS3_NS_15floating_traitsIT1_E6data_tES3_T2_PKS9_SB_PKS3_PKS6_21rocsparse_index_base_SB_SB_SD_PS6_SH_SG_SB_SB_SD_SH_SH_SG_SH_SH_PS8_SI_PKS8_,"axG",@progbits,_ZN9rocsparseL6kernelILi1024ELi4E21rocsparse_complex_numIdEiiEEvbbbT3_PS3_NS_15floating_traitsIT1_E6data_tES3_T2_PKS9_SB_PKS3_PKS6_21rocsparse_index_base_SB_SB_SD_PS6_SH_SG_SB_SB_SD_SH_SH_SG_SH_SH_PS8_SI_PKS8_,comdat
.Lfunc_end51:
	.size	_ZN9rocsparseL6kernelILi1024ELi4E21rocsparse_complex_numIdEiiEEvbbbT3_PS3_NS_15floating_traitsIT1_E6data_tES3_T2_PKS9_SB_PKS3_PKS6_21rocsparse_index_base_SB_SB_SD_PS6_SH_SG_SB_SB_SD_SH_SH_SG_SH_SH_PS8_SI_PKS8_, .Lfunc_end51-_ZN9rocsparseL6kernelILi1024ELi4E21rocsparse_complex_numIdEiiEEvbbbT3_PS3_NS_15floating_traitsIT1_E6data_tES3_T2_PKS9_SB_PKS3_PKS6_21rocsparse_index_base_SB_SB_SD_PS6_SH_SG_SB_SB_SD_SH_SH_SG_SH_SH_PS8_SI_PKS8_
                                        ; -- End function
	.section	.AMDGPU.csdata,"",@progbits
; Kernel info:
; codeLenInByte = 9432
; NumSgprs: 100
; NumVgprs: 63
; NumAgprs: 0
; TotalNumVgprs: 63
; ScratchSize: 0
; MemoryBound: 1
; FloatMode: 240
; IeeeMode: 1
; LDSByteSize: 3072 bytes/workgroup (compile time only)
; SGPRBlocks: 12
; VGPRBlocks: 7
; NumSGPRsForWavesPerEU: 100
; NumVGPRsForWavesPerEU: 63
; AccumOffset: 64
; Occupancy: 8
; WaveLimiterHint : 1
; COMPUTE_PGM_RSRC2:SCRATCH_EN: 0
; COMPUTE_PGM_RSRC2:USER_SGPR: 6
; COMPUTE_PGM_RSRC2:TRAP_HANDLER: 0
; COMPUTE_PGM_RSRC2:TGID_X_EN: 1
; COMPUTE_PGM_RSRC2:TGID_Y_EN: 0
; COMPUTE_PGM_RSRC2:TGID_Z_EN: 0
; COMPUTE_PGM_RSRC2:TIDIG_COMP_CNT: 0
; COMPUTE_PGM_RSRC3_GFX90A:ACCUM_OFFSET: 15
; COMPUTE_PGM_RSRC3_GFX90A:TG_SPLIT: 0
	.section	.text._ZN9rocsparseL6kernelILi1024ELi8E21rocsparse_complex_numIdEiiEEvbbbT3_PS3_NS_15floating_traitsIT1_E6data_tES3_T2_PKS9_SB_PKS3_PKS6_21rocsparse_index_base_SB_SB_SD_PS6_SH_SG_SB_SB_SD_SH_SH_SG_SH_SH_PS8_SI_PKS8_,"axG",@progbits,_ZN9rocsparseL6kernelILi1024ELi8E21rocsparse_complex_numIdEiiEEvbbbT3_PS3_NS_15floating_traitsIT1_E6data_tES3_T2_PKS9_SB_PKS3_PKS6_21rocsparse_index_base_SB_SB_SD_PS6_SH_SG_SB_SB_SD_SH_SH_SG_SH_SH_PS8_SI_PKS8_,comdat
	.globl	_ZN9rocsparseL6kernelILi1024ELi8E21rocsparse_complex_numIdEiiEEvbbbT3_PS3_NS_15floating_traitsIT1_E6data_tES3_T2_PKS9_SB_PKS3_PKS6_21rocsparse_index_base_SB_SB_SD_PS6_SH_SG_SB_SB_SD_SH_SH_SG_SH_SH_PS8_SI_PKS8_ ; -- Begin function _ZN9rocsparseL6kernelILi1024ELi8E21rocsparse_complex_numIdEiiEEvbbbT3_PS3_NS_15floating_traitsIT1_E6data_tES3_T2_PKS9_SB_PKS3_PKS6_21rocsparse_index_base_SB_SB_SD_PS6_SH_SG_SB_SB_SD_SH_SH_SG_SH_SH_PS8_SI_PKS8_
	.p2align	8
	.type	_ZN9rocsparseL6kernelILi1024ELi8E21rocsparse_complex_numIdEiiEEvbbbT3_PS3_NS_15floating_traitsIT1_E6data_tES3_T2_PKS9_SB_PKS3_PKS6_21rocsparse_index_base_SB_SB_SD_PS6_SH_SG_SB_SB_SD_SH_SH_SG_SH_SH_PS8_SI_PKS8_,@function
_ZN9rocsparseL6kernelILi1024ELi8E21rocsparse_complex_numIdEiiEEvbbbT3_PS3_NS_15floating_traitsIT1_E6data_tES3_T2_PKS9_SB_PKS3_PKS6_21rocsparse_index_base_SB_SB_SD_PS6_SH_SG_SB_SB_SD_SH_SH_SG_SH_SH_PS8_SI_PKS8_: ; @_ZN9rocsparseL6kernelILi1024ELi8E21rocsparse_complex_numIdEiiEEvbbbT3_PS3_NS_15floating_traitsIT1_E6data_tES3_T2_PKS9_SB_PKS3_PKS6_21rocsparse_index_base_SB_SB_SD_PS6_SH_SG_SB_SB_SD_SH_SH_SG_SH_SH_PS8_SI_PKS8_
; %bb.0:
	s_load_dword s0, s[4:5], 0x0
	s_load_dwordx2 s[2:3], s[4:5], 0x0
	s_load_dwordx4 s[20:23], s[4:5], 0xb8
	s_load_dwordx4 s[8:11], s[4:5], 0x8
                                        ; implicit-def: $vgpr62 : SGPR spill to VGPR lane
	s_load_dword s33, s[4:5], 0x18
	s_waitcnt lgkmcnt(0)
	s_bitcmp1_b32 s0, 0
	s_cselect_b64 s[66:67], -1, 0
	s_bitcmp1_b32 s0, 8
	v_writelane_b32 v62, s8, 0
	v_writelane_b32 v62, s9, 1
	s_cselect_b64 s[64:65], -1, 0
	s_bitcmp1_b32 s2, 16
	v_writelane_b32 v62, s10, 2
	s_cselect_b64 s[34:35], -1, 0
	v_lshrrev_b32_e32 v1, 3, v0
	s_lshl_b32 s0, s6, 10
	v_writelane_b32 v62, s11, 3
	v_or_b32_e32 v43, s0, v1
	v_mov_b32_e32 v6, 0
	s_mov_b32 s1, s3
	s_cmp_gt_i32 s3, 0
	v_pk_mov_b32 v[4:5], 0, 0
	v_and_b32_e32 v42, 7, v0
	v_lshlrev_b32_e32 v44, 3, v0
	s_mov_b32 s68, 0
	v_mov_b32_e32 v7, v6
	v_cmp_gt_i32_e32 vcc, s33, v43
	v_writelane_b32 v62, s0, 4
	s_cselect_b64 s[2:3], -1, 0
	s_mov_b64 s[72:73], 0
	v_pk_mov_b32 v[2:3], v[4:5], v[4:5] op_sel:[0,1]
	ds_write_b64 v44, v[6:7]
	s_waitcnt lgkmcnt(0)
	s_barrier
	v_writelane_b32 v62, s1, 5
	s_and_b64 s[2:3], s[2:3], vcc
	s_mov_b64 s[6:7], exec
	v_writelane_b32 v62, s6, 6
	s_and_b64 s[2:3], s[6:7], s[2:3]
	v_writelane_b32 v62, s7, 7
	s_mov_b64 exec, s[2:3]
	s_cbranch_execz .LBB52_180
; %bb.1:
	s_load_dwordx2 s[2:3], s[4:5], 0xc8
	v_writelane_b32 v62, s20, 8
	v_writelane_b32 v62, s21, 9
	;; [unrolled: 1-line block ×4, first 2 shown]
	s_waitcnt lgkmcnt(0)
	v_writelane_b32 v62, s2, 12
	v_writelane_b32 v62, s3, 13
	s_xor_b64 s[2:3], s[64:65], -1
	v_writelane_b32 v62, s2, 14
	s_addk_i32 s0, 0x400
	s_load_dwordx4 s[60:63], s[4:5], 0xa8
	s_load_dwordx8 s[24:31], s[4:5], 0x78
	s_load_dwordx8 s[36:43], s[4:5], 0x48
	;; [unrolled: 1-line block ×3, first 2 shown]
	v_writelane_b32 v62, s3, 15
	v_cmp_gt_u32_e64 s[2:3], s0, v43
	s_load_dword s82, s[4:5], 0x40
	s_load_dwordx2 s[78:79], s[4:5], 0x68
	s_load_dword s83, s[4:5], 0x70
	s_load_dwordx2 s[80:81], s[4:5], 0x98
	s_load_dword s69, s[4:5], 0xa0
	v_writelane_b32 v62, s2, 16
	v_writelane_b32 v62, s3, 17
	v_cmp_eq_u32_e64 s[2:3], 7, v42
	v_writelane_b32 v62, s2, 18
	v_writelane_b32 v62, s3, 19
	s_and_b64 s[2:3], s[64:65], s[34:35]
	s_xor_b64 s[2:3], s[2:3], -1
	v_pk_mov_b32 v[2:3], 0, 0
	s_mov_b32 s84, 0
	s_waitcnt lgkmcnt(0)
	v_subrev_u32_e32 v45, s82, v42
	v_lshlrev_b32_e32 v46, 3, v1
	v_cmp_gt_u32_e64 s[4:5], 64, v0
	v_cmp_gt_u32_e64 s[6:7], 32, v0
	;; [unrolled: 1-line block ×6, first 2 shown]
	v_cmp_eq_u32_e64 s[16:17], 0, v0
	v_subrev_u32_e32 v47, s83, v42
	v_subrev_u32_e32 v48, s69, v42
	v_cmp_eq_u32_e64 s[18:19], 0, v42
	v_writelane_b32 v62, s2, 20
	s_brev_b32 s85, 8
	v_mov_b32_e32 v49, 0x260
	s_movk_i32 s1, 0x1f8
	v_mov_b32_e32 v19, 0
	v_mov_b32_e32 v50, 0xffffff80
	v_pk_mov_b32 v[4:5], v[2:3], v[2:3] op_sel:[0,1]
	v_writelane_b32 v62, s3, 21
	s_branch .LBB52_3
.LBB52_2:                               ;   in Loop: Header=BB52_3 Depth=1
	s_or_b64 exec, exec, s[52:53]
	s_and_b64 s[2:3], exec, s[22:23]
	s_or_b64 s[72:73], s[2:3], s[72:73]
	s_andn2_b64 exec, exec, s[72:73]
	s_cbranch_execz .LBB52_179
.LBB52_3:                               ; =>This Loop Header: Depth=1
                                        ;     Child Loop BB52_7 Depth 2
                                        ;       Child Loop BB52_12 Depth 3
                                        ;         Child Loop BB52_16 Depth 4
                                        ;         Child Loop BB52_51 Depth 4
	;; [unrolled: 1-line block ×5, first 2 shown]
                                        ;     Child Loop BB52_158 Depth 2
                                        ;       Child Loop BB52_161 Depth 3
                                        ;       Child Loop BB52_164 Depth 3
	s_mov_b32 s2, 0
	v_cndmask_b32_e64 v5, v5, 0, s[64:65]
	v_cndmask_b32_e64 v4, v4, 0, s[64:65]
	;; [unrolled: 1-line block ×4, first 2 shown]
	s_branch .LBB52_7
.LBB52_4:                               ;   in Loop: Header=BB52_7 Depth=2
	s_or_b64 exec, exec, s[90:91]
.LBB52_5:                               ;   in Loop: Header=BB52_7 Depth=2
	s_or_b64 exec, exec, s[88:89]
.LBB52_6:                               ;   in Loop: Header=BB52_7 Depth=2
	s_or_b64 exec, exec, s[86:87]
	s_add_i32 s2, s2, 1
	s_cmp_eq_u32 s2, 8
	s_cbranch_scc1 .LBB52_119
.LBB52_7:                               ;   Parent Loop BB52_3 Depth=1
                                        ; =>  This Loop Header: Depth=2
                                        ;       Child Loop BB52_12 Depth 3
                                        ;         Child Loop BB52_16 Depth 4
                                        ;         Child Loop BB52_51 Depth 4
	;; [unrolled: 1-line block ×5, first 2 shown]
	v_lshl_add_u32 v20, s2, 7, v43
	v_cmp_gt_i32_e32 vcc, s33, v20
	s_and_saveexec_b64 s[86:87], vcc
	s_cbranch_execz .LBB52_6
; %bb.8:                                ;   in Loop: Header=BB52_7 Depth=2
	v_ashrrev_i32_e32 v21, 31, v20
	v_lshlrev_b64 v[6:7], 2, v[20:21]
	v_mov_b32_e32 v9, s45
	v_add_co_u32_e32 v8, vcc, s44, v6
	v_addc_co_u32_e32 v9, vcc, v9, v7, vcc
	global_load_dword v10, v[8:9], off
	v_mov_b32_e32 v9, s47
	v_add_co_u32_e32 v8, vcc, s46, v6
	v_addc_co_u32_e32 v9, vcc, v9, v7, vcc
	global_load_dword v8, v[8:9], off
	s_waitcnt vmcnt(1)
	v_add_u32_e32 v22, v45, v10
	s_waitcnt vmcnt(0)
	v_subrev_u32_e32 v21, s82, v8
	v_cmp_lt_i32_e32 vcc, v22, v21
	s_and_saveexec_b64 s[88:89], vcc
	s_cbranch_execz .LBB52_5
; %bb.9:                                ;   in Loop: Header=BB52_7 Depth=2
	v_mov_b32_e32 v9, s39
	v_add_co_u32_e32 v8, vcc, s38, v6
	v_addc_co_u32_e32 v9, vcc, v9, v7, vcc
	v_mov_b32_e32 v10, s37
	v_add_co_u32_e32 v6, vcc, s36, v6
	v_addc_co_u32_e32 v7, vcc, v10, v7, vcc
	global_load_dword v6, v[6:7], off
	s_nop 0
	global_load_dword v7, v[8:9], off
	v_mov_b32_e32 v10, s41
	v_mov_b32_e32 v11, s43
	s_mov_b64 s[90:91], 0
	s_waitcnt vmcnt(1)
	v_subrev_u32_e32 v24, s83, v6
	v_ashrrev_i32_e32 v25, 31, v24
	s_waitcnt vmcnt(0)
	v_sub_u32_e32 v51, v7, v6
	v_lshlrev_b64 v[6:7], 2, v[24:25]
	v_lshlrev_b64 v[8:9], 4, v[24:25]
	v_add_co_u32_e32 v25, vcc, s40, v6
	v_addc_co_u32_e32 v52, vcc, v10, v7, vcc
	v_add_co_u32_e32 v53, vcc, s42, v8
	v_cmp_lt_i32_e64 s[20:21], 0, v51
	v_addc_co_u32_e32 v54, vcc, v11, v9, vcc
	s_branch .LBB52_12
.LBB52_10:                              ;   in Loop: Header=BB52_12 Depth=3
	s_or_b64 exec, exec, s[52:53]
.LBB52_11:                              ;   in Loop: Header=BB52_12 Depth=3
	s_or_b64 exec, exec, s[22:23]
	v_add_u32_e32 v22, 8, v22
	v_cmp_ge_i32_e32 vcc, v22, v21
	s_or_b64 s[90:91], vcc, s[90:91]
	s_andn2_b64 exec, exec, s[90:91]
	s_cbranch_execz .LBB52_4
.LBB52_12:                              ;   Parent Loop BB52_3 Depth=1
                                        ;     Parent Loop BB52_7 Depth=2
                                        ; =>    This Loop Header: Depth=3
                                        ;         Child Loop BB52_16 Depth 4
                                        ;         Child Loop BB52_51 Depth 4
	;; [unrolled: 1-line block ×5, first 2 shown]
	v_ashrrev_i32_e32 v23, 31, v22
	v_lshlrev_b64 v[6:7], 2, v[22:23]
	v_mov_b32_e32 v8, s49
	v_add_co_u32_e32 v6, vcc, s48, v6
	v_addc_co_u32_e32 v7, vcc, v8, v7, vcc
	global_load_dword v6, v[6:7], off
	v_mov_b32_e32 v9, s25
	v_mov_b32_e32 v10, s27
	v_pk_mov_b32 v[28:29], 0, 0
	v_mov_b32_e32 v18, 0
	v_pk_mov_b32 v[30:31], v[28:29], v[28:29] op_sel:[0,1]
	v_mov_b32_e32 v34, 0
	s_waitcnt vmcnt(0)
	v_subrev_u32_e32 v26, s82, v6
	v_ashrrev_i32_e32 v27, 31, v26
	v_lshlrev_b64 v[6:7], 2, v[26:27]
	v_add_co_u32_e32 v8, vcc, s24, v6
	v_addc_co_u32_e32 v9, vcc, v9, v7, vcc
	v_add_co_u32_e32 v6, vcc, s26, v6
	v_addc_co_u32_e32 v7, vcc, v10, v7, vcc
	global_load_dword v8, v[8:9], off
	s_nop 0
	global_load_dword v6, v[6:7], off
	s_waitcnt vmcnt(1)
	v_subrev_u32_e32 v32, s69, v8
	s_waitcnt vmcnt(0)
	v_sub_u32_e32 v55, v6, v8
	s_and_saveexec_b64 s[22:23], s[20:21]
	s_cbranch_execz .LBB52_20
; %bb.13:                               ;   in Loop: Header=BB52_12 Depth=3
	v_ashrrev_i32_e32 v33, 31, v32
	v_lshlrev_b64 v[6:7], 2, v[32:33]
	v_mov_b32_e32 v8, s29
	v_add_co_u32_e32 v6, vcc, s28, v6
	v_addc_co_u32_e32 v7, vcc, v8, v7, vcc
	v_lshlrev_b64 v[8:9], 4, v[32:33]
	v_mov_b32_e32 v10, s31
	v_add_co_u32_e32 v8, vcc, s30, v8
	v_mov_b32_e32 v34, 0
	v_pk_mov_b32 v[28:29], 0, 0
	v_addc_co_u32_e32 v9, vcc, v10, v9, vcc
	s_mov_b64 s[56:57], 0
	v_mov_b32_e32 v18, v34
	v_pk_mov_b32 v[30:31], v[28:29], v[28:29] op_sel:[0,1]
                                        ; implicit-def: $sgpr58_sgpr59
	s_branch .LBB52_16
.LBB52_14:                              ;   in Loop: Header=BB52_16 Depth=4
	s_or_b64 exec, exec, s[52:53]
	v_cmp_le_i32_e32 vcc, v10, v11
	v_addc_co_u32_e32 v18, vcc, 0, v18, vcc
	v_cmp_ge_i32_e32 vcc, v10, v11
	v_addc_co_u32_e32 v34, vcc, 0, v34, vcc
	v_cmp_ge_i32_e32 vcc, v18, v51
	s_andn2_b64 s[52:53], s[58:59], exec
	s_and_b64 s[54:55], vcc, exec
	s_or_b64 s[58:59], s[52:53], s[54:55]
.LBB52_15:                              ;   in Loop: Header=BB52_16 Depth=4
	s_or_b64 exec, exec, s[70:71]
	s_and_b64 s[52:53], exec, s[58:59]
	s_or_b64 s[56:57], s[52:53], s[56:57]
	s_andn2_b64 exec, exec, s[56:57]
	s_cbranch_execz .LBB52_19
.LBB52_16:                              ;   Parent Loop BB52_3 Depth=1
                                        ;     Parent Loop BB52_7 Depth=2
                                        ;       Parent Loop BB52_12 Depth=3
                                        ; =>      This Inner Loop Header: Depth=4
	v_cmp_lt_i32_e32 vcc, v34, v55
	s_or_b64 s[58:59], s[58:59], exec
	s_and_saveexec_b64 s[70:71], vcc
	s_cbranch_execz .LBB52_15
; %bb.17:                               ;   in Loop: Header=BB52_16 Depth=4
	v_lshlrev_b64 v[10:11], 2, v[18:19]
	v_add_co_u32_e32 v10, vcc, v25, v10
	v_addc_co_u32_e32 v11, vcc, v52, v11, vcc
	v_mov_b32_e32 v35, v19
	global_load_dword v12, v[10:11], off
	v_lshlrev_b64 v[10:11], 2, v[34:35]
	v_add_co_u32_e32 v10, vcc, v6, v10
	v_addc_co_u32_e32 v11, vcc, v7, v11, vcc
	global_load_dword v11, v[10:11], off
	s_waitcnt vmcnt(1)
	v_subrev_u32_e32 v10, s83, v12
	s_waitcnt vmcnt(0)
	v_subrev_u32_e32 v11, s69, v11
	v_cmp_eq_u32_e32 vcc, v10, v11
	s_and_saveexec_b64 s[52:53], vcc
	s_cbranch_execz .LBB52_14
; %bb.18:                               ;   in Loop: Header=BB52_16 Depth=4
	v_lshlrev_b64 v[12:13], 4, v[18:19]
	v_add_co_u32_e32 v12, vcc, v53, v12
	v_addc_co_u32_e32 v13, vcc, v54, v13, vcc
	v_lshlrev_b64 v[16:17], 4, v[34:35]
	v_add_co_u32_e32 v16, vcc, v8, v16
	v_addc_co_u32_e32 v17, vcc, v9, v17, vcc
	global_load_dwordx4 v[12:15], v[12:13], off
	s_nop 0
	global_load_dwordx4 v[36:39], v[16:17], off
	s_waitcnt vmcnt(0)
	v_fmac_f64_e32 v[28:29], v[12:13], v[36:37]
	v_fmac_f64_e32 v[30:31], v[14:15], v[36:37]
	v_fma_f64 v[28:29], -v[14:15], v[38:39], v[28:29]
	v_fmac_f64_e32 v[30:31], v[12:13], v[38:39]
	s_branch .LBB52_14
.LBB52_19:                              ;   in Loop: Header=BB52_12 Depth=3
	s_or_b64 exec, exec, s[56:57]
.LBB52_20:                              ;   in Loop: Header=BB52_12 Depth=3
	s_or_b64 exec, exec, s[22:23]
	v_lshlrev_b64 v[6:7], 4, v[22:23]
	v_mov_b32_e32 v8, s51
	v_add_co_u32_e32 v6, vcc, s50, v6
	v_addc_co_u32_e32 v7, vcc, v8, v7, vcc
	global_load_dwordx4 v[6:9], v[6:7], off
	v_cmp_le_i32_e64 s[22:23], v20, v26
	v_cmp_gt_i32_e32 vcc, v20, v26
	s_waitcnt vmcnt(0)
	v_add_f64 v[10:11], v[6:7], -v[28:29]
	v_add_f64 v[12:13], v[8:9], -v[30:31]
	s_and_saveexec_b64 s[56:57], vcc
	s_cbranch_execz .LBB52_30
; %bb.21:                               ;   in Loop: Header=BB52_12 Depth=3
	v_lshlrev_b64 v[14:15], 4, v[26:27]
	v_mov_b32_e32 v16, s61
	v_add_co_u32_e32 v14, vcc, s60, v14
	v_addc_co_u32_e32 v15, vcc, v16, v15, vcc
	global_load_dwordx4 v[14:17], v[14:15], off
                                        ; implicit-def: $vgpr40_vgpr41
	s_waitcnt vmcnt(0)
	v_xor_b32_e32 v23, 0x80000000, v15
	v_cmp_gt_f64_e32 vcc, 0, v[14:15]
	v_xor_b32_e32 v33, 0x80000000, v17
	v_cndmask_b32_e32 v37, v15, v23, vcc
	v_cmp_gt_f64_e32 vcc, 0, v[16:17]
	v_mov_b32_e32 v36, v14
	v_cndmask_b32_e32 v39, v17, v33, vcc
	v_mov_b32_e32 v38, v16
	v_cmp_ngt_f64_e32 vcc, v[36:37], v[38:39]
	s_and_saveexec_b64 s[52:53], vcc
	s_xor_b64 s[58:59], exec, s[52:53]
	s_cbranch_execz .LBB52_25
; %bb.22:                               ;   in Loop: Header=BB52_12 Depth=3
	v_cmp_neq_f64_e32 vcc, 0, v[16:17]
	v_pk_mov_b32 v[40:41], 0, 0
	s_and_saveexec_b64 s[52:53], vcc
	s_cbranch_execz .LBB52_24
; %bb.23:                               ;   in Loop: Header=BB52_12 Depth=3
	v_div_scale_f64 v[40:41], s[54:55], v[38:39], v[38:39], v[36:37]
	v_rcp_f64_e32 v[56:57], v[40:41]
	v_div_scale_f64 v[58:59], vcc, v[36:37], v[38:39], v[36:37]
	v_fma_f64 v[60:61], -v[40:41], v[56:57], 1.0
	v_fmac_f64_e32 v[56:57], v[56:57], v[60:61]
	v_fma_f64 v[60:61], -v[40:41], v[56:57], 1.0
	v_fmac_f64_e32 v[56:57], v[56:57], v[60:61]
	v_mul_f64 v[60:61], v[58:59], v[56:57]
	v_fma_f64 v[40:41], -v[40:41], v[60:61], v[58:59]
	v_div_fmas_f64 v[40:41], v[40:41], v[56:57], v[60:61]
	v_div_fixup_f64 v[36:37], v[40:41], v[38:39], v[36:37]
	v_fma_f64 v[36:37], v[36:37], v[36:37], 1.0
	v_cmp_gt_f64_e32 vcc, s[84:85], v[36:37]
	v_cndmask_b32_e64 v23, 0, 1, vcc
	v_lshlrev_b32_e32 v23, 8, v23
	v_ldexp_f64 v[36:37], v[36:37], v23
	v_rsq_f64_e32 v[40:41], v[36:37]
	v_cndmask_b32_e32 v23, 0, v50, vcc
	v_cmp_class_f64_e32 vcc, v[36:37], v49
	v_mul_f64 v[56:57], v[36:37], v[40:41]
	v_mul_f64 v[40:41], v[40:41], 0.5
	v_fma_f64 v[58:59], -v[40:41], v[56:57], 0.5
	v_fmac_f64_e32 v[56:57], v[56:57], v[58:59]
	v_fmac_f64_e32 v[40:41], v[40:41], v[58:59]
	v_fma_f64 v[58:59], -v[56:57], v[56:57], v[36:37]
	v_fmac_f64_e32 v[56:57], v[58:59], v[40:41]
	v_fma_f64 v[58:59], -v[56:57], v[56:57], v[36:37]
	v_fmac_f64_e32 v[56:57], v[58:59], v[40:41]
	v_ldexp_f64 v[40:41], v[56:57], v23
	v_cndmask_b32_e32 v37, v41, v37, vcc
	v_cndmask_b32_e32 v36, v40, v36, vcc
	v_mul_f64 v[40:41], v[38:39], v[36:37]
.LBB52_24:                              ;   in Loop: Header=BB52_12 Depth=3
	s_or_b64 exec, exec, s[52:53]
                                        ; implicit-def: $vgpr36_vgpr37
                                        ; implicit-def: $vgpr38_vgpr39
.LBB52_25:                              ;   in Loop: Header=BB52_12 Depth=3
	s_andn2_saveexec_b64 s[52:53], s[58:59]
	s_cbranch_execz .LBB52_27
; %bb.26:                               ;   in Loop: Header=BB52_12 Depth=3
	v_div_scale_f64 v[40:41], s[54:55], v[36:37], v[36:37], v[38:39]
	v_rcp_f64_e32 v[56:57], v[40:41]
	v_div_scale_f64 v[58:59], vcc, v[38:39], v[36:37], v[38:39]
	v_fma_f64 v[60:61], -v[40:41], v[56:57], 1.0
	v_fmac_f64_e32 v[56:57], v[56:57], v[60:61]
	v_fma_f64 v[60:61], -v[40:41], v[56:57], 1.0
	v_fmac_f64_e32 v[56:57], v[56:57], v[60:61]
	v_mul_f64 v[60:61], v[58:59], v[56:57]
	v_fma_f64 v[40:41], -v[40:41], v[60:61], v[58:59]
	v_div_fmas_f64 v[40:41], v[40:41], v[56:57], v[60:61]
	v_div_fixup_f64 v[38:39], v[40:41], v[36:37], v[38:39]
	v_fma_f64 v[38:39], v[38:39], v[38:39], 1.0
	v_cmp_gt_f64_e32 vcc, s[84:85], v[38:39]
	v_cndmask_b32_e64 v23, 0, 1, vcc
	v_lshlrev_b32_e32 v23, 8, v23
	v_ldexp_f64 v[38:39], v[38:39], v23
	v_rsq_f64_e32 v[40:41], v[38:39]
	v_cndmask_b32_e32 v23, 0, v50, vcc
	v_cmp_class_f64_e32 vcc, v[38:39], v49
	v_mul_f64 v[56:57], v[38:39], v[40:41]
	v_mul_f64 v[40:41], v[40:41], 0.5
	v_fma_f64 v[58:59], -v[40:41], v[56:57], 0.5
	v_fmac_f64_e32 v[56:57], v[56:57], v[58:59]
	v_fmac_f64_e32 v[40:41], v[40:41], v[58:59]
	v_fma_f64 v[58:59], -v[56:57], v[56:57], v[38:39]
	v_fmac_f64_e32 v[56:57], v[58:59], v[40:41]
	v_fma_f64 v[58:59], -v[56:57], v[56:57], v[38:39]
	v_fmac_f64_e32 v[56:57], v[58:59], v[40:41]
	v_ldexp_f64 v[40:41], v[56:57], v23
	v_cndmask_b32_e32 v39, v41, v39, vcc
	v_cndmask_b32_e32 v38, v40, v38, vcc
	v_mul_f64 v[40:41], v[36:37], v[38:39]
.LBB52_27:                              ;   in Loop: Header=BB52_12 Depth=3
	s_or_b64 exec, exec, s[52:53]
	v_pk_mov_b32 v[38:39], 0, 0
	v_cmp_lt_f64_e32 vcc, 0, v[40:41]
	v_pk_mov_b32 v[36:37], v[38:39], v[38:39] op_sel:[0,1]
	s_and_saveexec_b64 s[52:53], vcc
	s_cbranch_execz .LBB52_29
; %bb.28:                               ;   in Loop: Header=BB52_12 Depth=3
	v_mul_f64 v[36:37], v[16:17], v[16:17]
	v_fmac_f64_e32 v[36:37], v[14:15], v[14:15]
	v_div_scale_f64 v[38:39], s[54:55], v[36:37], v[36:37], 1.0
	v_rcp_f64_e32 v[40:41], v[38:39]
	v_div_scale_f64 v[56:57], vcc, 1.0, v[36:37], 1.0
	v_fma_f64 v[58:59], -v[38:39], v[40:41], 1.0
	v_fmac_f64_e32 v[40:41], v[40:41], v[58:59]
	v_fma_f64 v[58:59], -v[38:39], v[40:41], 1.0
	v_fmac_f64_e32 v[40:41], v[40:41], v[58:59]
	v_mul_f64 v[58:59], v[56:57], v[40:41]
	v_fma_f64 v[38:39], -v[38:39], v[58:59], v[56:57]
	v_div_fmas_f64 v[38:39], v[38:39], v[40:41], v[58:59]
	v_div_fixup_f64 v[38:39], v[38:39], v[36:37], 1.0
	v_mul_f64 v[36:37], v[12:13], v[16:17]
	v_fmac_f64_e32 v[36:37], v[10:11], v[14:15]
	v_mul_f64 v[10:11], v[16:17], -v[10:11]
	v_fmac_f64_e32 v[10:11], v[12:13], v[14:15]
	v_mul_f64 v[36:37], v[36:37], v[38:39]
	v_mul_f64 v[38:39], v[10:11], v[38:39]
.LBB52_29:                              ;   in Loop: Header=BB52_12 Depth=3
	s_or_b64 exec, exec, s[52:53]
	v_pk_mov_b32 v[12:13], v[38:39], v[38:39] op_sel:[0,1]
	v_pk_mov_b32 v[10:11], v[36:37], v[36:37] op_sel:[0,1]
.LBB52_30:                              ;   in Loop: Header=BB52_12 Depth=3
	s_or_b64 exec, exec, s[56:57]
	v_xor_b32_e32 v14, 0x80000000, v11
	v_cmp_gt_f64_e32 vcc, 0, v[10:11]
	v_cndmask_b32_e32 v15, v11, v14, vcc
	v_cndmask_b32_e32 v14, v10, v10, vcc
	v_xor_b32_e32 v16, 0x80000000, v13
	v_cmp_gt_f64_e32 vcc, 0, v[12:13]
	v_cndmask_b32_e32 v17, v13, v16, vcc
	v_cndmask_b32_e32 v16, v12, v12, vcc
	v_cmp_ngt_f64_e32 vcc, v[14:15], v[16:17]
                                        ; implicit-def: $vgpr36_vgpr37
	s_and_saveexec_b64 s[52:53], vcc
	s_xor_b64 s[56:57], exec, s[52:53]
	s_cbranch_execnz .LBB52_34
; %bb.31:                               ;   in Loop: Header=BB52_12 Depth=3
	s_andn2_saveexec_b64 s[52:53], s[56:57]
	s_cbranch_execnz .LBB52_37
.LBB52_32:                              ;   in Loop: Header=BB52_12 Depth=3
	s_or_b64 exec, exec, s[52:53]
	v_cmp_class_f64_e64 s[92:93], v[36:37], s1
	s_and_saveexec_b64 s[94:95], s[92:93]
	s_cbranch_execnz .LBB52_38
.LBB52_33:                              ;   in Loop: Header=BB52_12 Depth=3
	s_or_b64 exec, exec, s[94:95]
	s_and_b64 s[52:53], s[92:93], s[34:35]
	s_and_saveexec_b64 s[22:23], s[52:53]
	s_cbranch_execz .LBB52_11
	s_branch .LBB52_79
.LBB52_34:                              ;   in Loop: Header=BB52_12 Depth=3
	v_cmp_neq_f64_e32 vcc, 0, v[12:13]
	v_pk_mov_b32 v[36:37], 0, 0
	s_and_saveexec_b64 s[52:53], vcc
	s_cbranch_execz .LBB52_36
; %bb.35:                               ;   in Loop: Header=BB52_12 Depth=3
	v_div_scale_f64 v[36:37], s[54:55], v[16:17], v[16:17], v[14:15]
	v_rcp_f64_e32 v[38:39], v[36:37]
	v_div_scale_f64 v[40:41], vcc, v[14:15], v[16:17], v[14:15]
	v_fma_f64 v[56:57], -v[36:37], v[38:39], 1.0
	v_fmac_f64_e32 v[38:39], v[38:39], v[56:57]
	v_fma_f64 v[56:57], -v[36:37], v[38:39], 1.0
	v_fmac_f64_e32 v[38:39], v[38:39], v[56:57]
	v_mul_f64 v[56:57], v[40:41], v[38:39]
	v_fma_f64 v[36:37], -v[36:37], v[56:57], v[40:41]
	v_div_fmas_f64 v[36:37], v[36:37], v[38:39], v[56:57]
	v_div_fixup_f64 v[14:15], v[36:37], v[16:17], v[14:15]
	v_fma_f64 v[14:15], v[14:15], v[14:15], 1.0
	v_cmp_gt_f64_e32 vcc, s[84:85], v[14:15]
	v_cndmask_b32_e64 v23, 0, 1, vcc
	v_lshlrev_b32_e32 v23, 8, v23
	v_ldexp_f64 v[14:15], v[14:15], v23
	v_rsq_f64_e32 v[36:37], v[14:15]
	v_cndmask_b32_e32 v23, 0, v50, vcc
	v_cmp_class_f64_e32 vcc, v[14:15], v49
	v_mul_f64 v[38:39], v[14:15], v[36:37]
	v_mul_f64 v[36:37], v[36:37], 0.5
	v_fma_f64 v[40:41], -v[36:37], v[38:39], 0.5
	v_fmac_f64_e32 v[38:39], v[38:39], v[40:41]
	v_fmac_f64_e32 v[36:37], v[36:37], v[40:41]
	v_fma_f64 v[40:41], -v[38:39], v[38:39], v[14:15]
	v_fmac_f64_e32 v[38:39], v[40:41], v[36:37]
	v_fma_f64 v[40:41], -v[38:39], v[38:39], v[14:15]
	v_fmac_f64_e32 v[38:39], v[40:41], v[36:37]
	v_ldexp_f64 v[36:37], v[38:39], v23
	v_cndmask_b32_e32 v15, v37, v15, vcc
	v_cndmask_b32_e32 v14, v36, v14, vcc
	v_mul_f64 v[36:37], v[16:17], v[14:15]
.LBB52_36:                              ;   in Loop: Header=BB52_12 Depth=3
	s_or_b64 exec, exec, s[52:53]
                                        ; implicit-def: $vgpr14_vgpr15
                                        ; implicit-def: $vgpr16_vgpr17
	s_andn2_saveexec_b64 s[52:53], s[56:57]
	s_cbranch_execz .LBB52_32
.LBB52_37:                              ;   in Loop: Header=BB52_12 Depth=3
	v_div_scale_f64 v[36:37], s[54:55], v[14:15], v[14:15], v[16:17]
	v_rcp_f64_e32 v[38:39], v[36:37]
	v_div_scale_f64 v[40:41], vcc, v[16:17], v[14:15], v[16:17]
	v_fma_f64 v[56:57], -v[36:37], v[38:39], 1.0
	v_fmac_f64_e32 v[38:39], v[38:39], v[56:57]
	v_fma_f64 v[56:57], -v[36:37], v[38:39], 1.0
	v_fmac_f64_e32 v[38:39], v[38:39], v[56:57]
	v_mul_f64 v[56:57], v[40:41], v[38:39]
	v_fma_f64 v[36:37], -v[36:37], v[56:57], v[40:41]
	v_div_fmas_f64 v[36:37], v[36:37], v[38:39], v[56:57]
	v_div_fixup_f64 v[16:17], v[36:37], v[14:15], v[16:17]
	v_fma_f64 v[16:17], v[16:17], v[16:17], 1.0
	v_cmp_gt_f64_e32 vcc, s[84:85], v[16:17]
	v_cndmask_b32_e64 v23, 0, 1, vcc
	v_lshlrev_b32_e32 v23, 8, v23
	v_ldexp_f64 v[16:17], v[16:17], v23
	v_rsq_f64_e32 v[36:37], v[16:17]
	v_cndmask_b32_e32 v23, 0, v50, vcc
	v_cmp_class_f64_e32 vcc, v[16:17], v49
	v_mul_f64 v[38:39], v[16:17], v[36:37]
	v_mul_f64 v[36:37], v[36:37], 0.5
	v_fma_f64 v[40:41], -v[36:37], v[38:39], 0.5
	v_fmac_f64_e32 v[38:39], v[38:39], v[40:41]
	v_fma_f64 v[56:57], -v[38:39], v[38:39], v[16:17]
	v_fmac_f64_e32 v[36:37], v[36:37], v[40:41]
	v_fmac_f64_e32 v[38:39], v[56:57], v[36:37]
	v_fma_f64 v[40:41], -v[38:39], v[38:39], v[16:17]
	v_fmac_f64_e32 v[38:39], v[40:41], v[36:37]
	v_ldexp_f64 v[36:37], v[38:39], v23
	v_cndmask_b32_e32 v17, v37, v17, vcc
	v_cndmask_b32_e32 v16, v36, v16, vcc
	v_mul_f64 v[36:37], v[14:15], v[16:17]
	s_or_b64 exec, exec, s[52:53]
	v_cmp_class_f64_e64 s[92:93], v[36:37], s1
	s_and_saveexec_b64 s[94:95], s[92:93]
	s_cbranch_execz .LBB52_33
.LBB52_38:                              ;   in Loop: Header=BB52_12 Depth=3
	s_and_saveexec_b64 s[52:53], s[22:23]
	s_xor_b64 s[22:23], exec, s[52:53]
	s_cbranch_execz .LBB52_63
; %bb.39:                               ;   in Loop: Header=BB52_12 Depth=3
	v_cmp_ge_i32_e32 vcc, v20, v26
	s_and_saveexec_b64 s[52:53], vcc
	s_xor_b64 s[70:71], exec, s[52:53]
	s_cbranch_execz .LBB52_47
; %bb.40:                               ;   in Loop: Header=BB52_12 Depth=3
	v_lshlrev_b64 v[14:15], 4, v[26:27]
	v_mov_b32_e32 v17, s63
	v_add_co_u32_e32 v16, vcc, s62, v14
	v_addc_co_u32_e32 v17, vcc, v17, v15, vcc
	s_andn2_b64 vcc, exec, s[64:65]
	global_store_dwordx4 v[16:17], v[10:13], off
	s_cbranch_vccnz .LBB52_46
; %bb.41:                               ;   in Loop: Header=BB52_12 Depth=3
	v_mov_b32_e32 v16, s61
	v_add_co_u32_e32 v14, vcc, s60, v14
	v_addc_co_u32_e32 v15, vcc, v16, v15, vcc
	global_load_dwordx4 v[14:17], v[14:15], off
	s_waitcnt vmcnt(0)
	v_add_f64 v[10:11], v[14:15], -v[10:11]
	v_add_f64 v[16:17], v[16:17], -v[12:13]
	v_xor_b32_e32 v12, 0x80000000, v11
	v_cmp_gt_f64_e32 vcc, 0, v[10:11]
	v_xor_b32_e32 v13, 0x80000000, v17
	v_cndmask_b32_e32 v11, v11, v12, vcc
	v_cndmask_b32_e32 v10, v10, v10, vcc
	v_cmp_gt_f64_e32 vcc, 0, v[16:17]
	v_cndmask_b32_e32 v13, v17, v13, vcc
	v_cndmask_b32_e32 v12, v16, v16, vcc
	v_cmp_ngt_f64_e32 vcc, v[10:11], v[12:13]
                                        ; implicit-def: $vgpr14_vgpr15
	s_and_saveexec_b64 s[52:53], vcc
	s_xor_b64 s[56:57], exec, s[52:53]
	s_cbranch_execnz .LBB52_107
; %bb.42:                               ;   in Loop: Header=BB52_12 Depth=3
	s_andn2_saveexec_b64 s[52:53], s[56:57]
	s_cbranch_execnz .LBB52_110
.LBB52_43:                              ;   in Loop: Header=BB52_12 Depth=3
	s_or_b64 exec, exec, s[52:53]
	v_cmp_class_f64_e64 s[54:55], v[14:15], s1
	s_and_saveexec_b64 s[52:53], s[54:55]
.LBB52_44:                              ;   in Loop: Header=BB52_12 Depth=3
	v_cmp_lt_f64_e32 vcc, v[4:5], v[14:15]
	v_cndmask_b32_e32 v5, v5, v15, vcc
	v_cndmask_b32_e32 v4, v4, v14, vcc
.LBB52_45:                              ;   in Loop: Header=BB52_12 Depth=3
	s_or_b64 exec, exec, s[52:53]
.LBB52_46:                              ;   in Loop: Header=BB52_12 Depth=3
                                        ; implicit-def: $vgpr10_vgpr11
.LBB52_47:                              ;   in Loop: Header=BB52_12 Depth=3
	s_andn2_saveexec_b64 s[70:71], s[70:71]
	s_cbranch_execz .LBB52_62
; %bb.48:                               ;   in Loop: Header=BB52_12 Depth=3
	v_cmp_lt_i32_e32 vcc, v34, v55
	s_and_saveexec_b64 s[76:77], vcc
	s_cbranch_execz .LBB52_61
; %bb.49:                               ;   in Loop: Header=BB52_12 Depth=3
	s_mov_b64 s[56:57], 0
	v_mov_b32_e32 v16, v34
                                        ; implicit-def: $sgpr58_sgpr59
                                        ; implicit-def: $sgpr54_sgpr55
                                        ; implicit-def: $sgpr52_sgpr53
	s_branch .LBB52_51
.LBB52_50:                              ;   in Loop: Header=BB52_51 Depth=4
	s_or_b64 exec, exec, s[74:75]
	s_and_b64 s[74:75], exec, s[54:55]
	s_or_b64 s[56:57], s[74:75], s[56:57]
	s_andn2_b64 s[58:59], s[58:59], exec
	s_and_b64 s[74:75], s[52:53], exec
	s_or_b64 s[58:59], s[58:59], s[74:75]
	s_andn2_b64 exec, exec, s[56:57]
	s_cbranch_execz .LBB52_53
.LBB52_51:                              ;   Parent Loop BB52_3 Depth=1
                                        ;     Parent Loop BB52_7 Depth=2
                                        ;       Parent Loop BB52_12 Depth=3
                                        ; =>      This Inner Loop Header: Depth=4
	v_add_u32_e32 v14, v32, v16
	v_ashrrev_i32_e32 v15, 31, v14
	v_lshlrev_b64 v[36:37], 2, v[14:15]
	v_mov_b32_e32 v17, s29
	v_add_co_u32_e32 v36, vcc, s28, v36
	v_addc_co_u32_e32 v37, vcc, v17, v37, vcc
	global_load_dword v17, v[36:37], off
	s_or_b64 s[52:53], s[52:53], exec
	s_or_b64 s[54:55], s[54:55], exec
	s_waitcnt vmcnt(0)
	v_subrev_u32_e32 v17, s69, v17
	v_cmp_ne_u32_e32 vcc, v17, v20
	s_and_saveexec_b64 s[74:75], vcc
	s_cbranch_execz .LBB52_50
; %bb.52:                               ;   in Loop: Header=BB52_51 Depth=4
	v_add_u32_e32 v16, 1, v16
	v_cmp_ge_i32_e32 vcc, v16, v55
	s_andn2_b64 s[54:55], s[54:55], exec
	s_and_b64 vcc, vcc, exec
	s_andn2_b64 s[52:53], s[52:53], exec
	s_or_b64 s[54:55], s[54:55], vcc
	s_branch .LBB52_50
.LBB52_53:                              ;   in Loop: Header=BB52_12 Depth=3
	s_or_b64 exec, exec, s[56:57]
	s_and_saveexec_b64 s[52:53], s[58:59]
	s_xor_b64 s[56:57], exec, s[52:53]
	s_cbranch_execz .LBB52_60
; %bb.54:                               ;   in Loop: Header=BB52_12 Depth=3
	v_lshlrev_b64 v[14:15], 4, v[14:15]
	v_mov_b32_e32 v17, s81
	v_add_co_u32_e32 v16, vcc, s80, v14
	v_addc_co_u32_e32 v17, vcc, v17, v15, vcc
	s_andn2_b64 vcc, exec, s[64:65]
	global_store_dwordx4 v[16:17], v[10:13], off
	s_cbranch_vccnz .LBB52_60
; %bb.55:                               ;   in Loop: Header=BB52_12 Depth=3
	v_mov_b32_e32 v16, s31
	v_add_co_u32_e32 v14, vcc, s30, v14
	v_addc_co_u32_e32 v15, vcc, v16, v15, vcc
	global_load_dwordx4 v[14:17], v[14:15], off
	s_waitcnt vmcnt(0)
	v_add_f64 v[10:11], v[14:15], -v[10:11]
	v_add_f64 v[16:17], v[16:17], -v[12:13]
	v_xor_b32_e32 v12, 0x80000000, v11
	v_cmp_gt_f64_e32 vcc, 0, v[10:11]
	v_xor_b32_e32 v13, 0x80000000, v17
	v_cndmask_b32_e32 v11, v11, v12, vcc
	v_cndmask_b32_e32 v10, v10, v10, vcc
	v_cmp_gt_f64_e32 vcc, 0, v[16:17]
	v_cndmask_b32_e32 v13, v17, v13, vcc
	v_cndmask_b32_e32 v12, v16, v16, vcc
	v_cmp_ngt_f64_e32 vcc, v[10:11], v[12:13]
                                        ; implicit-def: $vgpr14_vgpr15
	s_and_saveexec_b64 s[52:53], vcc
	s_xor_b64 s[58:59], exec, s[52:53]
	s_cbranch_execnz .LBB52_115
; %bb.56:                               ;   in Loop: Header=BB52_12 Depth=3
	s_andn2_saveexec_b64 s[52:53], s[58:59]
	s_cbranch_execnz .LBB52_118
.LBB52_57:                              ;   in Loop: Header=BB52_12 Depth=3
	s_or_b64 exec, exec, s[52:53]
	v_cmp_class_f64_e64 s[54:55], v[14:15], s1
	s_and_saveexec_b64 s[52:53], s[54:55]
.LBB52_58:                              ;   in Loop: Header=BB52_12 Depth=3
	v_cmp_lt_f64_e32 vcc, v[4:5], v[14:15]
	v_cndmask_b32_e32 v5, v5, v15, vcc
	v_cndmask_b32_e32 v4, v4, v14, vcc
.LBB52_59:                              ;   in Loop: Header=BB52_12 Depth=3
	s_or_b64 exec, exec, s[52:53]
.LBB52_60:                              ;   in Loop: Header=BB52_12 Depth=3
	s_or_b64 exec, exec, s[56:57]
.LBB52_61:                              ;   in Loop: Header=BB52_12 Depth=3
	s_or_b64 exec, exec, s[76:77]
.LBB52_62:                              ;   in Loop: Header=BB52_12 Depth=3
	s_or_b64 exec, exec, s[70:71]
                                        ; implicit-def: $vgpr10_vgpr11
.LBB52_63:                              ;   in Loop: Header=BB52_12 Depth=3
	s_andn2_saveexec_b64 s[22:23], s[22:23]
	s_cbranch_execz .LBB52_78
; %bb.64:                               ;   in Loop: Header=BB52_12 Depth=3
	v_cmp_lt_i32_e32 vcc, v18, v51
	s_and_saveexec_b64 s[70:71], vcc
	s_cbranch_execz .LBB52_77
; %bb.65:                               ;   in Loop: Header=BB52_12 Depth=3
	s_mov_b64 s[56:57], 0
	v_mov_b32_e32 v16, v18
                                        ; implicit-def: $sgpr58_sgpr59
                                        ; implicit-def: $sgpr54_sgpr55
                                        ; implicit-def: $sgpr52_sgpr53
	s_branch .LBB52_67
.LBB52_66:                              ;   in Loop: Header=BB52_67 Depth=4
	s_or_b64 exec, exec, s[76:77]
	s_and_b64 s[74:75], exec, s[54:55]
	s_or_b64 s[56:57], s[74:75], s[56:57]
	s_andn2_b64 s[58:59], s[58:59], exec
	s_and_b64 s[74:75], s[52:53], exec
	s_or_b64 s[58:59], s[58:59], s[74:75]
	s_andn2_b64 exec, exec, s[56:57]
	s_cbranch_execz .LBB52_69
.LBB52_67:                              ;   Parent Loop BB52_3 Depth=1
                                        ;     Parent Loop BB52_7 Depth=2
                                        ;       Parent Loop BB52_12 Depth=3
                                        ; =>      This Inner Loop Header: Depth=4
	v_add_u32_e32 v14, v24, v16
	v_ashrrev_i32_e32 v15, 31, v14
	v_lshlrev_b64 v[36:37], 2, v[14:15]
	v_mov_b32_e32 v17, s41
	v_add_co_u32_e32 v36, vcc, s40, v36
	v_addc_co_u32_e32 v37, vcc, v17, v37, vcc
	global_load_dword v17, v[36:37], off
	s_or_b64 s[52:53], s[52:53], exec
	s_or_b64 s[54:55], s[54:55], exec
	s_waitcnt vmcnt(0)
	v_subrev_u32_e32 v17, s83, v17
	v_cmp_ne_u32_e32 vcc, v17, v26
	s_and_saveexec_b64 s[76:77], vcc
	s_cbranch_execz .LBB52_66
; %bb.68:                               ;   in Loop: Header=BB52_67 Depth=4
	v_add_u32_e32 v16, 1, v16
	v_cmp_ge_i32_e32 vcc, v16, v51
	s_andn2_b64 s[54:55], s[54:55], exec
	s_and_b64 s[74:75], vcc, exec
	s_andn2_b64 s[52:53], s[52:53], exec
	s_or_b64 s[54:55], s[54:55], s[74:75]
	s_branch .LBB52_66
.LBB52_69:                              ;   in Loop: Header=BB52_12 Depth=3
	s_or_b64 exec, exec, s[56:57]
	s_and_saveexec_b64 s[52:53], s[58:59]
	s_xor_b64 s[56:57], exec, s[52:53]
	s_cbranch_execz .LBB52_76
; %bb.70:                               ;   in Loop: Header=BB52_12 Depth=3
	v_lshlrev_b64 v[14:15], 4, v[14:15]
	v_mov_b32_e32 v17, s79
	v_add_co_u32_e32 v16, vcc, s78, v14
	v_addc_co_u32_e32 v17, vcc, v17, v15, vcc
	s_andn2_b64 vcc, exec, s[64:65]
	global_store_dwordx4 v[16:17], v[10:13], off
	s_cbranch_vccnz .LBB52_76
; %bb.71:                               ;   in Loop: Header=BB52_12 Depth=3
	v_mov_b32_e32 v16, s43
	v_add_co_u32_e32 v14, vcc, s42, v14
	v_addc_co_u32_e32 v15, vcc, v16, v15, vcc
	global_load_dwordx4 v[14:17], v[14:15], off
	s_waitcnt vmcnt(0)
	v_add_f64 v[10:11], v[14:15], -v[10:11]
	v_add_f64 v[16:17], v[16:17], -v[12:13]
	v_xor_b32_e32 v12, 0x80000000, v11
	v_cmp_gt_f64_e32 vcc, 0, v[10:11]
	v_xor_b32_e32 v13, 0x80000000, v17
	v_cndmask_b32_e32 v11, v11, v12, vcc
	v_cndmask_b32_e32 v10, v10, v10, vcc
	v_cmp_gt_f64_e32 vcc, 0, v[16:17]
	v_cndmask_b32_e32 v13, v17, v13, vcc
	v_cndmask_b32_e32 v12, v16, v16, vcc
	v_cmp_ngt_f64_e32 vcc, v[10:11], v[12:13]
                                        ; implicit-def: $vgpr14_vgpr15
	s_and_saveexec_b64 s[52:53], vcc
	s_xor_b64 s[58:59], exec, s[52:53]
	s_cbranch_execnz .LBB52_111
; %bb.72:                               ;   in Loop: Header=BB52_12 Depth=3
	s_andn2_saveexec_b64 s[52:53], s[58:59]
	s_cbranch_execnz .LBB52_114
.LBB52_73:                              ;   in Loop: Header=BB52_12 Depth=3
	s_or_b64 exec, exec, s[52:53]
	v_cmp_class_f64_e64 s[54:55], v[14:15], s1
	s_and_saveexec_b64 s[52:53], s[54:55]
.LBB52_74:                              ;   in Loop: Header=BB52_12 Depth=3
	v_cmp_lt_f64_e32 vcc, v[4:5], v[14:15]
	v_cndmask_b32_e32 v5, v5, v15, vcc
	v_cndmask_b32_e32 v4, v4, v14, vcc
.LBB52_75:                              ;   in Loop: Header=BB52_12 Depth=3
	s_or_b64 exec, exec, s[52:53]
.LBB52_76:                              ;   in Loop: Header=BB52_12 Depth=3
	s_or_b64 exec, exec, s[56:57]
.LBB52_77:                              ;   in Loop: Header=BB52_12 Depth=3
	s_or_b64 exec, exec, s[70:71]
.LBB52_78:                              ;   in Loop: Header=BB52_12 Depth=3
	s_or_b64 exec, exec, s[22:23]
	s_or_b64 exec, exec, s[94:95]
	s_and_b64 s[52:53], s[92:93], s[34:35]
	s_and_saveexec_b64 s[22:23], s[52:53]
	s_cbranch_execz .LBB52_11
.LBB52_79:                              ;   in Loop: Header=BB52_12 Depth=3
	v_cmp_ge_i32_e32 vcc, v34, v55
	s_and_saveexec_b64 s[52:53], vcc
	s_xor_b64 s[56:57], exec, s[52:53]
	s_cbranch_execnz .LBB52_86
; %bb.80:                               ;   in Loop: Header=BB52_12 Depth=3
	s_andn2_saveexec_b64 s[56:57], s[56:57]
	s_cbranch_execnz .LBB52_100
.LBB52_81:                              ;   in Loop: Header=BB52_12 Depth=3
	s_or_b64 exec, exec, s[56:57]
	v_cmp_eq_u32_e32 vcc, v20, v26
	s_and_saveexec_b64 s[52:53], vcc
	s_cbranch_execz .LBB52_83
.LBB52_82:                              ;   in Loop: Header=BB52_12 Depth=3
	v_lshlrev_b64 v[10:11], 4, v[26:27]
	v_mov_b32_e32 v12, s61
	v_add_co_u32_e32 v10, vcc, s60, v10
	v_addc_co_u32_e32 v11, vcc, v12, v11, vcc
	global_load_dwordx4 v[10:13], v[10:11], off
	s_waitcnt vmcnt(0)
	v_add_f64 v[28:29], v[28:29], v[10:11]
	v_add_f64 v[30:31], v[30:31], v[12:13]
.LBB52_83:                              ;   in Loop: Header=BB52_12 Depth=3
	s_or_b64 exec, exec, s[52:53]
	v_add_f64 v[6:7], v[6:7], -v[28:29]
	v_add_f64 v[12:13], v[8:9], -v[30:31]
	v_xor_b32_e32 v8, 0x80000000, v7
	v_cmp_gt_f64_e32 vcc, 0, v[6:7]
	v_cndmask_b32_e32 v7, v7, v8, vcc
	v_cndmask_b32_e32 v6, v6, v6, vcc
	v_xor_b32_e32 v8, 0x80000000, v13
	v_cmp_gt_f64_e32 vcc, 0, v[12:13]
	v_cndmask_b32_e32 v9, v13, v8, vcc
	v_cndmask_b32_e32 v8, v12, v12, vcc
	v_cmp_ngt_f64_e32 vcc, v[6:7], v[8:9]
                                        ; implicit-def: $vgpr10_vgpr11
	s_and_saveexec_b64 s[52:53], vcc
	s_xor_b64 s[56:57], exec, s[52:53]
	s_cbranch_execnz .LBB52_91
; %bb.84:                               ;   in Loop: Header=BB52_12 Depth=3
	s_andn2_saveexec_b64 s[52:53], s[56:57]
	s_cbranch_execnz .LBB52_94
.LBB52_85:                              ;   in Loop: Header=BB52_12 Depth=3
	s_or_b64 exec, exec, s[52:53]
	v_cmp_class_f64_e64 s[54:55], v[10:11], s1
	s_and_saveexec_b64 s[52:53], s[54:55]
	s_cbranch_execz .LBB52_10
	s_branch .LBB52_95
.LBB52_86:                              ;   in Loop: Header=BB52_12 Depth=3
	v_cmp_lt_i32_e32 vcc, v18, v51
	s_and_saveexec_b64 s[58:59], vcc
	s_cbranch_execz .LBB52_99
; %bb.87:                               ;   in Loop: Header=BB52_12 Depth=3
	s_mov_b64 s[76:77], 0
                                        ; implicit-def: $sgpr70_sgpr71
                                        ; implicit-def: $sgpr94_sgpr95
                                        ; implicit-def: $sgpr92_sgpr93
	s_branch .LBB52_89
.LBB52_88:                              ;   in Loop: Header=BB52_89 Depth=4
	s_or_b64 exec, exec, s[52:53]
	s_and_b64 s[52:53], exec, s[94:95]
	s_or_b64 s[76:77], s[52:53], s[76:77]
	s_andn2_b64 s[52:53], s[70:71], exec
	s_and_b64 s[54:55], s[92:93], exec
	s_or_b64 s[70:71], s[52:53], s[54:55]
	s_andn2_b64 exec, exec, s[76:77]
	s_cbranch_execz .LBB52_96
.LBB52_89:                              ;   Parent Loop BB52_3 Depth=1
                                        ;     Parent Loop BB52_7 Depth=2
                                        ;       Parent Loop BB52_12 Depth=3
                                        ; =>      This Inner Loop Header: Depth=4
	v_add_u32_e32 v10, v24, v18
	v_ashrrev_i32_e32 v11, 31, v10
	v_lshlrev_b64 v[12:13], 2, v[10:11]
	v_mov_b32_e32 v14, s41
	v_add_co_u32_e32 v12, vcc, s40, v12
	v_addc_co_u32_e32 v13, vcc, v14, v13, vcc
	global_load_dword v12, v[12:13], off
	s_or_b64 s[92:93], s[92:93], exec
	s_or_b64 s[94:95], s[94:95], exec
	s_waitcnt vmcnt(0)
	v_subrev_u32_e32 v12, s83, v12
	v_cmp_ne_u32_e32 vcc, v12, v26
	s_and_saveexec_b64 s[52:53], vcc
	s_cbranch_execz .LBB52_88
; %bb.90:                               ;   in Loop: Header=BB52_89 Depth=4
	v_add_u32_e32 v18, 1, v18
	v_cmp_ge_i32_e32 vcc, v18, v51
	s_andn2_b64 s[54:55], s[94:95], exec
	s_and_b64 s[74:75], vcc, exec
	s_andn2_b64 s[92:93], s[92:93], exec
	s_or_b64 s[94:95], s[54:55], s[74:75]
	s_branch .LBB52_88
.LBB52_91:                              ;   in Loop: Header=BB52_12 Depth=3
	v_cmp_neq_f64_e32 vcc, 0, v[12:13]
	v_pk_mov_b32 v[10:11], 0, 0
	s_and_saveexec_b64 s[52:53], vcc
	s_cbranch_execz .LBB52_93
; %bb.92:                               ;   in Loop: Header=BB52_12 Depth=3
	v_div_scale_f64 v[10:11], s[54:55], v[8:9], v[8:9], v[6:7]
	v_rcp_f64_e32 v[12:13], v[10:11]
	v_div_scale_f64 v[14:15], vcc, v[6:7], v[8:9], v[6:7]
	v_fma_f64 v[16:17], -v[10:11], v[12:13], 1.0
	v_fmac_f64_e32 v[12:13], v[12:13], v[16:17]
	v_fma_f64 v[16:17], -v[10:11], v[12:13], 1.0
	v_fmac_f64_e32 v[12:13], v[12:13], v[16:17]
	v_mul_f64 v[16:17], v[14:15], v[12:13]
	v_fma_f64 v[10:11], -v[10:11], v[16:17], v[14:15]
	v_div_fmas_f64 v[10:11], v[10:11], v[12:13], v[16:17]
	v_div_fixup_f64 v[6:7], v[10:11], v[8:9], v[6:7]
	v_fma_f64 v[6:7], v[6:7], v[6:7], 1.0
	v_cmp_gt_f64_e32 vcc, s[84:85], v[6:7]
	v_cndmask_b32_e64 v10, 0, 1, vcc
	v_lshlrev_b32_e32 v10, 8, v10
	v_ldexp_f64 v[6:7], v[6:7], v10
	v_rsq_f64_e32 v[10:11], v[6:7]
	v_mul_f64 v[12:13], v[6:7], v[10:11]
	v_mul_f64 v[10:11], v[10:11], 0.5
	v_fma_f64 v[14:15], -v[10:11], v[12:13], 0.5
	v_fmac_f64_e32 v[12:13], v[12:13], v[14:15]
	v_fmac_f64_e32 v[10:11], v[10:11], v[14:15]
	v_fma_f64 v[14:15], -v[12:13], v[12:13], v[6:7]
	v_fmac_f64_e32 v[12:13], v[14:15], v[10:11]
	v_fma_f64 v[14:15], -v[12:13], v[12:13], v[6:7]
	v_fmac_f64_e32 v[12:13], v[14:15], v[10:11]
	v_cndmask_b32_e32 v10, 0, v50, vcc
	v_ldexp_f64 v[10:11], v[12:13], v10
	v_cmp_class_f64_e32 vcc, v[6:7], v49
	v_cndmask_b32_e32 v7, v11, v7, vcc
	v_cndmask_b32_e32 v6, v10, v6, vcc
	v_mul_f64 v[10:11], v[8:9], v[6:7]
.LBB52_93:                              ;   in Loop: Header=BB52_12 Depth=3
	s_or_b64 exec, exec, s[52:53]
                                        ; implicit-def: $vgpr6_vgpr7
                                        ; implicit-def: $vgpr8_vgpr9
	s_andn2_saveexec_b64 s[52:53], s[56:57]
	s_cbranch_execz .LBB52_85
.LBB52_94:                              ;   in Loop: Header=BB52_12 Depth=3
	v_div_scale_f64 v[10:11], s[54:55], v[6:7], v[6:7], v[8:9]
	v_rcp_f64_e32 v[12:13], v[10:11]
	v_div_scale_f64 v[14:15], vcc, v[8:9], v[6:7], v[8:9]
	v_fma_f64 v[16:17], -v[10:11], v[12:13], 1.0
	v_fmac_f64_e32 v[12:13], v[12:13], v[16:17]
	v_fma_f64 v[16:17], -v[10:11], v[12:13], 1.0
	v_fmac_f64_e32 v[12:13], v[12:13], v[16:17]
	v_mul_f64 v[16:17], v[14:15], v[12:13]
	v_fma_f64 v[10:11], -v[10:11], v[16:17], v[14:15]
	v_div_fmas_f64 v[10:11], v[10:11], v[12:13], v[16:17]
	v_div_fixup_f64 v[8:9], v[10:11], v[6:7], v[8:9]
	v_fma_f64 v[8:9], v[8:9], v[8:9], 1.0
	v_cmp_gt_f64_e32 vcc, s[84:85], v[8:9]
	v_cndmask_b32_e64 v10, 0, 1, vcc
	v_lshlrev_b32_e32 v10, 8, v10
	v_ldexp_f64 v[8:9], v[8:9], v10
	v_rsq_f64_e32 v[10:11], v[8:9]
	v_mul_f64 v[12:13], v[8:9], v[10:11]
	v_mul_f64 v[10:11], v[10:11], 0.5
	v_fma_f64 v[14:15], -v[10:11], v[12:13], 0.5
	v_fmac_f64_e32 v[12:13], v[12:13], v[14:15]
	v_fma_f64 v[16:17], -v[12:13], v[12:13], v[8:9]
	v_fmac_f64_e32 v[10:11], v[10:11], v[14:15]
	v_fmac_f64_e32 v[12:13], v[16:17], v[10:11]
	v_fma_f64 v[14:15], -v[12:13], v[12:13], v[8:9]
	v_fmac_f64_e32 v[12:13], v[14:15], v[10:11]
	v_cndmask_b32_e32 v10, 0, v50, vcc
	v_ldexp_f64 v[10:11], v[12:13], v10
	v_cmp_class_f64_e32 vcc, v[8:9], v49
	v_cndmask_b32_e32 v9, v11, v9, vcc
	v_cndmask_b32_e32 v8, v10, v8, vcc
	v_mul_f64 v[10:11], v[6:7], v[8:9]
	s_or_b64 exec, exec, s[52:53]
	v_cmp_class_f64_e64 s[54:55], v[10:11], s1
	s_and_saveexec_b64 s[52:53], s[54:55]
	s_cbranch_execz .LBB52_10
.LBB52_95:                              ;   in Loop: Header=BB52_12 Depth=3
	v_cmp_lt_f64_e32 vcc, v[2:3], v[10:11]
	v_cndmask_b32_e32 v3, v3, v11, vcc
	v_cndmask_b32_e32 v2, v2, v10, vcc
	s_branch .LBB52_10
.LBB52_96:                              ;   in Loop: Header=BB52_12 Depth=3
	s_or_b64 exec, exec, s[76:77]
	s_and_saveexec_b64 s[52:53], s[70:71]
	s_xor_b64 s[52:53], exec, s[52:53]
	s_cbranch_execz .LBB52_98
; %bb.97:                               ;   in Loop: Header=BB52_12 Depth=3
	v_lshlrev_b64 v[10:11], 4, v[10:11]
	v_mov_b32_e32 v12, s43
	v_add_co_u32_e32 v14, vcc, s42, v10
	v_addc_co_u32_e32 v15, vcc, v12, v11, vcc
	v_lshlrev_b64 v[10:11], 4, v[26:27]
	v_mov_b32_e32 v12, s61
	v_add_co_u32_e32 v10, vcc, s60, v10
	v_addc_co_u32_e32 v11, vcc, v12, v11, vcc
	global_load_dwordx4 v[10:13], v[10:11], off
	s_nop 0
	global_load_dwordx4 v[14:17], v[14:15], off
	s_waitcnt vmcnt(0)
	v_mul_f64 v[32:33], v[12:13], -v[16:17]
	v_mul_f64 v[12:13], v[12:13], v[14:15]
	v_fmac_f64_e32 v[32:33], v[14:15], v[10:11]
	v_fmac_f64_e32 v[12:13], v[16:17], v[10:11]
	v_add_f64 v[28:29], v[28:29], v[32:33]
	v_add_f64 v[30:31], v[30:31], v[12:13]
.LBB52_98:                              ;   in Loop: Header=BB52_12 Depth=3
	s_or_b64 exec, exec, s[52:53]
.LBB52_99:                              ;   in Loop: Header=BB52_12 Depth=3
	s_or_b64 exec, exec, s[58:59]
                                        ; implicit-def: $vgpr34
                                        ; implicit-def: $vgpr32
                                        ; implicit-def: $vgpr55
	s_andn2_saveexec_b64 s[56:57], s[56:57]
	s_cbranch_execz .LBB52_81
.LBB52_100:                             ;   in Loop: Header=BB52_12 Depth=3
	s_mov_b64 s[70:71], 0
                                        ; implicit-def: $sgpr58_sgpr59
                                        ; implicit-def: $sgpr92_sgpr93
                                        ; implicit-def: $sgpr76_sgpr77
	s_branch .LBB52_102
.LBB52_101:                             ;   in Loop: Header=BB52_102 Depth=4
	s_or_b64 exec, exec, s[52:53]
	s_and_b64 s[52:53], exec, s[92:93]
	s_or_b64 s[70:71], s[52:53], s[70:71]
	s_andn2_b64 s[52:53], s[58:59], exec
	s_and_b64 s[54:55], s[76:77], exec
	s_or_b64 s[58:59], s[52:53], s[54:55]
	s_andn2_b64 exec, exec, s[70:71]
	s_cbranch_execz .LBB52_104
.LBB52_102:                             ;   Parent Loop BB52_3 Depth=1
                                        ;     Parent Loop BB52_7 Depth=2
                                        ;       Parent Loop BB52_12 Depth=3
                                        ; =>      This Inner Loop Header: Depth=4
	v_add_u32_e32 v10, v32, v34
	v_ashrrev_i32_e32 v11, 31, v10
	v_lshlrev_b64 v[12:13], 2, v[10:11]
	v_mov_b32_e32 v14, s29
	v_add_co_u32_e32 v12, vcc, s28, v12
	v_addc_co_u32_e32 v13, vcc, v14, v13, vcc
	global_load_dword v12, v[12:13], off
	s_or_b64 s[76:77], s[76:77], exec
	s_or_b64 s[92:93], s[92:93], exec
	s_waitcnt vmcnt(0)
	v_subrev_u32_e32 v12, s69, v12
	v_cmp_ne_u32_e32 vcc, v12, v20
	s_and_saveexec_b64 s[52:53], vcc
	s_cbranch_execz .LBB52_101
; %bb.103:                              ;   in Loop: Header=BB52_102 Depth=4
	v_add_u32_e32 v34, 1, v34
	v_cmp_ge_i32_e32 vcc, v34, v55
	s_andn2_b64 s[54:55], s[92:93], exec
	s_and_b64 s[74:75], vcc, exec
	s_andn2_b64 s[76:77], s[76:77], exec
	s_or_b64 s[92:93], s[54:55], s[74:75]
	s_branch .LBB52_101
.LBB52_104:                             ;   in Loop: Header=BB52_12 Depth=3
	s_or_b64 exec, exec, s[70:71]
	s_and_saveexec_b64 s[52:53], s[58:59]
	s_xor_b64 s[52:53], exec, s[52:53]
	s_cbranch_execz .LBB52_106
; %bb.105:                              ;   in Loop: Header=BB52_12 Depth=3
	v_lshlrev_b64 v[10:11], 4, v[10:11]
	v_mov_b32_e32 v12, s31
	v_add_co_u32_e32 v10, vcc, s30, v10
	v_addc_co_u32_e32 v11, vcc, v12, v11, vcc
	global_load_dwordx4 v[10:13], v[10:11], off
	s_waitcnt vmcnt(0)
	v_add_f64 v[28:29], v[28:29], v[10:11]
	v_add_f64 v[30:31], v[30:31], v[12:13]
.LBB52_106:                             ;   in Loop: Header=BB52_12 Depth=3
	s_or_b64 exec, exec, s[52:53]
	s_or_b64 exec, exec, s[56:57]
	v_cmp_eq_u32_e32 vcc, v20, v26
	s_and_saveexec_b64 s[52:53], vcc
	s_cbranch_execnz .LBB52_82
	s_branch .LBB52_83
.LBB52_107:                             ;   in Loop: Header=BB52_12 Depth=3
	v_cmp_neq_f64_e32 vcc, 0, v[16:17]
	v_pk_mov_b32 v[14:15], 0, 0
	s_and_saveexec_b64 s[52:53], vcc
	s_cbranch_execz .LBB52_109
; %bb.108:                              ;   in Loop: Header=BB52_12 Depth=3
	v_div_scale_f64 v[14:15], s[54:55], v[12:13], v[12:13], v[10:11]
	v_rcp_f64_e32 v[16:17], v[14:15]
	v_div_scale_f64 v[36:37], vcc, v[10:11], v[12:13], v[10:11]
	v_fma_f64 v[38:39], -v[14:15], v[16:17], 1.0
	v_fmac_f64_e32 v[16:17], v[16:17], v[38:39]
	v_fma_f64 v[38:39], -v[14:15], v[16:17], 1.0
	v_fmac_f64_e32 v[16:17], v[16:17], v[38:39]
	v_mul_f64 v[38:39], v[36:37], v[16:17]
	v_fma_f64 v[14:15], -v[14:15], v[38:39], v[36:37]
	v_div_fmas_f64 v[14:15], v[14:15], v[16:17], v[38:39]
	v_div_fixup_f64 v[10:11], v[14:15], v[12:13], v[10:11]
	v_fma_f64 v[10:11], v[10:11], v[10:11], 1.0
	v_cmp_gt_f64_e32 vcc, s[84:85], v[10:11]
	v_cndmask_b32_e64 v14, 0, 1, vcc
	v_lshlrev_b32_e32 v14, 8, v14
	v_ldexp_f64 v[10:11], v[10:11], v14
	v_rsq_f64_e32 v[14:15], v[10:11]
	v_mul_f64 v[16:17], v[10:11], v[14:15]
	v_mul_f64 v[14:15], v[14:15], 0.5
	v_fma_f64 v[36:37], -v[14:15], v[16:17], 0.5
	v_fmac_f64_e32 v[16:17], v[16:17], v[36:37]
	v_fmac_f64_e32 v[14:15], v[14:15], v[36:37]
	v_fma_f64 v[36:37], -v[16:17], v[16:17], v[10:11]
	v_fmac_f64_e32 v[16:17], v[36:37], v[14:15]
	v_fma_f64 v[36:37], -v[16:17], v[16:17], v[10:11]
	v_fmac_f64_e32 v[16:17], v[36:37], v[14:15]
	v_cndmask_b32_e32 v14, 0, v50, vcc
	v_ldexp_f64 v[14:15], v[16:17], v14
	v_cmp_class_f64_e32 vcc, v[10:11], v49
	v_cndmask_b32_e32 v11, v15, v11, vcc
	v_cndmask_b32_e32 v10, v14, v10, vcc
	v_mul_f64 v[14:15], v[12:13], v[10:11]
.LBB52_109:                             ;   in Loop: Header=BB52_12 Depth=3
	s_or_b64 exec, exec, s[52:53]
                                        ; implicit-def: $vgpr10_vgpr11
                                        ; implicit-def: $vgpr12_vgpr13
	s_andn2_saveexec_b64 s[52:53], s[56:57]
	s_cbranch_execz .LBB52_43
.LBB52_110:                             ;   in Loop: Header=BB52_12 Depth=3
	v_div_scale_f64 v[14:15], s[54:55], v[10:11], v[10:11], v[12:13]
	v_rcp_f64_e32 v[16:17], v[14:15]
	v_div_scale_f64 v[36:37], vcc, v[12:13], v[10:11], v[12:13]
	v_fma_f64 v[38:39], -v[14:15], v[16:17], 1.0
	v_fmac_f64_e32 v[16:17], v[16:17], v[38:39]
	v_fma_f64 v[38:39], -v[14:15], v[16:17], 1.0
	v_fmac_f64_e32 v[16:17], v[16:17], v[38:39]
	v_mul_f64 v[38:39], v[36:37], v[16:17]
	v_fma_f64 v[14:15], -v[14:15], v[38:39], v[36:37]
	v_div_fmas_f64 v[14:15], v[14:15], v[16:17], v[38:39]
	v_div_fixup_f64 v[12:13], v[14:15], v[10:11], v[12:13]
	v_fma_f64 v[12:13], v[12:13], v[12:13], 1.0
	v_cmp_gt_f64_e32 vcc, s[84:85], v[12:13]
	v_cndmask_b32_e64 v14, 0, 1, vcc
	v_lshlrev_b32_e32 v14, 8, v14
	v_ldexp_f64 v[12:13], v[12:13], v14
	v_rsq_f64_e32 v[14:15], v[12:13]
	v_mul_f64 v[16:17], v[12:13], v[14:15]
	v_mul_f64 v[14:15], v[14:15], 0.5
	v_fma_f64 v[36:37], -v[14:15], v[16:17], 0.5
	v_fmac_f64_e32 v[16:17], v[16:17], v[36:37]
	v_fmac_f64_e32 v[14:15], v[14:15], v[36:37]
	v_fma_f64 v[36:37], -v[16:17], v[16:17], v[12:13]
	v_fmac_f64_e32 v[16:17], v[36:37], v[14:15]
	v_fma_f64 v[36:37], -v[16:17], v[16:17], v[12:13]
	v_fmac_f64_e32 v[16:17], v[36:37], v[14:15]
	v_cndmask_b32_e32 v14, 0, v50, vcc
	v_ldexp_f64 v[14:15], v[16:17], v14
	v_cmp_class_f64_e32 vcc, v[12:13], v49
	v_cndmask_b32_e32 v13, v15, v13, vcc
	v_cndmask_b32_e32 v12, v14, v12, vcc
	v_mul_f64 v[14:15], v[10:11], v[12:13]
	s_or_b64 exec, exec, s[52:53]
	v_cmp_class_f64_e64 s[54:55], v[14:15], s1
	s_and_saveexec_b64 s[52:53], s[54:55]
	s_cbranch_execnz .LBB52_44
	s_branch .LBB52_45
.LBB52_111:                             ;   in Loop: Header=BB52_12 Depth=3
	v_cmp_neq_f64_e32 vcc, 0, v[16:17]
	v_pk_mov_b32 v[14:15], 0, 0
	s_and_saveexec_b64 s[52:53], vcc
	s_cbranch_execz .LBB52_113
; %bb.112:                              ;   in Loop: Header=BB52_12 Depth=3
	v_div_scale_f64 v[14:15], s[54:55], v[12:13], v[12:13], v[10:11]
	v_rcp_f64_e32 v[16:17], v[14:15]
	v_div_scale_f64 v[36:37], vcc, v[10:11], v[12:13], v[10:11]
	v_fma_f64 v[38:39], -v[14:15], v[16:17], 1.0
	v_fmac_f64_e32 v[16:17], v[16:17], v[38:39]
	v_fma_f64 v[38:39], -v[14:15], v[16:17], 1.0
	v_fmac_f64_e32 v[16:17], v[16:17], v[38:39]
	v_mul_f64 v[38:39], v[36:37], v[16:17]
	v_fma_f64 v[14:15], -v[14:15], v[38:39], v[36:37]
	v_div_fmas_f64 v[14:15], v[14:15], v[16:17], v[38:39]
	v_div_fixup_f64 v[10:11], v[14:15], v[12:13], v[10:11]
	v_fma_f64 v[10:11], v[10:11], v[10:11], 1.0
	v_cmp_gt_f64_e32 vcc, s[84:85], v[10:11]
	v_cndmask_b32_e64 v14, 0, 1, vcc
	v_lshlrev_b32_e32 v14, 8, v14
	v_ldexp_f64 v[10:11], v[10:11], v14
	v_rsq_f64_e32 v[14:15], v[10:11]
	v_mul_f64 v[16:17], v[10:11], v[14:15]
	v_mul_f64 v[14:15], v[14:15], 0.5
	v_fma_f64 v[36:37], -v[14:15], v[16:17], 0.5
	v_fmac_f64_e32 v[16:17], v[16:17], v[36:37]
	v_fmac_f64_e32 v[14:15], v[14:15], v[36:37]
	v_fma_f64 v[36:37], -v[16:17], v[16:17], v[10:11]
	v_fmac_f64_e32 v[16:17], v[36:37], v[14:15]
	v_fma_f64 v[36:37], -v[16:17], v[16:17], v[10:11]
	v_fmac_f64_e32 v[16:17], v[36:37], v[14:15]
	v_cndmask_b32_e32 v14, 0, v50, vcc
	v_ldexp_f64 v[14:15], v[16:17], v14
	v_cmp_class_f64_e32 vcc, v[10:11], v49
	v_cndmask_b32_e32 v11, v15, v11, vcc
	v_cndmask_b32_e32 v10, v14, v10, vcc
	v_mul_f64 v[14:15], v[12:13], v[10:11]
.LBB52_113:                             ;   in Loop: Header=BB52_12 Depth=3
	s_or_b64 exec, exec, s[52:53]
                                        ; implicit-def: $vgpr10_vgpr11
                                        ; implicit-def: $vgpr12_vgpr13
	s_andn2_saveexec_b64 s[52:53], s[58:59]
	s_cbranch_execz .LBB52_73
.LBB52_114:                             ;   in Loop: Header=BB52_12 Depth=3
	v_div_scale_f64 v[14:15], s[54:55], v[10:11], v[10:11], v[12:13]
	v_rcp_f64_e32 v[16:17], v[14:15]
	v_div_scale_f64 v[36:37], vcc, v[12:13], v[10:11], v[12:13]
	v_fma_f64 v[38:39], -v[14:15], v[16:17], 1.0
	v_fmac_f64_e32 v[16:17], v[16:17], v[38:39]
	v_fma_f64 v[38:39], -v[14:15], v[16:17], 1.0
	v_fmac_f64_e32 v[16:17], v[16:17], v[38:39]
	v_mul_f64 v[38:39], v[36:37], v[16:17]
	v_fma_f64 v[14:15], -v[14:15], v[38:39], v[36:37]
	v_div_fmas_f64 v[14:15], v[14:15], v[16:17], v[38:39]
	v_div_fixup_f64 v[12:13], v[14:15], v[10:11], v[12:13]
	v_fma_f64 v[12:13], v[12:13], v[12:13], 1.0
	v_cmp_gt_f64_e32 vcc, s[84:85], v[12:13]
	v_cndmask_b32_e64 v14, 0, 1, vcc
	v_lshlrev_b32_e32 v14, 8, v14
	v_ldexp_f64 v[12:13], v[12:13], v14
	v_rsq_f64_e32 v[14:15], v[12:13]
	v_mul_f64 v[16:17], v[12:13], v[14:15]
	v_mul_f64 v[14:15], v[14:15], 0.5
	v_fma_f64 v[36:37], -v[14:15], v[16:17], 0.5
	v_fmac_f64_e32 v[16:17], v[16:17], v[36:37]
	v_fmac_f64_e32 v[14:15], v[14:15], v[36:37]
	v_fma_f64 v[36:37], -v[16:17], v[16:17], v[12:13]
	v_fmac_f64_e32 v[16:17], v[36:37], v[14:15]
	v_fma_f64 v[36:37], -v[16:17], v[16:17], v[12:13]
	v_fmac_f64_e32 v[16:17], v[36:37], v[14:15]
	v_cndmask_b32_e32 v14, 0, v50, vcc
	v_ldexp_f64 v[14:15], v[16:17], v14
	v_cmp_class_f64_e32 vcc, v[12:13], v49
	v_cndmask_b32_e32 v13, v15, v13, vcc
	v_cndmask_b32_e32 v12, v14, v12, vcc
	v_mul_f64 v[14:15], v[10:11], v[12:13]
	s_or_b64 exec, exec, s[52:53]
	v_cmp_class_f64_e64 s[54:55], v[14:15], s1
	s_and_saveexec_b64 s[52:53], s[54:55]
	s_cbranch_execnz .LBB52_74
	s_branch .LBB52_75
.LBB52_115:                             ;   in Loop: Header=BB52_12 Depth=3
	v_cmp_neq_f64_e32 vcc, 0, v[16:17]
	v_pk_mov_b32 v[14:15], 0, 0
	s_and_saveexec_b64 s[52:53], vcc
	s_cbranch_execz .LBB52_117
; %bb.116:                              ;   in Loop: Header=BB52_12 Depth=3
	v_div_scale_f64 v[14:15], s[54:55], v[12:13], v[12:13], v[10:11]
	v_rcp_f64_e32 v[16:17], v[14:15]
	v_div_scale_f64 v[36:37], vcc, v[10:11], v[12:13], v[10:11]
	v_fma_f64 v[38:39], -v[14:15], v[16:17], 1.0
	v_fmac_f64_e32 v[16:17], v[16:17], v[38:39]
	v_fma_f64 v[38:39], -v[14:15], v[16:17], 1.0
	v_fmac_f64_e32 v[16:17], v[16:17], v[38:39]
	v_mul_f64 v[38:39], v[36:37], v[16:17]
	v_fma_f64 v[14:15], -v[14:15], v[38:39], v[36:37]
	v_div_fmas_f64 v[14:15], v[14:15], v[16:17], v[38:39]
	v_div_fixup_f64 v[10:11], v[14:15], v[12:13], v[10:11]
	v_fma_f64 v[10:11], v[10:11], v[10:11], 1.0
	v_cmp_gt_f64_e32 vcc, s[84:85], v[10:11]
	v_cndmask_b32_e64 v14, 0, 1, vcc
	v_lshlrev_b32_e32 v14, 8, v14
	v_ldexp_f64 v[10:11], v[10:11], v14
	v_rsq_f64_e32 v[14:15], v[10:11]
	v_mul_f64 v[16:17], v[10:11], v[14:15]
	v_mul_f64 v[14:15], v[14:15], 0.5
	v_fma_f64 v[36:37], -v[14:15], v[16:17], 0.5
	v_fmac_f64_e32 v[16:17], v[16:17], v[36:37]
	v_fmac_f64_e32 v[14:15], v[14:15], v[36:37]
	v_fma_f64 v[36:37], -v[16:17], v[16:17], v[10:11]
	v_fmac_f64_e32 v[16:17], v[36:37], v[14:15]
	v_fma_f64 v[36:37], -v[16:17], v[16:17], v[10:11]
	v_fmac_f64_e32 v[16:17], v[36:37], v[14:15]
	v_cndmask_b32_e32 v14, 0, v50, vcc
	v_ldexp_f64 v[14:15], v[16:17], v14
	v_cmp_class_f64_e32 vcc, v[10:11], v49
	v_cndmask_b32_e32 v11, v15, v11, vcc
	v_cndmask_b32_e32 v10, v14, v10, vcc
	v_mul_f64 v[14:15], v[12:13], v[10:11]
.LBB52_117:                             ;   in Loop: Header=BB52_12 Depth=3
	s_or_b64 exec, exec, s[52:53]
                                        ; implicit-def: $vgpr10_vgpr11
                                        ; implicit-def: $vgpr12_vgpr13
	s_andn2_saveexec_b64 s[52:53], s[58:59]
	s_cbranch_execz .LBB52_57
.LBB52_118:                             ;   in Loop: Header=BB52_12 Depth=3
	v_div_scale_f64 v[14:15], s[54:55], v[10:11], v[10:11], v[12:13]
	v_rcp_f64_e32 v[16:17], v[14:15]
	v_div_scale_f64 v[36:37], vcc, v[12:13], v[10:11], v[12:13]
	v_fma_f64 v[38:39], -v[14:15], v[16:17], 1.0
	v_fmac_f64_e32 v[16:17], v[16:17], v[38:39]
	v_fma_f64 v[38:39], -v[14:15], v[16:17], 1.0
	v_fmac_f64_e32 v[16:17], v[16:17], v[38:39]
	v_mul_f64 v[38:39], v[36:37], v[16:17]
	v_fma_f64 v[14:15], -v[14:15], v[38:39], v[36:37]
	v_div_fmas_f64 v[14:15], v[14:15], v[16:17], v[38:39]
	v_div_fixup_f64 v[12:13], v[14:15], v[10:11], v[12:13]
	v_fma_f64 v[12:13], v[12:13], v[12:13], 1.0
	v_cmp_gt_f64_e32 vcc, s[84:85], v[12:13]
	v_cndmask_b32_e64 v14, 0, 1, vcc
	v_lshlrev_b32_e32 v14, 8, v14
	v_ldexp_f64 v[12:13], v[12:13], v14
	v_rsq_f64_e32 v[14:15], v[12:13]
	v_mul_f64 v[16:17], v[12:13], v[14:15]
	v_mul_f64 v[14:15], v[14:15], 0.5
	v_fma_f64 v[36:37], -v[14:15], v[16:17], 0.5
	v_fmac_f64_e32 v[16:17], v[16:17], v[36:37]
	v_fmac_f64_e32 v[14:15], v[14:15], v[36:37]
	v_fma_f64 v[36:37], -v[16:17], v[16:17], v[12:13]
	v_fmac_f64_e32 v[16:17], v[36:37], v[14:15]
	v_fma_f64 v[36:37], -v[16:17], v[16:17], v[12:13]
	v_fmac_f64_e32 v[16:17], v[36:37], v[14:15]
	v_cndmask_b32_e32 v14, 0, v50, vcc
	v_ldexp_f64 v[14:15], v[16:17], v14
	v_cmp_class_f64_e32 vcc, v[12:13], v49
	v_cndmask_b32_e32 v13, v15, v13, vcc
	v_cndmask_b32_e32 v12, v14, v12, vcc
	v_mul_f64 v[14:15], v[10:11], v[12:13]
	s_or_b64 exec, exec, s[52:53]
	v_cmp_class_f64_e64 s[54:55], v[14:15], s1
	s_and_saveexec_b64 s[52:53], s[54:55]
	s_cbranch_execnz .LBB52_58
	s_branch .LBB52_59
.LBB52_119:                             ;   in Loop: Header=BB52_3 Depth=1
	s_and_b64 vcc, exec, s[64:65]
	s_cbranch_vccz .LBB52_137
; %bb.120:                              ;   in Loop: Header=BB52_3 Depth=1
	v_mov_b32_dpp v6, v4 row_shr:1 row_mask:0xf bank_mask:0xf
	v_mov_b32_dpp v7, v5 row_shr:1 row_mask:0xf bank_mask:0xf
	v_cmp_lt_f64_e32 vcc, v[4:5], v[6:7]
	v_cndmask_b32_e32 v5, v5, v7, vcc
	v_cndmask_b32_e32 v4, v4, v6, vcc
	s_nop 0
	v_mov_b32_dpp v7, v5 row_shr:2 row_mask:0xf bank_mask:0xf
	v_mov_b32_dpp v6, v4 row_shr:2 row_mask:0xf bank_mask:0xf
	v_cmp_lt_f64_e32 vcc, v[4:5], v[6:7]
	v_cndmask_b32_e32 v5, v5, v7, vcc
	v_cndmask_b32_e32 v4, v4, v6, vcc
	s_nop 0
	v_mov_b32_dpp v7, v5 row_shr:4 row_mask:0xf bank_mask:0xe
	v_mov_b32_dpp v6, v4 row_shr:4 row_mask:0xf bank_mask:0xe
	s_mov_b64 s[20:21], exec
	v_readlane_b32 s2, v62, 18
	v_readlane_b32 s3, v62, 19
	s_and_b64 s[2:3], s[20:21], s[2:3]
	s_mov_b64 exec, s[2:3]
	s_cbranch_execz .LBB52_122
; %bb.121:                              ;   in Loop: Header=BB52_3 Depth=1
	v_cmp_lt_f64_e32 vcc, v[4:5], v[6:7]
	v_cndmask_b32_e32 v5, v5, v7, vcc
	v_cndmask_b32_e32 v4, v4, v6, vcc
	ds_write_b64 v46, v[4:5]
.LBB52_122:                             ;   in Loop: Header=BB52_3 Depth=1
	s_or_b64 exec, exec, s[20:21]
	s_waitcnt lgkmcnt(0)
	s_barrier
	s_and_saveexec_b64 s[20:21], s[4:5]
	s_cbranch_execz .LBB52_124
; %bb.123:                              ;   in Loop: Header=BB52_3 Depth=1
	ds_read2st64_b64 v[4:7], v44 offset1:1
	s_waitcnt lgkmcnt(0)
	v_cmp_lt_f64_e32 vcc, v[4:5], v[6:7]
	v_cndmask_b32_e32 v5, v5, v7, vcc
	v_cndmask_b32_e32 v4, v4, v6, vcc
	ds_write_b64 v44, v[4:5]
.LBB52_124:                             ;   in Loop: Header=BB52_3 Depth=1
	s_or_b64 exec, exec, s[20:21]
	s_waitcnt lgkmcnt(0)
	s_barrier
	s_and_saveexec_b64 s[20:21], s[6:7]
	s_cbranch_execz .LBB52_126
; %bb.125:                              ;   in Loop: Header=BB52_3 Depth=1
	ds_read2_b64 v[4:7], v44 offset1:32
	s_waitcnt lgkmcnt(0)
	v_cmp_lt_f64_e32 vcc, v[4:5], v[6:7]
	v_cndmask_b32_e32 v5, v5, v7, vcc
	v_cndmask_b32_e32 v4, v4, v6, vcc
	ds_write_b64 v44, v[4:5]
.LBB52_126:                             ;   in Loop: Header=BB52_3 Depth=1
	s_or_b64 exec, exec, s[20:21]
	s_waitcnt lgkmcnt(0)
	s_barrier
	s_and_saveexec_b64 s[20:21], s[8:9]
	s_cbranch_execz .LBB52_128
; %bb.127:                              ;   in Loop: Header=BB52_3 Depth=1
	ds_read2_b64 v[4:7], v44 offset1:16
	s_waitcnt lgkmcnt(0)
	v_cmp_lt_f64_e32 vcc, v[4:5], v[6:7]
	v_cndmask_b32_e32 v5, v5, v7, vcc
	v_cndmask_b32_e32 v4, v4, v6, vcc
	ds_write_b64 v44, v[4:5]
.LBB52_128:                             ;   in Loop: Header=BB52_3 Depth=1
	;; [unrolled: 13-line block ×5, first 2 shown]
	s_or_b64 exec, exec, s[20:21]
	s_waitcnt lgkmcnt(0)
	s_barrier
	s_and_saveexec_b64 s[20:21], s[16:17]
	s_cbranch_execz .LBB52_136
; %bb.135:                              ;   in Loop: Header=BB52_3 Depth=1
	ds_read_b128 v[4:7], v19
	s_waitcnt lgkmcnt(0)
	v_cmp_lt_f64_e32 vcc, v[4:5], v[6:7]
	v_cndmask_b32_e32 v5, v5, v7, vcc
	v_cndmask_b32_e32 v4, v4, v6, vcc
	ds_write_b64 v19, v[4:5]
.LBB52_136:                             ;   in Loop: Header=BB52_3 Depth=1
	s_or_b64 exec, exec, s[20:21]
	v_readlane_b32 s2, v62, 12
	v_readlane_b32 s3, v62, 13
	s_waitcnt lgkmcnt(0)
	s_barrier
	ds_read_b64 v[4:5], v19
	s_load_dwordx2 s[2:3], s[2:3], 0x0
	s_waitcnt lgkmcnt(0)
	v_div_scale_f64 v[6:7], s[20:21], s[2:3], s[2:3], v[4:5]
	v_rcp_f64_e32 v[8:9], v[6:7]
	v_div_scale_f64 v[10:11], vcc, v[4:5], s[2:3], v[4:5]
	v_fma_f64 v[12:13], -v[6:7], v[8:9], 1.0
	v_fmac_f64_e32 v[8:9], v[8:9], v[12:13]
	v_fma_f64 v[12:13], -v[6:7], v[8:9], 1.0
	v_fmac_f64_e32 v[8:9], v[8:9], v[12:13]
	v_mul_f64 v[12:13], v[10:11], v[8:9]
	v_fma_f64 v[6:7], -v[6:7], v[12:13], v[10:11]
	v_div_fmas_f64 v[6:7], v[6:7], v[8:9], v[12:13]
	v_div_fixup_f64 v[4:5], v[6:7], s[2:3], v[4:5]
.LBB52_137:                             ;   in Loop: Header=BB52_3 Depth=1
	s_andn2_b64 vcc, exec, s[34:35]
	s_cbranch_vccnz .LBB52_155
; %bb.138:                              ;   in Loop: Header=BB52_3 Depth=1
	v_mov_b32_dpp v6, v2 row_shr:1 row_mask:0xf bank_mask:0xf
	v_mov_b32_dpp v7, v3 row_shr:1 row_mask:0xf bank_mask:0xf
	v_cmp_lt_f64_e32 vcc, v[2:3], v[6:7]
	v_cndmask_b32_e32 v3, v3, v7, vcc
	v_cndmask_b32_e32 v2, v2, v6, vcc
	s_nop 0
	v_mov_b32_dpp v7, v3 row_shr:2 row_mask:0xf bank_mask:0xf
	v_mov_b32_dpp v6, v2 row_shr:2 row_mask:0xf bank_mask:0xf
	v_cmp_lt_f64_e32 vcc, v[2:3], v[6:7]
	v_cndmask_b32_e32 v3, v3, v7, vcc
	v_cndmask_b32_e32 v2, v2, v6, vcc
	s_nop 0
	v_mov_b32_dpp v7, v3 row_shr:4 row_mask:0xf bank_mask:0xe
	v_mov_b32_dpp v6, v2 row_shr:4 row_mask:0xf bank_mask:0xe
	s_mov_b64 s[20:21], exec
	v_readlane_b32 s2, v62, 18
	v_readlane_b32 s3, v62, 19
	s_and_b64 s[2:3], s[20:21], s[2:3]
	s_mov_b64 exec, s[2:3]
	s_cbranch_execz .LBB52_140
; %bb.139:                              ;   in Loop: Header=BB52_3 Depth=1
	v_cmp_lt_f64_e32 vcc, v[2:3], v[6:7]
	v_cndmask_b32_e32 v3, v3, v7, vcc
	v_cndmask_b32_e32 v2, v2, v6, vcc
	ds_write_b64 v46, v[2:3]
.LBB52_140:                             ;   in Loop: Header=BB52_3 Depth=1
	s_or_b64 exec, exec, s[20:21]
	s_waitcnt lgkmcnt(0)
	s_barrier
	s_and_saveexec_b64 s[20:21], s[4:5]
	s_cbranch_execz .LBB52_142
; %bb.141:                              ;   in Loop: Header=BB52_3 Depth=1
	ds_read2st64_b64 v[6:9], v44 offset1:1
	s_waitcnt lgkmcnt(0)
	v_cmp_lt_f64_e32 vcc, v[6:7], v[8:9]
	v_cndmask_b32_e32 v3, v7, v9, vcc
	v_cndmask_b32_e32 v2, v6, v8, vcc
	ds_write_b64 v44, v[2:3]
.LBB52_142:                             ;   in Loop: Header=BB52_3 Depth=1
	s_or_b64 exec, exec, s[20:21]
	s_waitcnt lgkmcnt(0)
	s_barrier
	s_and_saveexec_b64 s[20:21], s[6:7]
	s_cbranch_execz .LBB52_144
; %bb.143:                              ;   in Loop: Header=BB52_3 Depth=1
	ds_read2_b64 v[6:9], v44 offset1:32
	s_waitcnt lgkmcnt(0)
	v_cmp_lt_f64_e32 vcc, v[6:7], v[8:9]
	v_cndmask_b32_e32 v3, v7, v9, vcc
	v_cndmask_b32_e32 v2, v6, v8, vcc
	ds_write_b64 v44, v[2:3]
.LBB52_144:                             ;   in Loop: Header=BB52_3 Depth=1
	s_or_b64 exec, exec, s[20:21]
	s_waitcnt lgkmcnt(0)
	s_barrier
	s_and_saveexec_b64 s[20:21], s[8:9]
	s_cbranch_execz .LBB52_146
; %bb.145:                              ;   in Loop: Header=BB52_3 Depth=1
	ds_read2_b64 v[6:9], v44 offset1:16
	s_waitcnt lgkmcnt(0)
	v_cmp_lt_f64_e32 vcc, v[6:7], v[8:9]
	v_cndmask_b32_e32 v3, v7, v9, vcc
	v_cndmask_b32_e32 v2, v6, v8, vcc
	ds_write_b64 v44, v[2:3]
.LBB52_146:                             ;   in Loop: Header=BB52_3 Depth=1
	;; [unrolled: 13-line block ×5, first 2 shown]
	s_or_b64 exec, exec, s[20:21]
	s_waitcnt lgkmcnt(0)
	s_barrier
	s_and_saveexec_b64 s[20:21], s[16:17]
	s_cbranch_execz .LBB52_154
; %bb.153:                              ;   in Loop: Header=BB52_3 Depth=1
	ds_read_b128 v[6:9], v19
	s_waitcnt lgkmcnt(0)
	v_cmp_lt_f64_e32 vcc, v[6:7], v[8:9]
	v_cndmask_b32_e32 v3, v7, v9, vcc
	v_cndmask_b32_e32 v2, v6, v8, vcc
	ds_write_b64 v19, v[2:3]
.LBB52_154:                             ;   in Loop: Header=BB52_3 Depth=1
	s_or_b64 exec, exec, s[20:21]
	v_readlane_b32 s2, v62, 12
	v_readlane_b32 s3, v62, 13
	s_waitcnt lgkmcnt(0)
	s_barrier
	ds_read_b64 v[2:3], v19
	s_load_dwordx2 s[2:3], s[2:3], 0x0
	s_waitcnt lgkmcnt(0)
	v_div_scale_f64 v[6:7], s[20:21], s[2:3], s[2:3], v[2:3]
	v_rcp_f64_e32 v[8:9], v[6:7]
	v_div_scale_f64 v[10:11], vcc, v[2:3], s[2:3], v[2:3]
	v_fma_f64 v[12:13], -v[6:7], v[8:9], 1.0
	v_fmac_f64_e32 v[8:9], v[8:9], v[12:13]
	v_fma_f64 v[12:13], -v[6:7], v[8:9], 1.0
	v_fmac_f64_e32 v[8:9], v[8:9], v[12:13]
	v_mul_f64 v[12:13], v[10:11], v[8:9]
	v_fma_f64 v[6:7], -v[6:7], v[12:13], v[10:11]
	v_div_fmas_f64 v[6:7], v[6:7], v[8:9], v[12:13]
	v_div_fixup_f64 v[2:3], v[6:7], s[2:3], v[2:3]
.LBB52_155:                             ;   in Loop: Header=BB52_3 Depth=1
	s_mov_b64 s[20:21], exec
	v_readlane_b32 s2, v62, 16
	v_readlane_b32 s3, v62, 17
	s_and_b64 s[2:3], s[20:21], s[2:3]
	s_mov_b64 exec, s[2:3]
	s_cbranch_execz .LBB52_167
; %bb.156:                              ;   in Loop: Header=BB52_3 Depth=1
	s_mov_b64 s[22:23], 0
	v_mov_b32_e32 v6, v43
	s_branch .LBB52_158
.LBB52_157:                             ;   in Loop: Header=BB52_158 Depth=2
	s_or_b64 exec, exec, s[56:57]
	v_add_u32_e32 v6, 0x80, v6
	v_cmp_le_u32_e32 vcc, s0, v6
	s_or_b64 s[22:23], vcc, s[22:23]
	s_andn2_b64 exec, exec, s[22:23]
	s_cbranch_execz .LBB52_167
.LBB52_158:                             ;   Parent Loop BB52_3 Depth=1
                                        ; =>  This Loop Header: Depth=2
                                        ;       Child Loop BB52_161 Depth 3
                                        ;       Child Loop BB52_164 Depth 3
	v_cmp_gt_i32_e32 vcc, s33, v6
	s_and_saveexec_b64 s[56:57], vcc
	s_cbranch_execz .LBB52_157
; %bb.159:                              ;   in Loop: Header=BB52_158 Depth=2
	v_ashrrev_i32_e32 v7, 31, v6
	v_lshlrev_b64 v[8:9], 2, v[6:7]
	v_mov_b32_e32 v11, s37
	v_add_co_u32_e32 v10, vcc, s36, v8
	v_addc_co_u32_e32 v11, vcc, v11, v9, vcc
	global_load_dword v12, v[10:11], off
	v_mov_b32_e32 v11, s39
	v_add_co_u32_e32 v10, vcc, s38, v8
	v_addc_co_u32_e32 v11, vcc, v11, v9, vcc
	global_load_dword v11, v[10:11], off
	s_waitcnt vmcnt(1)
	v_add_u32_e32 v10, v47, v12
	s_waitcnt vmcnt(0)
	v_subrev_u32_e32 v16, s83, v11
	v_cmp_lt_i32_e32 vcc, v10, v16
	s_and_saveexec_b64 s[52:53], vcc
	s_cbranch_execz .LBB52_162
; %bb.160:                              ;   in Loop: Header=BB52_158 Depth=2
	v_ashrrev_i32_e32 v11, 31, v10
	v_lshlrev_b64 v[14:15], 4, v[10:11]
	v_mov_b32_e32 v11, s43
	v_add_co_u32_e32 v12, vcc, s42, v14
	v_addc_co_u32_e32 v13, vcc, v11, v15, vcc
	v_mov_b32_e32 v11, s79
	v_add_co_u32_e32 v14, vcc, s78, v14
	v_addc_co_u32_e32 v15, vcc, v11, v15, vcc
	s_mov_b64 s[54:55], 0
.LBB52_161:                             ;   Parent Loop BB52_3 Depth=1
                                        ;     Parent Loop BB52_158 Depth=2
                                        ; =>    This Inner Loop Header: Depth=3
	global_load_dwordx4 v[20:23], v[14:15], off
	v_add_u32_e32 v10, 8, v10
	v_cmp_ge_i32_e32 vcc, v10, v16
	s_or_b64 s[54:55], vcc, s[54:55]
	s_waitcnt vmcnt(0)
	global_store_dwordx4 v[12:13], v[20:23], off
	v_add_co_u32_e32 v12, vcc, 0x80, v12
	v_addc_co_u32_e32 v13, vcc, 0, v13, vcc
	v_add_co_u32_e32 v14, vcc, 0x80, v14
	v_addc_co_u32_e32 v15, vcc, 0, v15, vcc
	s_andn2_b64 exec, exec, s[54:55]
	s_cbranch_execnz .LBB52_161
.LBB52_162:                             ;   in Loop: Header=BB52_158 Depth=2
	s_or_b64 exec, exec, s[52:53]
	v_mov_b32_e32 v11, s25
	v_add_co_u32_e32 v10, vcc, s24, v8
	v_addc_co_u32_e32 v11, vcc, v11, v9, vcc
	global_load_dword v10, v[10:11], off
	v_mov_b32_e32 v11, s27
	v_add_co_u32_e32 v8, vcc, s26, v8
	v_addc_co_u32_e32 v9, vcc, v11, v9, vcc
	global_load_dword v9, v[8:9], off
	s_waitcnt vmcnt(1)
	v_add_u32_e32 v8, v48, v10
	s_waitcnt vmcnt(0)
	v_subrev_u32_e32 v14, s69, v9
	v_cmp_lt_i32_e32 vcc, v8, v14
	s_and_saveexec_b64 s[52:53], vcc
	s_cbranch_execz .LBB52_165
; %bb.163:                              ;   in Loop: Header=BB52_158 Depth=2
	v_ashrrev_i32_e32 v9, 31, v8
	v_lshlrev_b64 v[12:13], 4, v[8:9]
	v_mov_b32_e32 v9, s31
	v_add_co_u32_e32 v10, vcc, s30, v12
	v_addc_co_u32_e32 v11, vcc, v9, v13, vcc
	v_mov_b32_e32 v9, s81
	v_add_co_u32_e32 v12, vcc, s80, v12
	v_addc_co_u32_e32 v13, vcc, v9, v13, vcc
	s_mov_b64 s[54:55], 0
.LBB52_164:                             ;   Parent Loop BB52_3 Depth=1
                                        ;     Parent Loop BB52_158 Depth=2
                                        ; =>    This Inner Loop Header: Depth=3
	global_load_dwordx4 v[20:23], v[12:13], off
	v_add_u32_e32 v8, 8, v8
	v_cmp_ge_i32_e32 vcc, v8, v14
	s_or_b64 s[54:55], vcc, s[54:55]
	s_waitcnt vmcnt(0)
	global_store_dwordx4 v[10:11], v[20:23], off
	v_add_co_u32_e32 v10, vcc, 0x80, v10
	v_addc_co_u32_e32 v11, vcc, 0, v11, vcc
	v_add_co_u32_e32 v12, vcc, 0x80, v12
	v_addc_co_u32_e32 v13, vcc, 0, v13, vcc
	s_andn2_b64 exec, exec, s[54:55]
	s_cbranch_execnz .LBB52_164
.LBB52_165:                             ;   in Loop: Header=BB52_158 Depth=2
	s_or_b64 exec, exec, s[52:53]
	s_and_b64 exec, exec, s[18:19]
	s_cbranch_execz .LBB52_157
; %bb.166:                              ;   in Loop: Header=BB52_158 Depth=2
	v_lshlrev_b64 v[12:13], 4, v[6:7]
	v_mov_b32_e32 v7, s63
	v_add_co_u32_e32 v8, vcc, s62, v12
	v_addc_co_u32_e32 v9, vcc, v7, v13, vcc
	global_load_dwordx4 v[8:11], v[8:9], off
	v_mov_b32_e32 v7, s61
	v_add_co_u32_e32 v12, vcc, s60, v12
	v_addc_co_u32_e32 v13, vcc, v7, v13, vcc
	s_waitcnt vmcnt(0)
	global_store_dwordx4 v[12:13], v[8:11], off
	s_branch .LBB52_157
.LBB52_167:                             ;   in Loop: Header=BB52_3 Depth=1
	s_or_b64 exec, exec, s[20:21]
	s_mov_b64 s[22:23], -1
	s_mov_b64 s[20:21], -1
	s_and_b64 vcc, exec, s[66:67]
	s_cbranch_vccz .LBB52_177
; %bb.168:                              ;   in Loop: Header=BB52_3 Depth=1
	v_readlane_b32 s2, v62, 20
	v_readlane_b32 s3, v62, 21
	s_and_b64 vcc, exec, s[2:3]
                                        ; implicit-def: $sgpr52_sgpr53
	s_cbranch_vccz .LBB52_174
; %bb.169:                              ;   in Loop: Header=BB52_3 Depth=1
	v_readlane_b32 s2, v62, 14
	v_readlane_b32 s3, v62, 15
	s_and_b64 vcc, exec, s[2:3]
                                        ; implicit-def: $sgpr52_sgpr53
	s_cbranch_vccz .LBB52_171
; %bb.170:                              ;   in Loop: Header=BB52_3 Depth=1
	v_readlane_b32 s52, v62, 0
	v_readlane_b32 s54, v62, 2
	;; [unrolled: 1-line block ×4, first 2 shown]
	v_cmp_ge_f64_e32 vcc, s[54:55], v[2:3]
	s_mov_b64 s[20:21], 0
	s_and_b64 s[52:53], vcc, exec
.LBB52_171:                             ;   in Loop: Header=BB52_3 Depth=1
	s_andn2_b64 vcc, exec, s[20:21]
	s_cbranch_vccnz .LBB52_173
; %bb.172:                              ;   in Loop: Header=BB52_3 Depth=1
	v_readlane_b32 s56, v62, 0
	v_readlane_b32 s58, v62, 2
	;; [unrolled: 1-line block ×3, first 2 shown]
	v_cmp_ge_f64_e32 vcc, s[58:59], v[4:5]
	s_andn2_b64 s[2:3], s[52:53], exec
	s_and_b64 s[20:21], vcc, exec
	s_or_b64 s[52:53], s[2:3], s[20:21]
	v_readlane_b32 s57, v62, 1
.LBB52_173:                             ;   in Loop: Header=BB52_3 Depth=1
	s_mov_b64 s[20:21], 0
.LBB52_174:                             ;   in Loop: Header=BB52_3 Depth=1
	s_andn2_b64 vcc, exec, s[20:21]
	s_cbranch_vccnz .LBB52_176
; %bb.175:                              ;   in Loop: Header=BB52_3 Depth=1
	v_readlane_b32 s56, v62, 0
	v_readlane_b32 s58, v62, 2
	v_readlane_b32 s59, v62, 3
	v_cmp_ge_f64_e32 vcc, s[58:59], v[4:5]
	v_cmp_ge_f64_e64 s[20:21], s[58:59], v[2:3]
	s_and_b64 s[2:3], vcc, s[20:21]
	s_andn2_b64 s[20:21], s[52:53], exec
	s_and_b64 s[2:3], s[2:3], exec
	s_or_b64 s[52:53], s[20:21], s[2:3]
	v_readlane_b32 s57, v62, 1
.LBB52_176:                             ;   in Loop: Header=BB52_3 Depth=1
	s_xor_b64 s[20:21], s[52:53], -1
.LBB52_177:                             ;   in Loop: Header=BB52_3 Depth=1
	v_mov_b32_e32 v6, s68
	s_and_saveexec_b64 s[52:53], s[20:21]
	s_cbranch_execz .LBB52_2
; %bb.178:                              ;   in Loop: Header=BB52_3 Depth=1
	v_readlane_b32 s2, v62, 4
	s_add_i32 s68, s68, 1
	v_readlane_b32 s3, v62, 5
	s_cmp_eq_u32 s68, s3
	s_mov_b32 s21, s3
	s_cselect_b64 s[2:3], -1, 0
	v_mov_b32_e32 v6, s21
	s_orn2_b64 s[22:23], s[2:3], exec
	s_branch .LBB52_2
.LBB52_179:
	s_or_b64 exec, exec, s[72:73]
	v_readlane_b32 s20, v62, 8
	v_readlane_b32 s21, v62, 9
	;; [unrolled: 1-line block ×4, first 2 shown]
.LBB52_180:
	v_readlane_b32 s0, v62, 6
	v_readlane_b32 s1, v62, 7
	s_or_b64 exec, exec, s[0:1]
	s_andn2_b64 vcc, exec, s[66:67]
	s_cbranch_vccnz .LBB52_201
; %bb.181:
	v_mov_b32_dpp v7, v6 row_shr:1 row_mask:0xf bank_mask:0xf
	v_max_i32_e32 v6, v6, v7
	v_cmp_eq_u32_e32 vcc, 7, v42
	s_nop 0
	v_mov_b32_dpp v7, v6 row_shr:2 row_mask:0xf bank_mask:0xf
	v_max_i32_e32 v6, v6, v7
	s_nop 1
	v_mov_b32_dpp v7, v6 row_shr:4 row_mask:0xf bank_mask:0xe
	s_and_saveexec_b64 s[0:1], vcc
	s_cbranch_execz .LBB52_183
; %bb.182:
	v_lshlrev_b32_e32 v1, 2, v1
	v_max_i32_e32 v6, v6, v7
	ds_write_b32 v1, v6 offset:1024
.LBB52_183:
	s_or_b64 exec, exec, s[0:1]
	v_cmp_gt_u32_e32 vcc, 64, v0
	v_lshlrev_b32_e32 v1, 2, v0
	s_waitcnt lgkmcnt(0)
	s_barrier
	s_and_saveexec_b64 s[0:1], vcc
	s_cbranch_execz .LBB52_185
; %bb.184:
	ds_read2st64_b32 v[6:7], v1 offset0:4 offset1:5
	s_waitcnt lgkmcnt(0)
	v_max_i32_e32 v6, v6, v7
	ds_write_b32 v1, v6 offset:1024
.LBB52_185:
	s_or_b64 exec, exec, s[0:1]
	v_cmp_gt_u32_e32 vcc, 32, v0
	s_waitcnt lgkmcnt(0)
	s_barrier
	s_and_saveexec_b64 s[0:1], vcc
	s_cbranch_execz .LBB52_187
; %bb.186:
	v_add_u32_e32 v6, 0x400, v1
	ds_read2_b32 v[6:7], v6 offset1:32
	s_waitcnt lgkmcnt(0)
	v_max_i32_e32 v6, v6, v7
	ds_write_b32 v1, v6 offset:1024
.LBB52_187:
	s_or_b64 exec, exec, s[0:1]
	v_cmp_gt_u32_e32 vcc, 16, v0
	s_waitcnt lgkmcnt(0)
	s_barrier
	s_and_saveexec_b64 s[0:1], vcc
	s_cbranch_execz .LBB52_189
; %bb.188:
	v_add_u32_e32 v6, 0x400, v1
	ds_read2_b32 v[6:7], v6 offset1:16
	s_waitcnt lgkmcnt(0)
	v_max_i32_e32 v6, v6, v7
	ds_write_b32 v1, v6 offset:1024
.LBB52_189:
	;; [unrolled: 13-line block ×5, first 2 shown]
	s_or_b64 exec, exec, s[0:1]
	v_cmp_eq_u32_e32 vcc, 0, v0
	s_waitcnt lgkmcnt(0)
	s_barrier
	s_and_saveexec_b64 s[0:1], vcc
	s_cbranch_execz .LBB52_197
; %bb.196:
	v_mov_b32_e32 v1, 0
	ds_read_b64 v[6:7], v1 offset:1024
	s_waitcnt lgkmcnt(0)
	v_max_i32_e32 v6, v6, v7
	ds_write_b32 v1, v6 offset:1024
.LBB52_197:
	s_or_b64 exec, exec, s[0:1]
	s_waitcnt lgkmcnt(0)
	s_barrier
	s_and_saveexec_b64 s[0:1], vcc
	s_cbranch_execz .LBB52_200
; %bb.198:
	v_mbcnt_lo_u32_b32 v1, exec_lo, 0
	v_mbcnt_hi_u32_b32 v1, exec_hi, v1
	v_cmp_eq_u32_e32 vcc, 0, v1
	s_and_b64 exec, exec, vcc
	s_cbranch_execz .LBB52_200
; %bb.199:
	v_mov_b32_e32 v1, 0
	ds_read_b32 v6, v1 offset:1024
	v_readlane_b32 s4, v62, 0
	v_readlane_b32 s5, v62, 1
	;; [unrolled: 1-line block ×4, first 2 shown]
	s_waitcnt lgkmcnt(0)
	v_add_u32_e32 v6, 1, v6
	s_nop 0
	global_atomic_smax v1, v6, s[4:5]
.LBB52_200:
	s_or_b64 exec, exec, s[0:1]
.LBB52_201:
	v_cmp_eq_u32_e32 vcc, 0, v0
	s_mov_b32 s0, 0
	s_and_b64 s[2:3], vcc, s[64:65]
	s_and_saveexec_b64 s[4:5], s[2:3]
	s_cbranch_execz .LBB52_206
; %bb.202:
	v_mov_b32_e32 v0, 0
	global_load_dwordx2 v[6:7], v0, s[20:21] glc
	s_brev_b32 s1, 1
	s_mov_b64 s[6:7], 0
                                        ; implicit-def: $sgpr8_sgpr9
                                        ; implicit-def: $sgpr10_sgpr11
	s_waitcnt vmcnt(0)
	v_cmp_eq_u64_e64 s[12:13], s[0:1], v[6:7]
	v_cmp_eq_f64_e64 s[0:1], 0, v[4:5]
	s_branch .LBB52_204
.LBB52_203:                             ;   in Loop: Header=BB52_204 Depth=1
	s_or_b64 exec, exec, s[14:15]
	s_and_b64 s[2:3], exec, s[8:9]
	s_or_b64 s[6:7], s[2:3], s[6:7]
	s_andn2_b64 s[2:3], s[12:13], exec
	s_and_b64 s[12:13], s[10:11], exec
	s_or_b64 s[12:13], s[2:3], s[12:13]
	s_andn2_b64 exec, exec, s[6:7]
	s_cbranch_execz .LBB52_206
.LBB52_204:                             ; =>This Inner Loop Header: Depth=1
	v_cmp_lt_f64_e64 s[2:3], v[6:7], v[4:5]
	s_and_b64 s[14:15], s[0:1], s[12:13]
	s_or_b64 s[2:3], s[2:3], s[14:15]
	s_andn2_b64 s[10:11], s[10:11], exec
	s_or_b64 s[8:9], s[8:9], exec
	s_and_saveexec_b64 s[14:15], s[2:3]
	s_cbranch_execz .LBB52_203
; %bb.205:                              ;   in Loop: Header=BB52_204 Depth=1
	global_atomic_cmpswap_x2 v[8:9], v0, v[4:7], s[20:21] glc
	s_andn2_b64 s[8:9], s[8:9], exec
	s_andn2_b64 s[10:11], s[10:11], exec
                                        ; implicit-def: $sgpr12_sgpr13
	s_waitcnt vmcnt(0)
	v_cmp_eq_u64_e64 s[2:3], v[8:9], v[6:7]
	v_cndmask_b32_e64 v7, v9, v7, s[2:3]
	v_cndmask_b32_e64 v6, v8, v6, s[2:3]
	s_and_b64 s[2:3], s[2:3], exec
	v_cmp_class_f64_e64 s[16:17], v[6:7], 32
	s_or_b64 s[8:9], s[8:9], s[2:3]
	s_and_b64 s[2:3], s[16:17], exec
	s_or_b64 s[10:11], s[10:11], s[2:3]
	v_pk_mov_b32 v[6:7], v[8:9], v[8:9] op_sel:[0,1]
	s_branch .LBB52_203
.LBB52_206:
	s_or_b64 exec, exec, s[4:5]
	s_and_b64 s[0:1], vcc, s[34:35]
	s_and_saveexec_b64 s[2:3], s[0:1]
	s_cbranch_execz .LBB52_211
; %bb.207:
	v_mov_b32_e32 v0, 0
	global_load_dwordx2 v[4:5], v0, s[22:23] glc
	s_mov_b32 s0, 0
	s_brev_b32 s1, 1
	s_mov_b64 s[2:3], 0
	v_cmp_eq_f64_e32 vcc, 0, v[2:3]
                                        ; implicit-def: $sgpr4_sgpr5
                                        ; implicit-def: $sgpr6_sgpr7
	s_waitcnt vmcnt(0)
	v_cmp_eq_u64_e64 s[8:9], s[0:1], v[4:5]
	s_branch .LBB52_209
.LBB52_208:                             ;   in Loop: Header=BB52_209 Depth=1
	s_or_b64 exec, exec, s[10:11]
	s_and_b64 s[0:1], exec, s[4:5]
	s_or_b64 s[2:3], s[0:1], s[2:3]
	s_andn2_b64 s[0:1], s[8:9], exec
	s_and_b64 s[8:9], s[6:7], exec
	s_or_b64 s[8:9], s[0:1], s[8:9]
	s_andn2_b64 exec, exec, s[2:3]
	s_cbranch_execz .LBB52_211
.LBB52_209:                             ; =>This Inner Loop Header: Depth=1
	v_cmp_lt_f64_e64 s[0:1], v[4:5], v[2:3]
	s_and_b64 s[10:11], vcc, s[8:9]
	s_or_b64 s[0:1], s[0:1], s[10:11]
	s_andn2_b64 s[6:7], s[6:7], exec
	s_or_b64 s[4:5], s[4:5], exec
	s_and_saveexec_b64 s[10:11], s[0:1]
	s_cbranch_execz .LBB52_208
; %bb.210:                              ;   in Loop: Header=BB52_209 Depth=1
	global_atomic_cmpswap_x2 v[6:7], v0, v[2:5], s[22:23] glc
	s_andn2_b64 s[4:5], s[4:5], exec
	s_andn2_b64 s[6:7], s[6:7], exec
                                        ; implicit-def: $sgpr8_sgpr9
	s_waitcnt vmcnt(0)
	v_cmp_eq_u64_e64 s[0:1], v[6:7], v[4:5]
	v_cndmask_b32_e64 v5, v7, v5, s[0:1]
	v_cndmask_b32_e64 v4, v6, v4, s[0:1]
	s_and_b64 s[0:1], s[0:1], exec
	v_cmp_class_f64_e64 s[12:13], v[4:5], 32
	s_or_b64 s[4:5], s[4:5], s[0:1]
	s_and_b64 s[0:1], s[12:13], exec
	s_or_b64 s[6:7], s[6:7], s[0:1]
	v_pk_mov_b32 v[4:5], v[6:7], v[6:7] op_sel:[0,1]
	s_branch .LBB52_208
.LBB52_211:
	s_endpgm
	.section	.rodata,"a",@progbits
	.p2align	6, 0x0
	.amdhsa_kernel _ZN9rocsparseL6kernelILi1024ELi8E21rocsparse_complex_numIdEiiEEvbbbT3_PS3_NS_15floating_traitsIT1_E6data_tES3_T2_PKS9_SB_PKS3_PKS6_21rocsparse_index_base_SB_SB_SD_PS6_SH_SG_SB_SB_SD_SH_SH_SG_SH_SH_PS8_SI_PKS8_
		.amdhsa_group_segment_fixed_size 1536
		.amdhsa_private_segment_fixed_size 0
		.amdhsa_kernarg_size 208
		.amdhsa_user_sgpr_count 6
		.amdhsa_user_sgpr_private_segment_buffer 1
		.amdhsa_user_sgpr_dispatch_ptr 0
		.amdhsa_user_sgpr_queue_ptr 0
		.amdhsa_user_sgpr_kernarg_segment_ptr 1
		.amdhsa_user_sgpr_dispatch_id 0
		.amdhsa_user_sgpr_flat_scratch_init 0
		.amdhsa_user_sgpr_kernarg_preload_length 0
		.amdhsa_user_sgpr_kernarg_preload_offset 0
		.amdhsa_user_sgpr_private_segment_size 0
		.amdhsa_uses_dynamic_stack 0
		.amdhsa_system_sgpr_private_segment_wavefront_offset 0
		.amdhsa_system_sgpr_workgroup_id_x 1
		.amdhsa_system_sgpr_workgroup_id_y 0
		.amdhsa_system_sgpr_workgroup_id_z 0
		.amdhsa_system_sgpr_workgroup_info 0
		.amdhsa_system_vgpr_workitem_id 0
		.amdhsa_next_free_vgpr 63
		.amdhsa_next_free_sgpr 96
		.amdhsa_accum_offset 64
		.amdhsa_reserve_vcc 1
		.amdhsa_reserve_flat_scratch 0
		.amdhsa_float_round_mode_32 0
		.amdhsa_float_round_mode_16_64 0
		.amdhsa_float_denorm_mode_32 3
		.amdhsa_float_denorm_mode_16_64 3
		.amdhsa_dx10_clamp 1
		.amdhsa_ieee_mode 1
		.amdhsa_fp16_overflow 0
		.amdhsa_tg_split 0
		.amdhsa_exception_fp_ieee_invalid_op 0
		.amdhsa_exception_fp_denorm_src 0
		.amdhsa_exception_fp_ieee_div_zero 0
		.amdhsa_exception_fp_ieee_overflow 0
		.amdhsa_exception_fp_ieee_underflow 0
		.amdhsa_exception_fp_ieee_inexact 0
		.amdhsa_exception_int_div_zero 0
	.end_amdhsa_kernel
	.section	.text._ZN9rocsparseL6kernelILi1024ELi8E21rocsparse_complex_numIdEiiEEvbbbT3_PS3_NS_15floating_traitsIT1_E6data_tES3_T2_PKS9_SB_PKS3_PKS6_21rocsparse_index_base_SB_SB_SD_PS6_SH_SG_SB_SB_SD_SH_SH_SG_SH_SH_PS8_SI_PKS8_,"axG",@progbits,_ZN9rocsparseL6kernelILi1024ELi8E21rocsparse_complex_numIdEiiEEvbbbT3_PS3_NS_15floating_traitsIT1_E6data_tES3_T2_PKS9_SB_PKS3_PKS6_21rocsparse_index_base_SB_SB_SD_PS6_SH_SG_SB_SB_SD_SH_SH_SG_SH_SH_PS8_SI_PKS8_,comdat
.Lfunc_end52:
	.size	_ZN9rocsparseL6kernelILi1024ELi8E21rocsparse_complex_numIdEiiEEvbbbT3_PS3_NS_15floating_traitsIT1_E6data_tES3_T2_PKS9_SB_PKS3_PKS6_21rocsparse_index_base_SB_SB_SD_PS6_SH_SG_SB_SB_SD_SH_SH_SG_SH_SH_PS8_SI_PKS8_, .Lfunc_end52-_ZN9rocsparseL6kernelILi1024ELi8E21rocsparse_complex_numIdEiiEEvbbbT3_PS3_NS_15floating_traitsIT1_E6data_tES3_T2_PKS9_SB_PKS3_PKS6_21rocsparse_index_base_SB_SB_SD_PS6_SH_SG_SB_SB_SD_SH_SH_SG_SH_SH_PS8_SI_PKS8_
                                        ; -- End function
	.section	.AMDGPU.csdata,"",@progbits
; Kernel info:
; codeLenInByte = 9296
; NumSgprs: 100
; NumVgprs: 63
; NumAgprs: 0
; TotalNumVgprs: 63
; ScratchSize: 0
; MemoryBound: 1
; FloatMode: 240
; IeeeMode: 1
; LDSByteSize: 1536 bytes/workgroup (compile time only)
; SGPRBlocks: 12
; VGPRBlocks: 7
; NumSGPRsForWavesPerEU: 100
; NumVGPRsForWavesPerEU: 63
; AccumOffset: 64
; Occupancy: 8
; WaveLimiterHint : 1
; COMPUTE_PGM_RSRC2:SCRATCH_EN: 0
; COMPUTE_PGM_RSRC2:USER_SGPR: 6
; COMPUTE_PGM_RSRC2:TRAP_HANDLER: 0
; COMPUTE_PGM_RSRC2:TGID_X_EN: 1
; COMPUTE_PGM_RSRC2:TGID_Y_EN: 0
; COMPUTE_PGM_RSRC2:TGID_Z_EN: 0
; COMPUTE_PGM_RSRC2:TIDIG_COMP_CNT: 0
; COMPUTE_PGM_RSRC3_GFX90A:ACCUM_OFFSET: 15
; COMPUTE_PGM_RSRC3_GFX90A:TG_SPLIT: 0
	.section	.text._ZN9rocsparseL6kernelILi1024ELi16E21rocsparse_complex_numIdEiiEEvbbbT3_PS3_NS_15floating_traitsIT1_E6data_tES3_T2_PKS9_SB_PKS3_PKS6_21rocsparse_index_base_SB_SB_SD_PS6_SH_SG_SB_SB_SD_SH_SH_SG_SH_SH_PS8_SI_PKS8_,"axG",@progbits,_ZN9rocsparseL6kernelILi1024ELi16E21rocsparse_complex_numIdEiiEEvbbbT3_PS3_NS_15floating_traitsIT1_E6data_tES3_T2_PKS9_SB_PKS3_PKS6_21rocsparse_index_base_SB_SB_SD_PS6_SH_SG_SB_SB_SD_SH_SH_SG_SH_SH_PS8_SI_PKS8_,comdat
	.globl	_ZN9rocsparseL6kernelILi1024ELi16E21rocsparse_complex_numIdEiiEEvbbbT3_PS3_NS_15floating_traitsIT1_E6data_tES3_T2_PKS9_SB_PKS3_PKS6_21rocsparse_index_base_SB_SB_SD_PS6_SH_SG_SB_SB_SD_SH_SH_SG_SH_SH_PS8_SI_PKS8_ ; -- Begin function _ZN9rocsparseL6kernelILi1024ELi16E21rocsparse_complex_numIdEiiEEvbbbT3_PS3_NS_15floating_traitsIT1_E6data_tES3_T2_PKS9_SB_PKS3_PKS6_21rocsparse_index_base_SB_SB_SD_PS6_SH_SG_SB_SB_SD_SH_SH_SG_SH_SH_PS8_SI_PKS8_
	.p2align	8
	.type	_ZN9rocsparseL6kernelILi1024ELi16E21rocsparse_complex_numIdEiiEEvbbbT3_PS3_NS_15floating_traitsIT1_E6data_tES3_T2_PKS9_SB_PKS3_PKS6_21rocsparse_index_base_SB_SB_SD_PS6_SH_SG_SB_SB_SD_SH_SH_SG_SH_SH_PS8_SI_PKS8_,@function
_ZN9rocsparseL6kernelILi1024ELi16E21rocsparse_complex_numIdEiiEEvbbbT3_PS3_NS_15floating_traitsIT1_E6data_tES3_T2_PKS9_SB_PKS3_PKS6_21rocsparse_index_base_SB_SB_SD_PS6_SH_SG_SB_SB_SD_SH_SH_SG_SH_SH_PS8_SI_PKS8_: ; @_ZN9rocsparseL6kernelILi1024ELi16E21rocsparse_complex_numIdEiiEEvbbbT3_PS3_NS_15floating_traitsIT1_E6data_tES3_T2_PKS9_SB_PKS3_PKS6_21rocsparse_index_base_SB_SB_SD_PS6_SH_SG_SB_SB_SD_SH_SH_SG_SH_SH_PS8_SI_PKS8_
; %bb.0:
	s_load_dword s0, s[4:5], 0x0
	s_load_dwordx2 s[2:3], s[4:5], 0x0
	s_load_dwordx4 s[24:27], s[4:5], 0xb8
	s_load_dwordx4 s[8:11], s[4:5], 0x8
                                        ; implicit-def: $vgpr62 : SGPR spill to VGPR lane
	s_load_dword s33, s[4:5], 0x18
	s_waitcnt lgkmcnt(0)
	s_bitcmp1_b32 s0, 0
	s_cselect_b64 s[64:65], -1, 0
	s_bitcmp1_b32 s0, 8
	v_writelane_b32 v62, s8, 0
	v_writelane_b32 v62, s9, 1
	v_writelane_b32 v62, s10, 2
	s_cselect_b64 s[34:35], -1, 0
	s_bitcmp1_b32 s2, 16
	v_writelane_b32 v62, s11, 3
	s_cselect_b64 s[22:23], -1, 0
	v_lshrrev_b32_e32 v1, 4, v0
	s_lshl_b32 s81, s6, 10
	s_mov_b32 s1, s3
	v_or_b32_e32 v43, s81, v1
	v_writelane_b32 v62, s0, 4
	s_cmp_gt_i32 s3, 0
	v_mov_b32_e32 v6, 0
	v_cmp_gt_i32_e32 vcc, s33, v43
	v_writelane_b32 v62, s1, 5
	s_cselect_b64 s[0:1], -1, 0
	v_pk_mov_b32 v[4:5], 0, 0
	v_and_b32_e32 v42, 15, v0
	v_lshlrev_b32_e32 v44, 3, v0
	s_mov_b32 s66, 0
	v_mov_b32_e32 v7, v6
	s_and_b64 s[0:1], s[0:1], vcc
	s_mov_b64 s[70:71], 0
	v_pk_mov_b32 v[2:3], v[4:5], v[4:5] op_sel:[0,1]
	ds_write_b64 v44, v[6:7]
	s_waitcnt lgkmcnt(0)
	s_barrier
	s_and_saveexec_b64 s[2:3], s[0:1]
	s_cbranch_execz .LBB53_176
; %bb.1:
	v_writelane_b32 v62, s2, 6
	v_writelane_b32 v62, s3, 7
	s_load_dwordx2 s[0:1], s[4:5], 0xc8
	v_writelane_b32 v62, s24, 8
	v_writelane_b32 v62, s25, 9
	;; [unrolled: 1-line block ×4, first 2 shown]
	s_waitcnt lgkmcnt(0)
	v_writelane_b32 v62, s0, 12
	v_writelane_b32 v62, s1, 13
	s_load_dwordx4 s[60:63], s[4:5], 0xa8
	s_load_dwordx8 s[24:31], s[4:5], 0x78
	s_load_dwordx8 s[36:43], s[4:5], 0x48
	;; [unrolled: 1-line block ×3, first 2 shown]
	s_xor_b64 s[0:1], s[34:35], -1
	v_writelane_b32 v62, s0, 14
	s_load_dword s72, s[4:5], 0x40
	s_load_dwordx2 s[76:77], s[4:5], 0x68
	s_load_dword s73, s[4:5], 0x70
	s_load_dwordx2 s[78:79], s[4:5], 0x98
	s_load_dword s80, s[4:5], 0xa0
	s_addk_i32 s81, 0x400
	v_writelane_b32 v62, s1, 15
	v_cmp_gt_u32_e64 s[0:1], s81, v43
	v_writelane_b32 v62, s0, 16
	v_writelane_b32 v62, s1, 17
	s_and_b64 s[0:1], s[34:35], s[22:23]
	s_xor_b64 s[0:1], s[0:1], -1
	v_pk_mov_b32 v[2:3], 0, 0
	s_mov_b32 s82, 0
	s_waitcnt lgkmcnt(0)
	v_subrev_u32_e32 v45, s72, v42
	v_cmp_eq_u32_e64 s[2:3], 15, v42
	v_lshlrev_b32_e32 v46, 3, v1
	v_cmp_gt_u32_e64 s[4:5], 32, v0
	v_cmp_gt_u32_e64 s[6:7], 16, v0
	;; [unrolled: 1-line block ×5, first 2 shown]
	v_cmp_eq_u32_e64 s[14:15], 0, v0
	v_subrev_u32_e32 v47, s73, v42
	v_subrev_u32_e32 v48, s80, v42
	v_cmp_eq_u32_e64 s[16:17], 0, v42
	v_writelane_b32 v62, s0, 18
	s_brev_b32 s83, 8
	v_mov_b32_e32 v49, 0x260
	s_movk_i32 s67, 0x1f8
	v_mov_b32_e32 v19, 0
	v_mov_b32_e32 v50, 0xffffff80
	v_pk_mov_b32 v[4:5], v[2:3], v[2:3] op_sel:[0,1]
	v_writelane_b32 v62, s1, 19
	s_branch .LBB53_3
.LBB53_2:                               ;   in Loop: Header=BB53_3 Depth=1
	s_or_b64 exec, exec, s[52:53]
	s_and_b64 s[0:1], exec, s[20:21]
	s_or_b64 s[70:71], s[0:1], s[70:71]
	s_andn2_b64 exec, exec, s[70:71]
	s_cbranch_execz .LBB53_175
.LBB53_3:                               ; =>This Loop Header: Depth=1
                                        ;     Child Loop BB53_7 Depth 2
                                        ;       Child Loop BB53_12 Depth 3
                                        ;         Child Loop BB53_16 Depth 4
                                        ;         Child Loop BB53_51 Depth 4
	;; [unrolled: 1-line block ×5, first 2 shown]
                                        ;     Child Loop BB53_154 Depth 2
                                        ;       Child Loop BB53_157 Depth 3
                                        ;       Child Loop BB53_160 Depth 3
	s_mov_b32 s0, 0
	v_cndmask_b32_e64 v5, v5, 0, s[34:35]
	v_cndmask_b32_e64 v4, v4, 0, s[34:35]
	;; [unrolled: 1-line block ×4, first 2 shown]
	s_branch .LBB53_7
.LBB53_4:                               ;   in Loop: Header=BB53_7 Depth=2
	s_or_b64 exec, exec, s[88:89]
.LBB53_5:                               ;   in Loop: Header=BB53_7 Depth=2
	s_or_b64 exec, exec, s[86:87]
.LBB53_6:                               ;   in Loop: Header=BB53_7 Depth=2
	s_or_b64 exec, exec, s[84:85]
	s_add_i32 s0, s0, 1
	s_cmp_eq_u32 s0, 16
	s_cbranch_scc1 .LBB53_119
.LBB53_7:                               ;   Parent Loop BB53_3 Depth=1
                                        ; =>  This Loop Header: Depth=2
                                        ;       Child Loop BB53_12 Depth 3
                                        ;         Child Loop BB53_16 Depth 4
                                        ;         Child Loop BB53_51 Depth 4
	;; [unrolled: 1-line block ×5, first 2 shown]
	v_lshl_add_u32 v20, s0, 6, v43
	v_cmp_gt_i32_e32 vcc, s33, v20
	s_and_saveexec_b64 s[84:85], vcc
	s_cbranch_execz .LBB53_6
; %bb.8:                                ;   in Loop: Header=BB53_7 Depth=2
	v_ashrrev_i32_e32 v21, 31, v20
	v_lshlrev_b64 v[6:7], 2, v[20:21]
	v_mov_b32_e32 v9, s45
	v_add_co_u32_e32 v8, vcc, s44, v6
	v_addc_co_u32_e32 v9, vcc, v9, v7, vcc
	global_load_dword v10, v[8:9], off
	v_mov_b32_e32 v9, s47
	v_add_co_u32_e32 v8, vcc, s46, v6
	v_addc_co_u32_e32 v9, vcc, v9, v7, vcc
	global_load_dword v8, v[8:9], off
	s_waitcnt vmcnt(1)
	v_add_u32_e32 v22, v45, v10
	s_waitcnt vmcnt(0)
	v_subrev_u32_e32 v21, s72, v8
	v_cmp_lt_i32_e32 vcc, v22, v21
	s_and_saveexec_b64 s[86:87], vcc
	s_cbranch_execz .LBB53_5
; %bb.9:                                ;   in Loop: Header=BB53_7 Depth=2
	v_mov_b32_e32 v9, s39
	v_add_co_u32_e32 v8, vcc, s38, v6
	v_addc_co_u32_e32 v9, vcc, v9, v7, vcc
	v_mov_b32_e32 v10, s37
	v_add_co_u32_e32 v6, vcc, s36, v6
	v_addc_co_u32_e32 v7, vcc, v10, v7, vcc
	global_load_dword v6, v[6:7], off
	s_nop 0
	global_load_dword v7, v[8:9], off
	v_mov_b32_e32 v10, s41
	v_mov_b32_e32 v11, s43
	s_mov_b64 s[88:89], 0
	s_waitcnt vmcnt(1)
	v_subrev_u32_e32 v24, s73, v6
	v_ashrrev_i32_e32 v25, 31, v24
	s_waitcnt vmcnt(0)
	v_sub_u32_e32 v51, v7, v6
	v_lshlrev_b64 v[6:7], 2, v[24:25]
	v_lshlrev_b64 v[8:9], 4, v[24:25]
	v_add_co_u32_e32 v25, vcc, s40, v6
	v_addc_co_u32_e32 v52, vcc, v10, v7, vcc
	v_add_co_u32_e32 v53, vcc, s42, v8
	v_cmp_lt_i32_e64 s[18:19], 0, v51
	v_addc_co_u32_e32 v54, vcc, v11, v9, vcc
	s_branch .LBB53_12
.LBB53_10:                              ;   in Loop: Header=BB53_12 Depth=3
	s_or_b64 exec, exec, s[52:53]
.LBB53_11:                              ;   in Loop: Header=BB53_12 Depth=3
	s_or_b64 exec, exec, s[20:21]
	v_add_u32_e32 v22, 16, v22
	v_cmp_ge_i32_e32 vcc, v22, v21
	s_or_b64 s[88:89], vcc, s[88:89]
	s_andn2_b64 exec, exec, s[88:89]
	s_cbranch_execz .LBB53_4
.LBB53_12:                              ;   Parent Loop BB53_3 Depth=1
                                        ;     Parent Loop BB53_7 Depth=2
                                        ; =>    This Loop Header: Depth=3
                                        ;         Child Loop BB53_16 Depth 4
                                        ;         Child Loop BB53_51 Depth 4
	;; [unrolled: 1-line block ×5, first 2 shown]
	v_ashrrev_i32_e32 v23, 31, v22
	v_lshlrev_b64 v[6:7], 2, v[22:23]
	v_mov_b32_e32 v8, s49
	v_add_co_u32_e32 v6, vcc, s48, v6
	v_addc_co_u32_e32 v7, vcc, v8, v7, vcc
	global_load_dword v6, v[6:7], off
	v_mov_b32_e32 v9, s25
	v_mov_b32_e32 v10, s27
	v_pk_mov_b32 v[28:29], 0, 0
	v_mov_b32_e32 v18, 0
	v_pk_mov_b32 v[30:31], v[28:29], v[28:29] op_sel:[0,1]
	v_mov_b32_e32 v34, 0
	s_waitcnt vmcnt(0)
	v_subrev_u32_e32 v26, s72, v6
	v_ashrrev_i32_e32 v27, 31, v26
	v_lshlrev_b64 v[6:7], 2, v[26:27]
	v_add_co_u32_e32 v8, vcc, s24, v6
	v_addc_co_u32_e32 v9, vcc, v9, v7, vcc
	v_add_co_u32_e32 v6, vcc, s26, v6
	v_addc_co_u32_e32 v7, vcc, v10, v7, vcc
	global_load_dword v8, v[8:9], off
	s_nop 0
	global_load_dword v6, v[6:7], off
	s_waitcnt vmcnt(1)
	v_subrev_u32_e32 v32, s80, v8
	s_waitcnt vmcnt(0)
	v_sub_u32_e32 v55, v6, v8
	s_and_saveexec_b64 s[20:21], s[18:19]
	s_cbranch_execz .LBB53_20
; %bb.13:                               ;   in Loop: Header=BB53_12 Depth=3
	v_ashrrev_i32_e32 v33, 31, v32
	v_lshlrev_b64 v[6:7], 2, v[32:33]
	v_mov_b32_e32 v8, s29
	v_add_co_u32_e32 v6, vcc, s28, v6
	v_addc_co_u32_e32 v7, vcc, v8, v7, vcc
	v_lshlrev_b64 v[8:9], 4, v[32:33]
	v_mov_b32_e32 v10, s31
	v_add_co_u32_e32 v8, vcc, s30, v8
	v_mov_b32_e32 v34, 0
	v_pk_mov_b32 v[28:29], 0, 0
	v_addc_co_u32_e32 v9, vcc, v10, v9, vcc
	s_mov_b64 s[68:69], 0
	v_mov_b32_e32 v18, v34
	v_pk_mov_b32 v[30:31], v[28:29], v[28:29] op_sel:[0,1]
                                        ; implicit-def: $sgpr74_sgpr75
	s_branch .LBB53_16
.LBB53_14:                              ;   in Loop: Header=BB53_16 Depth=4
	s_or_b64 exec, exec, s[52:53]
	v_cmp_le_i32_e32 vcc, v10, v11
	v_addc_co_u32_e32 v18, vcc, 0, v18, vcc
	v_cmp_ge_i32_e32 vcc, v10, v11
	v_addc_co_u32_e32 v34, vcc, 0, v34, vcc
	v_cmp_ge_i32_e32 vcc, v18, v51
	s_andn2_b64 s[52:53], s[74:75], exec
	s_and_b64 s[54:55], vcc, exec
	s_or_b64 s[74:75], s[52:53], s[54:55]
.LBB53_15:                              ;   in Loop: Header=BB53_16 Depth=4
	s_or_b64 exec, exec, s[90:91]
	s_and_b64 s[52:53], exec, s[74:75]
	s_or_b64 s[68:69], s[52:53], s[68:69]
	s_andn2_b64 exec, exec, s[68:69]
	s_cbranch_execz .LBB53_19
.LBB53_16:                              ;   Parent Loop BB53_3 Depth=1
                                        ;     Parent Loop BB53_7 Depth=2
                                        ;       Parent Loop BB53_12 Depth=3
                                        ; =>      This Inner Loop Header: Depth=4
	v_cmp_lt_i32_e32 vcc, v34, v55
	s_or_b64 s[74:75], s[74:75], exec
	s_and_saveexec_b64 s[90:91], vcc
	s_cbranch_execz .LBB53_15
; %bb.17:                               ;   in Loop: Header=BB53_16 Depth=4
	v_lshlrev_b64 v[10:11], 2, v[18:19]
	v_add_co_u32_e32 v10, vcc, v25, v10
	v_addc_co_u32_e32 v11, vcc, v52, v11, vcc
	v_mov_b32_e32 v35, v19
	global_load_dword v12, v[10:11], off
	v_lshlrev_b64 v[10:11], 2, v[34:35]
	v_add_co_u32_e32 v10, vcc, v6, v10
	v_addc_co_u32_e32 v11, vcc, v7, v11, vcc
	global_load_dword v11, v[10:11], off
	s_waitcnt vmcnt(1)
	v_subrev_u32_e32 v10, s73, v12
	s_waitcnt vmcnt(0)
	v_subrev_u32_e32 v11, s80, v11
	v_cmp_eq_u32_e32 vcc, v10, v11
	s_and_saveexec_b64 s[52:53], vcc
	s_cbranch_execz .LBB53_14
; %bb.18:                               ;   in Loop: Header=BB53_16 Depth=4
	v_lshlrev_b64 v[12:13], 4, v[18:19]
	v_add_co_u32_e32 v12, vcc, v53, v12
	v_addc_co_u32_e32 v13, vcc, v54, v13, vcc
	v_lshlrev_b64 v[16:17], 4, v[34:35]
	v_add_co_u32_e32 v16, vcc, v8, v16
	v_addc_co_u32_e32 v17, vcc, v9, v17, vcc
	global_load_dwordx4 v[12:15], v[12:13], off
	s_nop 0
	global_load_dwordx4 v[36:39], v[16:17], off
	s_waitcnt vmcnt(0)
	v_fmac_f64_e32 v[28:29], v[12:13], v[36:37]
	v_fmac_f64_e32 v[30:31], v[14:15], v[36:37]
	v_fma_f64 v[28:29], -v[14:15], v[38:39], v[28:29]
	v_fmac_f64_e32 v[30:31], v[12:13], v[38:39]
	s_branch .LBB53_14
.LBB53_19:                              ;   in Loop: Header=BB53_12 Depth=3
	s_or_b64 exec, exec, s[68:69]
.LBB53_20:                              ;   in Loop: Header=BB53_12 Depth=3
	s_or_b64 exec, exec, s[20:21]
	v_lshlrev_b64 v[6:7], 4, v[22:23]
	v_mov_b32_e32 v8, s51
	v_add_co_u32_e32 v6, vcc, s50, v6
	v_addc_co_u32_e32 v7, vcc, v8, v7, vcc
	global_load_dwordx4 v[6:9], v[6:7], off
	v_cmp_le_i32_e64 s[20:21], v20, v26
	v_cmp_gt_i32_e32 vcc, v20, v26
	s_waitcnt vmcnt(0)
	v_add_f64 v[10:11], v[6:7], -v[28:29]
	v_add_f64 v[12:13], v[8:9], -v[30:31]
	s_and_saveexec_b64 s[68:69], vcc
	s_cbranch_execz .LBB53_30
; %bb.21:                               ;   in Loop: Header=BB53_12 Depth=3
	v_lshlrev_b64 v[14:15], 4, v[26:27]
	v_mov_b32_e32 v16, s61
	v_add_co_u32_e32 v14, vcc, s60, v14
	v_addc_co_u32_e32 v15, vcc, v16, v15, vcc
	global_load_dwordx4 v[14:17], v[14:15], off
                                        ; implicit-def: $vgpr40_vgpr41
	s_waitcnt vmcnt(0)
	v_xor_b32_e32 v23, 0x80000000, v15
	v_cmp_gt_f64_e32 vcc, 0, v[14:15]
	v_xor_b32_e32 v33, 0x80000000, v17
	v_cndmask_b32_e32 v37, v15, v23, vcc
	v_cmp_gt_f64_e32 vcc, 0, v[16:17]
	v_mov_b32_e32 v36, v14
	v_cndmask_b32_e32 v39, v17, v33, vcc
	v_mov_b32_e32 v38, v16
	v_cmp_ngt_f64_e32 vcc, v[36:37], v[38:39]
	s_and_saveexec_b64 s[52:53], vcc
	s_xor_b64 s[56:57], exec, s[52:53]
	s_cbranch_execz .LBB53_25
; %bb.22:                               ;   in Loop: Header=BB53_12 Depth=3
	v_cmp_neq_f64_e32 vcc, 0, v[16:17]
	v_pk_mov_b32 v[40:41], 0, 0
	s_and_saveexec_b64 s[52:53], vcc
	s_cbranch_execz .LBB53_24
; %bb.23:                               ;   in Loop: Header=BB53_12 Depth=3
	v_div_scale_f64 v[40:41], s[54:55], v[38:39], v[38:39], v[36:37]
	v_rcp_f64_e32 v[56:57], v[40:41]
	v_div_scale_f64 v[58:59], vcc, v[36:37], v[38:39], v[36:37]
	v_fma_f64 v[60:61], -v[40:41], v[56:57], 1.0
	v_fmac_f64_e32 v[56:57], v[56:57], v[60:61]
	v_fma_f64 v[60:61], -v[40:41], v[56:57], 1.0
	v_fmac_f64_e32 v[56:57], v[56:57], v[60:61]
	v_mul_f64 v[60:61], v[58:59], v[56:57]
	v_fma_f64 v[40:41], -v[40:41], v[60:61], v[58:59]
	v_div_fmas_f64 v[40:41], v[40:41], v[56:57], v[60:61]
	v_div_fixup_f64 v[36:37], v[40:41], v[38:39], v[36:37]
	v_fma_f64 v[36:37], v[36:37], v[36:37], 1.0
	v_cmp_gt_f64_e32 vcc, s[82:83], v[36:37]
	v_cndmask_b32_e64 v23, 0, 1, vcc
	v_lshlrev_b32_e32 v23, 8, v23
	v_ldexp_f64 v[36:37], v[36:37], v23
	v_rsq_f64_e32 v[40:41], v[36:37]
	v_cndmask_b32_e32 v23, 0, v50, vcc
	v_cmp_class_f64_e32 vcc, v[36:37], v49
	v_mul_f64 v[56:57], v[36:37], v[40:41]
	v_mul_f64 v[40:41], v[40:41], 0.5
	v_fma_f64 v[58:59], -v[40:41], v[56:57], 0.5
	v_fmac_f64_e32 v[56:57], v[56:57], v[58:59]
	v_fmac_f64_e32 v[40:41], v[40:41], v[58:59]
	v_fma_f64 v[58:59], -v[56:57], v[56:57], v[36:37]
	v_fmac_f64_e32 v[56:57], v[58:59], v[40:41]
	v_fma_f64 v[58:59], -v[56:57], v[56:57], v[36:37]
	v_fmac_f64_e32 v[56:57], v[58:59], v[40:41]
	v_ldexp_f64 v[40:41], v[56:57], v23
	v_cndmask_b32_e32 v37, v41, v37, vcc
	v_cndmask_b32_e32 v36, v40, v36, vcc
	v_mul_f64 v[40:41], v[38:39], v[36:37]
.LBB53_24:                              ;   in Loop: Header=BB53_12 Depth=3
	s_or_b64 exec, exec, s[52:53]
                                        ; implicit-def: $vgpr36_vgpr37
                                        ; implicit-def: $vgpr38_vgpr39
.LBB53_25:                              ;   in Loop: Header=BB53_12 Depth=3
	s_andn2_saveexec_b64 s[52:53], s[56:57]
	s_cbranch_execz .LBB53_27
; %bb.26:                               ;   in Loop: Header=BB53_12 Depth=3
	v_div_scale_f64 v[40:41], s[54:55], v[36:37], v[36:37], v[38:39]
	v_rcp_f64_e32 v[56:57], v[40:41]
	v_div_scale_f64 v[58:59], vcc, v[38:39], v[36:37], v[38:39]
	v_fma_f64 v[60:61], -v[40:41], v[56:57], 1.0
	v_fmac_f64_e32 v[56:57], v[56:57], v[60:61]
	v_fma_f64 v[60:61], -v[40:41], v[56:57], 1.0
	v_fmac_f64_e32 v[56:57], v[56:57], v[60:61]
	v_mul_f64 v[60:61], v[58:59], v[56:57]
	v_fma_f64 v[40:41], -v[40:41], v[60:61], v[58:59]
	v_div_fmas_f64 v[40:41], v[40:41], v[56:57], v[60:61]
	v_div_fixup_f64 v[38:39], v[40:41], v[36:37], v[38:39]
	v_fma_f64 v[38:39], v[38:39], v[38:39], 1.0
	v_cmp_gt_f64_e32 vcc, s[82:83], v[38:39]
	v_cndmask_b32_e64 v23, 0, 1, vcc
	v_lshlrev_b32_e32 v23, 8, v23
	v_ldexp_f64 v[38:39], v[38:39], v23
	v_rsq_f64_e32 v[40:41], v[38:39]
	v_cndmask_b32_e32 v23, 0, v50, vcc
	v_cmp_class_f64_e32 vcc, v[38:39], v49
	v_mul_f64 v[56:57], v[38:39], v[40:41]
	v_mul_f64 v[40:41], v[40:41], 0.5
	v_fma_f64 v[58:59], -v[40:41], v[56:57], 0.5
	v_fmac_f64_e32 v[56:57], v[56:57], v[58:59]
	v_fma_f64 v[60:61], -v[56:57], v[56:57], v[38:39]
	v_fmac_f64_e32 v[40:41], v[40:41], v[58:59]
	v_fmac_f64_e32 v[56:57], v[60:61], v[40:41]
	v_fma_f64 v[58:59], -v[56:57], v[56:57], v[38:39]
	v_fmac_f64_e32 v[56:57], v[58:59], v[40:41]
	v_ldexp_f64 v[40:41], v[56:57], v23
	v_cndmask_b32_e32 v39, v41, v39, vcc
	v_cndmask_b32_e32 v38, v40, v38, vcc
	v_mul_f64 v[40:41], v[36:37], v[38:39]
.LBB53_27:                              ;   in Loop: Header=BB53_12 Depth=3
	s_or_b64 exec, exec, s[52:53]
	v_pk_mov_b32 v[38:39], 0, 0
	v_cmp_lt_f64_e32 vcc, 0, v[40:41]
	v_pk_mov_b32 v[36:37], v[38:39], v[38:39] op_sel:[0,1]
	s_and_saveexec_b64 s[52:53], vcc
	s_cbranch_execz .LBB53_29
; %bb.28:                               ;   in Loop: Header=BB53_12 Depth=3
	v_mul_f64 v[36:37], v[16:17], v[16:17]
	v_fmac_f64_e32 v[36:37], v[14:15], v[14:15]
	v_div_scale_f64 v[38:39], s[54:55], v[36:37], v[36:37], 1.0
	v_rcp_f64_e32 v[40:41], v[38:39]
	v_div_scale_f64 v[56:57], vcc, 1.0, v[36:37], 1.0
	v_fma_f64 v[58:59], -v[38:39], v[40:41], 1.0
	v_fmac_f64_e32 v[40:41], v[40:41], v[58:59]
	v_fma_f64 v[58:59], -v[38:39], v[40:41], 1.0
	v_fmac_f64_e32 v[40:41], v[40:41], v[58:59]
	v_mul_f64 v[58:59], v[56:57], v[40:41]
	v_fma_f64 v[38:39], -v[38:39], v[58:59], v[56:57]
	v_div_fmas_f64 v[38:39], v[38:39], v[40:41], v[58:59]
	v_div_fixup_f64 v[38:39], v[38:39], v[36:37], 1.0
	v_mul_f64 v[36:37], v[12:13], v[16:17]
	v_fmac_f64_e32 v[36:37], v[10:11], v[14:15]
	v_mul_f64 v[10:11], v[16:17], -v[10:11]
	v_fmac_f64_e32 v[10:11], v[12:13], v[14:15]
	v_mul_f64 v[36:37], v[36:37], v[38:39]
	v_mul_f64 v[38:39], v[10:11], v[38:39]
.LBB53_29:                              ;   in Loop: Header=BB53_12 Depth=3
	s_or_b64 exec, exec, s[52:53]
	v_pk_mov_b32 v[12:13], v[38:39], v[38:39] op_sel:[0,1]
	v_pk_mov_b32 v[10:11], v[36:37], v[36:37] op_sel:[0,1]
.LBB53_30:                              ;   in Loop: Header=BB53_12 Depth=3
	s_or_b64 exec, exec, s[68:69]
	v_xor_b32_e32 v14, 0x80000000, v11
	v_cmp_gt_f64_e32 vcc, 0, v[10:11]
	v_cndmask_b32_e32 v15, v11, v14, vcc
	v_cndmask_b32_e32 v14, v10, v10, vcc
	v_xor_b32_e32 v16, 0x80000000, v13
	v_cmp_gt_f64_e32 vcc, 0, v[12:13]
	v_cndmask_b32_e32 v17, v13, v16, vcc
	v_cndmask_b32_e32 v16, v12, v12, vcc
	v_cmp_ngt_f64_e32 vcc, v[14:15], v[16:17]
                                        ; implicit-def: $vgpr36_vgpr37
	s_and_saveexec_b64 s[52:53], vcc
	s_xor_b64 s[56:57], exec, s[52:53]
	s_cbranch_execnz .LBB53_34
; %bb.31:                               ;   in Loop: Header=BB53_12 Depth=3
	s_andn2_saveexec_b64 s[52:53], s[56:57]
	s_cbranch_execnz .LBB53_37
.LBB53_32:                              ;   in Loop: Header=BB53_12 Depth=3
	s_or_b64 exec, exec, s[52:53]
	v_cmp_class_f64_e64 s[90:91], v[36:37], s67
	s_and_saveexec_b64 s[92:93], s[90:91]
	s_cbranch_execnz .LBB53_38
.LBB53_33:                              ;   in Loop: Header=BB53_12 Depth=3
	s_or_b64 exec, exec, s[92:93]
	s_and_b64 s[52:53], s[90:91], s[22:23]
	s_and_saveexec_b64 s[20:21], s[52:53]
	s_cbranch_execz .LBB53_11
	s_branch .LBB53_79
.LBB53_34:                              ;   in Loop: Header=BB53_12 Depth=3
	v_cmp_neq_f64_e32 vcc, 0, v[12:13]
	v_pk_mov_b32 v[36:37], 0, 0
	s_and_saveexec_b64 s[52:53], vcc
	s_cbranch_execz .LBB53_36
; %bb.35:                               ;   in Loop: Header=BB53_12 Depth=3
	v_div_scale_f64 v[36:37], s[54:55], v[16:17], v[16:17], v[14:15]
	v_rcp_f64_e32 v[38:39], v[36:37]
	v_div_scale_f64 v[40:41], vcc, v[14:15], v[16:17], v[14:15]
	v_fma_f64 v[56:57], -v[36:37], v[38:39], 1.0
	v_fmac_f64_e32 v[38:39], v[38:39], v[56:57]
	v_fma_f64 v[56:57], -v[36:37], v[38:39], 1.0
	v_fmac_f64_e32 v[38:39], v[38:39], v[56:57]
	v_mul_f64 v[56:57], v[40:41], v[38:39]
	v_fma_f64 v[36:37], -v[36:37], v[56:57], v[40:41]
	v_div_fmas_f64 v[36:37], v[36:37], v[38:39], v[56:57]
	v_div_fixup_f64 v[14:15], v[36:37], v[16:17], v[14:15]
	v_fma_f64 v[14:15], v[14:15], v[14:15], 1.0
	v_cmp_gt_f64_e32 vcc, s[82:83], v[14:15]
	v_cndmask_b32_e64 v23, 0, 1, vcc
	v_lshlrev_b32_e32 v23, 8, v23
	v_ldexp_f64 v[14:15], v[14:15], v23
	v_rsq_f64_e32 v[36:37], v[14:15]
	v_cndmask_b32_e32 v23, 0, v50, vcc
	v_cmp_class_f64_e32 vcc, v[14:15], v49
	v_mul_f64 v[38:39], v[14:15], v[36:37]
	v_mul_f64 v[36:37], v[36:37], 0.5
	v_fma_f64 v[40:41], -v[36:37], v[38:39], 0.5
	v_fmac_f64_e32 v[38:39], v[38:39], v[40:41]
	v_fma_f64 v[56:57], -v[38:39], v[38:39], v[14:15]
	v_fmac_f64_e32 v[36:37], v[36:37], v[40:41]
	v_fmac_f64_e32 v[38:39], v[56:57], v[36:37]
	v_fma_f64 v[40:41], -v[38:39], v[38:39], v[14:15]
	v_fmac_f64_e32 v[38:39], v[40:41], v[36:37]
	v_ldexp_f64 v[36:37], v[38:39], v23
	v_cndmask_b32_e32 v15, v37, v15, vcc
	v_cndmask_b32_e32 v14, v36, v14, vcc
	v_mul_f64 v[36:37], v[16:17], v[14:15]
.LBB53_36:                              ;   in Loop: Header=BB53_12 Depth=3
	s_or_b64 exec, exec, s[52:53]
                                        ; implicit-def: $vgpr14_vgpr15
                                        ; implicit-def: $vgpr16_vgpr17
	s_andn2_saveexec_b64 s[52:53], s[56:57]
	s_cbranch_execz .LBB53_32
.LBB53_37:                              ;   in Loop: Header=BB53_12 Depth=3
	v_div_scale_f64 v[36:37], s[54:55], v[14:15], v[14:15], v[16:17]
	v_rcp_f64_e32 v[38:39], v[36:37]
	v_div_scale_f64 v[40:41], vcc, v[16:17], v[14:15], v[16:17]
	v_fma_f64 v[56:57], -v[36:37], v[38:39], 1.0
	v_fmac_f64_e32 v[38:39], v[38:39], v[56:57]
	v_fma_f64 v[56:57], -v[36:37], v[38:39], 1.0
	v_fmac_f64_e32 v[38:39], v[38:39], v[56:57]
	v_mul_f64 v[56:57], v[40:41], v[38:39]
	v_fma_f64 v[36:37], -v[36:37], v[56:57], v[40:41]
	v_div_fmas_f64 v[36:37], v[36:37], v[38:39], v[56:57]
	v_div_fixup_f64 v[16:17], v[36:37], v[14:15], v[16:17]
	v_fma_f64 v[16:17], v[16:17], v[16:17], 1.0
	v_cmp_gt_f64_e32 vcc, s[82:83], v[16:17]
	v_cndmask_b32_e64 v23, 0, 1, vcc
	v_lshlrev_b32_e32 v23, 8, v23
	v_ldexp_f64 v[16:17], v[16:17], v23
	v_rsq_f64_e32 v[36:37], v[16:17]
	v_cndmask_b32_e32 v23, 0, v50, vcc
	v_cmp_class_f64_e32 vcc, v[16:17], v49
	v_mul_f64 v[38:39], v[16:17], v[36:37]
	v_mul_f64 v[36:37], v[36:37], 0.5
	v_fma_f64 v[40:41], -v[36:37], v[38:39], 0.5
	v_fmac_f64_e32 v[38:39], v[38:39], v[40:41]
	v_fma_f64 v[56:57], -v[38:39], v[38:39], v[16:17]
	v_fmac_f64_e32 v[36:37], v[36:37], v[40:41]
	v_fmac_f64_e32 v[38:39], v[56:57], v[36:37]
	v_fma_f64 v[40:41], -v[38:39], v[38:39], v[16:17]
	v_fmac_f64_e32 v[38:39], v[40:41], v[36:37]
	v_ldexp_f64 v[36:37], v[38:39], v23
	v_cndmask_b32_e32 v17, v37, v17, vcc
	v_cndmask_b32_e32 v16, v36, v16, vcc
	v_mul_f64 v[36:37], v[14:15], v[16:17]
	s_or_b64 exec, exec, s[52:53]
	v_cmp_class_f64_e64 s[90:91], v[36:37], s67
	s_and_saveexec_b64 s[92:93], s[90:91]
	s_cbranch_execz .LBB53_33
.LBB53_38:                              ;   in Loop: Header=BB53_12 Depth=3
	s_and_saveexec_b64 s[52:53], s[20:21]
	s_xor_b64 s[20:21], exec, s[52:53]
	s_cbranch_execz .LBB53_63
; %bb.39:                               ;   in Loop: Header=BB53_12 Depth=3
	v_cmp_ge_i32_e32 vcc, v20, v26
	s_and_saveexec_b64 s[52:53], vcc
	s_xor_b64 s[68:69], exec, s[52:53]
	s_cbranch_execz .LBB53_47
; %bb.40:                               ;   in Loop: Header=BB53_12 Depth=3
	v_lshlrev_b64 v[14:15], 4, v[26:27]
	v_mov_b32_e32 v17, s63
	v_add_co_u32_e32 v16, vcc, s62, v14
	v_addc_co_u32_e32 v17, vcc, v17, v15, vcc
	s_andn2_b64 vcc, exec, s[34:35]
	global_store_dwordx4 v[16:17], v[10:13], off
	s_cbranch_vccnz .LBB53_46
; %bb.41:                               ;   in Loop: Header=BB53_12 Depth=3
	v_mov_b32_e32 v16, s61
	v_add_co_u32_e32 v14, vcc, s60, v14
	v_addc_co_u32_e32 v15, vcc, v16, v15, vcc
	global_load_dwordx4 v[14:17], v[14:15], off
	s_waitcnt vmcnt(0)
	v_add_f64 v[10:11], v[14:15], -v[10:11]
	v_add_f64 v[16:17], v[16:17], -v[12:13]
	v_xor_b32_e32 v12, 0x80000000, v11
	v_cmp_gt_f64_e32 vcc, 0, v[10:11]
	v_xor_b32_e32 v13, 0x80000000, v17
	v_cndmask_b32_e32 v11, v11, v12, vcc
	v_cndmask_b32_e32 v10, v10, v10, vcc
	v_cmp_gt_f64_e32 vcc, 0, v[16:17]
	v_cndmask_b32_e32 v13, v17, v13, vcc
	v_cndmask_b32_e32 v12, v16, v16, vcc
	v_cmp_ngt_f64_e32 vcc, v[10:11], v[12:13]
                                        ; implicit-def: $vgpr14_vgpr15
	s_and_saveexec_b64 s[52:53], vcc
	s_xor_b64 s[56:57], exec, s[52:53]
	s_cbranch_execnz .LBB53_107
; %bb.42:                               ;   in Loop: Header=BB53_12 Depth=3
	s_andn2_saveexec_b64 s[52:53], s[56:57]
	s_cbranch_execnz .LBB53_110
.LBB53_43:                              ;   in Loop: Header=BB53_12 Depth=3
	s_or_b64 exec, exec, s[52:53]
	v_cmp_class_f64_e64 s[54:55], v[14:15], s67
	s_and_saveexec_b64 s[52:53], s[54:55]
.LBB53_44:                              ;   in Loop: Header=BB53_12 Depth=3
	v_cmp_lt_f64_e32 vcc, v[4:5], v[14:15]
	v_cndmask_b32_e32 v5, v5, v15, vcc
	v_cndmask_b32_e32 v4, v4, v14, vcc
.LBB53_45:                              ;   in Loop: Header=BB53_12 Depth=3
	s_or_b64 exec, exec, s[52:53]
.LBB53_46:                              ;   in Loop: Header=BB53_12 Depth=3
                                        ; implicit-def: $vgpr10_vgpr11
.LBB53_47:                              ;   in Loop: Header=BB53_12 Depth=3
	s_andn2_saveexec_b64 s[94:95], s[68:69]
	s_cbranch_execz .LBB53_62
; %bb.48:                               ;   in Loop: Header=BB53_12 Depth=3
	v_cmp_lt_i32_e32 vcc, v34, v55
	s_and_saveexec_b64 s[68:69], vcc
	s_cbranch_execz .LBB53_61
; %bb.49:                               ;   in Loop: Header=BB53_12 Depth=3
	s_mov_b64 s[74:75], 0
	v_mov_b32_e32 v16, v34
                                        ; implicit-def: $sgpr56_sgpr57
                                        ; implicit-def: $sgpr52_sgpr53
                                        ; implicit-def: $sgpr58_sgpr59
	s_branch .LBB53_51
.LBB53_50:                              ;   in Loop: Header=BB53_51 Depth=4
	s_or_b64 exec, exec, s[54:55]
	s_and_b64 s[54:55], exec, s[52:53]
	s_or_b64 s[74:75], s[54:55], s[74:75]
	s_andn2_b64 s[54:55], s[56:57], exec
	s_and_b64 s[56:57], s[58:59], exec
	s_or_b64 s[56:57], s[54:55], s[56:57]
	s_andn2_b64 exec, exec, s[74:75]
	s_cbranch_execz .LBB53_53
.LBB53_51:                              ;   Parent Loop BB53_3 Depth=1
                                        ;     Parent Loop BB53_7 Depth=2
                                        ;       Parent Loop BB53_12 Depth=3
                                        ; =>      This Inner Loop Header: Depth=4
	v_add_u32_e32 v14, v32, v16
	v_ashrrev_i32_e32 v15, 31, v14
	v_lshlrev_b64 v[36:37], 2, v[14:15]
	v_mov_b32_e32 v17, s29
	v_add_co_u32_e32 v36, vcc, s28, v36
	v_addc_co_u32_e32 v37, vcc, v17, v37, vcc
	global_load_dword v17, v[36:37], off
	s_or_b64 s[58:59], s[58:59], exec
	s_or_b64 s[52:53], s[52:53], exec
	s_waitcnt vmcnt(0)
	v_subrev_u32_e32 v17, s80, v17
	v_cmp_ne_u32_e32 vcc, v17, v20
	s_and_saveexec_b64 s[54:55], vcc
	s_cbranch_execz .LBB53_50
; %bb.52:                               ;   in Loop: Header=BB53_51 Depth=4
	v_add_u32_e32 v16, 1, v16
	v_cmp_ge_i32_e32 vcc, v16, v55
	s_andn2_b64 s[52:53], s[52:53], exec
	s_and_b64 vcc, vcc, exec
	s_andn2_b64 s[58:59], s[58:59], exec
	s_or_b64 s[52:53], s[52:53], vcc
	s_branch .LBB53_50
.LBB53_53:                              ;   in Loop: Header=BB53_12 Depth=3
	s_or_b64 exec, exec, s[74:75]
	s_and_saveexec_b64 s[52:53], s[56:57]
	s_xor_b64 s[74:75], exec, s[52:53]
	s_cbranch_execz .LBB53_60
; %bb.54:                               ;   in Loop: Header=BB53_12 Depth=3
	v_lshlrev_b64 v[14:15], 4, v[14:15]
	v_mov_b32_e32 v17, s79
	v_add_co_u32_e32 v16, vcc, s78, v14
	v_addc_co_u32_e32 v17, vcc, v17, v15, vcc
	s_andn2_b64 vcc, exec, s[34:35]
	global_store_dwordx4 v[16:17], v[10:13], off
	s_cbranch_vccnz .LBB53_60
; %bb.55:                               ;   in Loop: Header=BB53_12 Depth=3
	v_mov_b32_e32 v16, s31
	v_add_co_u32_e32 v14, vcc, s30, v14
	v_addc_co_u32_e32 v15, vcc, v16, v15, vcc
	global_load_dwordx4 v[14:17], v[14:15], off
	s_waitcnt vmcnt(0)
	v_add_f64 v[10:11], v[14:15], -v[10:11]
	v_add_f64 v[16:17], v[16:17], -v[12:13]
	v_xor_b32_e32 v12, 0x80000000, v11
	v_cmp_gt_f64_e32 vcc, 0, v[10:11]
	v_xor_b32_e32 v13, 0x80000000, v17
	v_cndmask_b32_e32 v11, v11, v12, vcc
	v_cndmask_b32_e32 v10, v10, v10, vcc
	v_cmp_gt_f64_e32 vcc, 0, v[16:17]
	v_cndmask_b32_e32 v13, v17, v13, vcc
	v_cndmask_b32_e32 v12, v16, v16, vcc
	v_cmp_ngt_f64_e32 vcc, v[10:11], v[12:13]
                                        ; implicit-def: $vgpr14_vgpr15
	s_and_saveexec_b64 s[52:53], vcc
	s_xor_b64 s[56:57], exec, s[52:53]
	s_cbranch_execnz .LBB53_115
; %bb.56:                               ;   in Loop: Header=BB53_12 Depth=3
	s_andn2_saveexec_b64 s[52:53], s[56:57]
	s_cbranch_execnz .LBB53_118
.LBB53_57:                              ;   in Loop: Header=BB53_12 Depth=3
	s_or_b64 exec, exec, s[52:53]
	v_cmp_class_f64_e64 s[54:55], v[14:15], s67
	s_and_saveexec_b64 s[52:53], s[54:55]
.LBB53_58:                              ;   in Loop: Header=BB53_12 Depth=3
	v_cmp_lt_f64_e32 vcc, v[4:5], v[14:15]
	v_cndmask_b32_e32 v5, v5, v15, vcc
	v_cndmask_b32_e32 v4, v4, v14, vcc
.LBB53_59:                              ;   in Loop: Header=BB53_12 Depth=3
	s_or_b64 exec, exec, s[52:53]
.LBB53_60:                              ;   in Loop: Header=BB53_12 Depth=3
	s_or_b64 exec, exec, s[74:75]
.LBB53_61:                              ;   in Loop: Header=BB53_12 Depth=3
	s_or_b64 exec, exec, s[68:69]
.LBB53_62:                              ;   in Loop: Header=BB53_12 Depth=3
	s_or_b64 exec, exec, s[94:95]
                                        ; implicit-def: $vgpr10_vgpr11
.LBB53_63:                              ;   in Loop: Header=BB53_12 Depth=3
	s_andn2_saveexec_b64 s[20:21], s[20:21]
	s_cbranch_execz .LBB53_78
; %bb.64:                               ;   in Loop: Header=BB53_12 Depth=3
	v_cmp_lt_i32_e32 vcc, v18, v51
	s_and_saveexec_b64 s[94:95], vcc
	s_cbranch_execz .LBB53_77
; %bb.65:                               ;   in Loop: Header=BB53_12 Depth=3
	s_mov_b64 s[68:69], 0
	v_mov_b32_e32 v16, v18
                                        ; implicit-def: $sgpr56_sgpr57
                                        ; implicit-def: $sgpr52_sgpr53
                                        ; implicit-def: $sgpr58_sgpr59
	s_branch .LBB53_67
.LBB53_66:                              ;   in Loop: Header=BB53_67 Depth=4
	s_or_b64 exec, exec, s[54:55]
	s_and_b64 s[54:55], exec, s[52:53]
	s_or_b64 s[68:69], s[54:55], s[68:69]
	s_andn2_b64 s[54:55], s[56:57], exec
	s_and_b64 s[56:57], s[58:59], exec
	s_or_b64 s[56:57], s[54:55], s[56:57]
	s_andn2_b64 exec, exec, s[68:69]
	s_cbranch_execz .LBB53_69
.LBB53_67:                              ;   Parent Loop BB53_3 Depth=1
                                        ;     Parent Loop BB53_7 Depth=2
                                        ;       Parent Loop BB53_12 Depth=3
                                        ; =>      This Inner Loop Header: Depth=4
	v_add_u32_e32 v14, v24, v16
	v_ashrrev_i32_e32 v15, 31, v14
	v_lshlrev_b64 v[36:37], 2, v[14:15]
	v_mov_b32_e32 v17, s41
	v_add_co_u32_e32 v36, vcc, s40, v36
	v_addc_co_u32_e32 v37, vcc, v17, v37, vcc
	global_load_dword v17, v[36:37], off
	s_or_b64 s[58:59], s[58:59], exec
	s_or_b64 s[52:53], s[52:53], exec
	s_waitcnt vmcnt(0)
	v_subrev_u32_e32 v17, s73, v17
	v_cmp_ne_u32_e32 vcc, v17, v26
	s_and_saveexec_b64 s[54:55], vcc
	s_cbranch_execz .LBB53_66
; %bb.68:                               ;   in Loop: Header=BB53_67 Depth=4
	v_add_u32_e32 v16, 1, v16
	v_cmp_ge_i32_e32 vcc, v16, v51
	s_andn2_b64 s[52:53], s[52:53], exec
	s_and_b64 s[74:75], vcc, exec
	s_andn2_b64 s[58:59], s[58:59], exec
	s_or_b64 s[52:53], s[52:53], s[74:75]
	s_branch .LBB53_66
.LBB53_69:                              ;   in Loop: Header=BB53_12 Depth=3
	s_or_b64 exec, exec, s[68:69]
	s_and_saveexec_b64 s[52:53], s[56:57]
	s_xor_b64 s[68:69], exec, s[52:53]
	s_cbranch_execz .LBB53_76
; %bb.70:                               ;   in Loop: Header=BB53_12 Depth=3
	v_lshlrev_b64 v[14:15], 4, v[14:15]
	v_mov_b32_e32 v17, s77
	v_add_co_u32_e32 v16, vcc, s76, v14
	v_addc_co_u32_e32 v17, vcc, v17, v15, vcc
	s_andn2_b64 vcc, exec, s[34:35]
	global_store_dwordx4 v[16:17], v[10:13], off
	s_cbranch_vccnz .LBB53_76
; %bb.71:                               ;   in Loop: Header=BB53_12 Depth=3
	v_mov_b32_e32 v16, s43
	v_add_co_u32_e32 v14, vcc, s42, v14
	v_addc_co_u32_e32 v15, vcc, v16, v15, vcc
	global_load_dwordx4 v[14:17], v[14:15], off
	s_waitcnt vmcnt(0)
	v_add_f64 v[10:11], v[14:15], -v[10:11]
	v_add_f64 v[16:17], v[16:17], -v[12:13]
	v_xor_b32_e32 v12, 0x80000000, v11
	v_cmp_gt_f64_e32 vcc, 0, v[10:11]
	v_xor_b32_e32 v13, 0x80000000, v17
	v_cndmask_b32_e32 v11, v11, v12, vcc
	v_cndmask_b32_e32 v10, v10, v10, vcc
	v_cmp_gt_f64_e32 vcc, 0, v[16:17]
	v_cndmask_b32_e32 v13, v17, v13, vcc
	v_cndmask_b32_e32 v12, v16, v16, vcc
	v_cmp_ngt_f64_e32 vcc, v[10:11], v[12:13]
                                        ; implicit-def: $vgpr14_vgpr15
	s_and_saveexec_b64 s[52:53], vcc
	s_xor_b64 s[56:57], exec, s[52:53]
	s_cbranch_execnz .LBB53_111
; %bb.72:                               ;   in Loop: Header=BB53_12 Depth=3
	s_andn2_saveexec_b64 s[52:53], s[56:57]
	s_cbranch_execnz .LBB53_114
.LBB53_73:                              ;   in Loop: Header=BB53_12 Depth=3
	s_or_b64 exec, exec, s[52:53]
	v_cmp_class_f64_e64 s[54:55], v[14:15], s67
	s_and_saveexec_b64 s[52:53], s[54:55]
.LBB53_74:                              ;   in Loop: Header=BB53_12 Depth=3
	v_cmp_lt_f64_e32 vcc, v[4:5], v[14:15]
	v_cndmask_b32_e32 v5, v5, v15, vcc
	v_cndmask_b32_e32 v4, v4, v14, vcc
.LBB53_75:                              ;   in Loop: Header=BB53_12 Depth=3
	s_or_b64 exec, exec, s[52:53]
.LBB53_76:                              ;   in Loop: Header=BB53_12 Depth=3
	s_or_b64 exec, exec, s[68:69]
.LBB53_77:                              ;   in Loop: Header=BB53_12 Depth=3
	s_or_b64 exec, exec, s[94:95]
.LBB53_78:                              ;   in Loop: Header=BB53_12 Depth=3
	s_or_b64 exec, exec, s[20:21]
	s_or_b64 exec, exec, s[92:93]
	s_and_b64 s[52:53], s[90:91], s[22:23]
	s_and_saveexec_b64 s[20:21], s[52:53]
	s_cbranch_execz .LBB53_11
.LBB53_79:                              ;   in Loop: Header=BB53_12 Depth=3
	v_cmp_ge_i32_e32 vcc, v34, v55
	s_and_saveexec_b64 s[52:53], vcc
	s_xor_b64 s[68:69], exec, s[52:53]
	s_cbranch_execnz .LBB53_86
; %bb.80:                               ;   in Loop: Header=BB53_12 Depth=3
	s_andn2_saveexec_b64 s[68:69], s[68:69]
	s_cbranch_execnz .LBB53_100
.LBB53_81:                              ;   in Loop: Header=BB53_12 Depth=3
	s_or_b64 exec, exec, s[68:69]
	v_cmp_eq_u32_e32 vcc, v20, v26
	s_and_saveexec_b64 s[52:53], vcc
	s_cbranch_execz .LBB53_83
.LBB53_82:                              ;   in Loop: Header=BB53_12 Depth=3
	v_lshlrev_b64 v[10:11], 4, v[26:27]
	v_mov_b32_e32 v12, s61
	v_add_co_u32_e32 v10, vcc, s60, v10
	v_addc_co_u32_e32 v11, vcc, v12, v11, vcc
	global_load_dwordx4 v[10:13], v[10:11], off
	s_waitcnt vmcnt(0)
	v_add_f64 v[28:29], v[28:29], v[10:11]
	v_add_f64 v[30:31], v[30:31], v[12:13]
.LBB53_83:                              ;   in Loop: Header=BB53_12 Depth=3
	s_or_b64 exec, exec, s[52:53]
	v_add_f64 v[6:7], v[6:7], -v[28:29]
	v_add_f64 v[12:13], v[8:9], -v[30:31]
	v_xor_b32_e32 v8, 0x80000000, v7
	v_cmp_gt_f64_e32 vcc, 0, v[6:7]
	v_cndmask_b32_e32 v7, v7, v8, vcc
	v_cndmask_b32_e32 v6, v6, v6, vcc
	v_xor_b32_e32 v8, 0x80000000, v13
	v_cmp_gt_f64_e32 vcc, 0, v[12:13]
	v_cndmask_b32_e32 v9, v13, v8, vcc
	v_cndmask_b32_e32 v8, v12, v12, vcc
	v_cmp_ngt_f64_e32 vcc, v[6:7], v[8:9]
                                        ; implicit-def: $vgpr10_vgpr11
	s_and_saveexec_b64 s[52:53], vcc
	s_xor_b64 s[56:57], exec, s[52:53]
	s_cbranch_execnz .LBB53_91
; %bb.84:                               ;   in Loop: Header=BB53_12 Depth=3
	s_andn2_saveexec_b64 s[52:53], s[56:57]
	s_cbranch_execnz .LBB53_94
.LBB53_85:                              ;   in Loop: Header=BB53_12 Depth=3
	s_or_b64 exec, exec, s[52:53]
	v_cmp_class_f64_e64 s[54:55], v[10:11], s67
	s_and_saveexec_b64 s[52:53], s[54:55]
	s_cbranch_execz .LBB53_10
	s_branch .LBB53_95
.LBB53_86:                              ;   in Loop: Header=BB53_12 Depth=3
	v_cmp_lt_i32_e32 vcc, v18, v51
	s_and_saveexec_b64 s[74:75], vcc
	s_cbranch_execz .LBB53_99
; %bb.87:                               ;   in Loop: Header=BB53_12 Depth=3
	s_mov_b64 s[92:93], 0
                                        ; implicit-def: $sgpr90_sgpr91
                                        ; implicit-def: $sgpr58_sgpr59
                                        ; implicit-def: $sgpr56_sgpr57
	s_branch .LBB53_89
.LBB53_88:                              ;   in Loop: Header=BB53_89 Depth=4
	s_or_b64 exec, exec, s[52:53]
	s_and_b64 s[52:53], exec, s[58:59]
	s_or_b64 s[92:93], s[52:53], s[92:93]
	s_andn2_b64 s[52:53], s[90:91], exec
	s_and_b64 s[54:55], s[56:57], exec
	s_or_b64 s[90:91], s[52:53], s[54:55]
	s_andn2_b64 exec, exec, s[92:93]
	s_cbranch_execz .LBB53_96
.LBB53_89:                              ;   Parent Loop BB53_3 Depth=1
                                        ;     Parent Loop BB53_7 Depth=2
                                        ;       Parent Loop BB53_12 Depth=3
                                        ; =>      This Inner Loop Header: Depth=4
	v_add_u32_e32 v10, v24, v18
	v_ashrrev_i32_e32 v11, 31, v10
	v_lshlrev_b64 v[12:13], 2, v[10:11]
	v_mov_b32_e32 v14, s41
	v_add_co_u32_e32 v12, vcc, s40, v12
	v_addc_co_u32_e32 v13, vcc, v14, v13, vcc
	global_load_dword v12, v[12:13], off
	s_or_b64 s[56:57], s[56:57], exec
	s_or_b64 s[58:59], s[58:59], exec
	s_waitcnt vmcnt(0)
	v_subrev_u32_e32 v12, s73, v12
	v_cmp_ne_u32_e32 vcc, v12, v26
	s_and_saveexec_b64 s[52:53], vcc
	s_cbranch_execz .LBB53_88
; %bb.90:                               ;   in Loop: Header=BB53_89 Depth=4
	v_add_u32_e32 v18, 1, v18
	v_cmp_ge_i32_e32 vcc, v18, v51
	s_andn2_b64 s[54:55], s[58:59], exec
	s_and_b64 s[58:59], vcc, exec
	s_andn2_b64 s[56:57], s[56:57], exec
	s_or_b64 s[58:59], s[54:55], s[58:59]
	s_branch .LBB53_88
.LBB53_91:                              ;   in Loop: Header=BB53_12 Depth=3
	v_cmp_neq_f64_e32 vcc, 0, v[12:13]
	v_pk_mov_b32 v[10:11], 0, 0
	s_and_saveexec_b64 s[52:53], vcc
	s_cbranch_execz .LBB53_93
; %bb.92:                               ;   in Loop: Header=BB53_12 Depth=3
	v_div_scale_f64 v[10:11], s[54:55], v[8:9], v[8:9], v[6:7]
	v_rcp_f64_e32 v[12:13], v[10:11]
	v_div_scale_f64 v[14:15], vcc, v[6:7], v[8:9], v[6:7]
	v_fma_f64 v[16:17], -v[10:11], v[12:13], 1.0
	v_fmac_f64_e32 v[12:13], v[12:13], v[16:17]
	v_fma_f64 v[16:17], -v[10:11], v[12:13], 1.0
	v_fmac_f64_e32 v[12:13], v[12:13], v[16:17]
	v_mul_f64 v[16:17], v[14:15], v[12:13]
	v_fma_f64 v[10:11], -v[10:11], v[16:17], v[14:15]
	v_div_fmas_f64 v[10:11], v[10:11], v[12:13], v[16:17]
	v_div_fixup_f64 v[6:7], v[10:11], v[8:9], v[6:7]
	v_fma_f64 v[6:7], v[6:7], v[6:7], 1.0
	v_cmp_gt_f64_e32 vcc, s[82:83], v[6:7]
	v_cndmask_b32_e64 v10, 0, 1, vcc
	v_lshlrev_b32_e32 v10, 8, v10
	v_ldexp_f64 v[6:7], v[6:7], v10
	v_rsq_f64_e32 v[10:11], v[6:7]
	v_mul_f64 v[12:13], v[6:7], v[10:11]
	v_mul_f64 v[10:11], v[10:11], 0.5
	v_fma_f64 v[14:15], -v[10:11], v[12:13], 0.5
	v_fmac_f64_e32 v[12:13], v[12:13], v[14:15]
	v_fma_f64 v[16:17], -v[12:13], v[12:13], v[6:7]
	v_fmac_f64_e32 v[10:11], v[10:11], v[14:15]
	v_fmac_f64_e32 v[12:13], v[16:17], v[10:11]
	v_fma_f64 v[14:15], -v[12:13], v[12:13], v[6:7]
	v_fmac_f64_e32 v[12:13], v[14:15], v[10:11]
	v_cndmask_b32_e32 v10, 0, v50, vcc
	v_ldexp_f64 v[10:11], v[12:13], v10
	v_cmp_class_f64_e32 vcc, v[6:7], v49
	v_cndmask_b32_e32 v7, v11, v7, vcc
	v_cndmask_b32_e32 v6, v10, v6, vcc
	v_mul_f64 v[10:11], v[8:9], v[6:7]
.LBB53_93:                              ;   in Loop: Header=BB53_12 Depth=3
	s_or_b64 exec, exec, s[52:53]
                                        ; implicit-def: $vgpr6_vgpr7
                                        ; implicit-def: $vgpr8_vgpr9
	s_andn2_saveexec_b64 s[52:53], s[56:57]
	s_cbranch_execz .LBB53_85
.LBB53_94:                              ;   in Loop: Header=BB53_12 Depth=3
	v_div_scale_f64 v[10:11], s[54:55], v[6:7], v[6:7], v[8:9]
	v_rcp_f64_e32 v[12:13], v[10:11]
	v_div_scale_f64 v[14:15], vcc, v[8:9], v[6:7], v[8:9]
	v_fma_f64 v[16:17], -v[10:11], v[12:13], 1.0
	v_fmac_f64_e32 v[12:13], v[12:13], v[16:17]
	v_fma_f64 v[16:17], -v[10:11], v[12:13], 1.0
	v_fmac_f64_e32 v[12:13], v[12:13], v[16:17]
	v_mul_f64 v[16:17], v[14:15], v[12:13]
	v_fma_f64 v[10:11], -v[10:11], v[16:17], v[14:15]
	v_div_fmas_f64 v[10:11], v[10:11], v[12:13], v[16:17]
	v_div_fixup_f64 v[8:9], v[10:11], v[6:7], v[8:9]
	v_fma_f64 v[8:9], v[8:9], v[8:9], 1.0
	v_cmp_gt_f64_e32 vcc, s[82:83], v[8:9]
	v_cndmask_b32_e64 v10, 0, 1, vcc
	v_lshlrev_b32_e32 v10, 8, v10
	v_ldexp_f64 v[8:9], v[8:9], v10
	v_rsq_f64_e32 v[10:11], v[8:9]
	v_mul_f64 v[12:13], v[8:9], v[10:11]
	v_mul_f64 v[10:11], v[10:11], 0.5
	v_fma_f64 v[14:15], -v[10:11], v[12:13], 0.5
	v_fmac_f64_e32 v[12:13], v[12:13], v[14:15]
	v_fma_f64 v[16:17], -v[12:13], v[12:13], v[8:9]
	v_fmac_f64_e32 v[10:11], v[10:11], v[14:15]
	v_fmac_f64_e32 v[12:13], v[16:17], v[10:11]
	v_fma_f64 v[14:15], -v[12:13], v[12:13], v[8:9]
	v_fmac_f64_e32 v[12:13], v[14:15], v[10:11]
	v_cndmask_b32_e32 v10, 0, v50, vcc
	v_ldexp_f64 v[10:11], v[12:13], v10
	v_cmp_class_f64_e32 vcc, v[8:9], v49
	v_cndmask_b32_e32 v9, v11, v9, vcc
	v_cndmask_b32_e32 v8, v10, v8, vcc
	v_mul_f64 v[10:11], v[6:7], v[8:9]
	s_or_b64 exec, exec, s[52:53]
	v_cmp_class_f64_e64 s[54:55], v[10:11], s67
	s_and_saveexec_b64 s[52:53], s[54:55]
	s_cbranch_execz .LBB53_10
.LBB53_95:                              ;   in Loop: Header=BB53_12 Depth=3
	v_cmp_lt_f64_e32 vcc, v[2:3], v[10:11]
	v_cndmask_b32_e32 v3, v3, v11, vcc
	v_cndmask_b32_e32 v2, v2, v10, vcc
	s_branch .LBB53_10
.LBB53_96:                              ;   in Loop: Header=BB53_12 Depth=3
	s_or_b64 exec, exec, s[92:93]
	s_and_saveexec_b64 s[52:53], s[90:91]
	s_xor_b64 s[52:53], exec, s[52:53]
	s_cbranch_execz .LBB53_98
; %bb.97:                               ;   in Loop: Header=BB53_12 Depth=3
	v_lshlrev_b64 v[10:11], 4, v[10:11]
	v_mov_b32_e32 v12, s43
	v_add_co_u32_e32 v14, vcc, s42, v10
	v_addc_co_u32_e32 v15, vcc, v12, v11, vcc
	v_lshlrev_b64 v[10:11], 4, v[26:27]
	v_mov_b32_e32 v12, s61
	v_add_co_u32_e32 v10, vcc, s60, v10
	v_addc_co_u32_e32 v11, vcc, v12, v11, vcc
	global_load_dwordx4 v[10:13], v[10:11], off
	s_nop 0
	global_load_dwordx4 v[14:17], v[14:15], off
	s_waitcnt vmcnt(0)
	v_mul_f64 v[32:33], v[12:13], -v[16:17]
	v_mul_f64 v[12:13], v[12:13], v[14:15]
	v_fmac_f64_e32 v[32:33], v[14:15], v[10:11]
	v_fmac_f64_e32 v[12:13], v[16:17], v[10:11]
	v_add_f64 v[28:29], v[28:29], v[32:33]
	v_add_f64 v[30:31], v[30:31], v[12:13]
.LBB53_98:                              ;   in Loop: Header=BB53_12 Depth=3
	s_or_b64 exec, exec, s[52:53]
.LBB53_99:                              ;   in Loop: Header=BB53_12 Depth=3
	s_or_b64 exec, exec, s[74:75]
                                        ; implicit-def: $vgpr34
                                        ; implicit-def: $vgpr32
                                        ; implicit-def: $vgpr55
	s_andn2_saveexec_b64 s[68:69], s[68:69]
	s_cbranch_execz .LBB53_81
.LBB53_100:                             ;   in Loop: Header=BB53_12 Depth=3
	s_mov_b64 s[90:91], 0
                                        ; implicit-def: $sgpr74_sgpr75
                                        ; implicit-def: $sgpr58_sgpr59
                                        ; implicit-def: $sgpr56_sgpr57
	s_branch .LBB53_102
.LBB53_101:                             ;   in Loop: Header=BB53_102 Depth=4
	s_or_b64 exec, exec, s[52:53]
	s_and_b64 s[52:53], exec, s[58:59]
	s_or_b64 s[90:91], s[52:53], s[90:91]
	s_andn2_b64 s[52:53], s[74:75], exec
	s_and_b64 s[54:55], s[56:57], exec
	s_or_b64 s[74:75], s[52:53], s[54:55]
	s_andn2_b64 exec, exec, s[90:91]
	s_cbranch_execz .LBB53_104
.LBB53_102:                             ;   Parent Loop BB53_3 Depth=1
                                        ;     Parent Loop BB53_7 Depth=2
                                        ;       Parent Loop BB53_12 Depth=3
                                        ; =>      This Inner Loop Header: Depth=4
	v_add_u32_e32 v10, v32, v34
	v_ashrrev_i32_e32 v11, 31, v10
	v_lshlrev_b64 v[12:13], 2, v[10:11]
	v_mov_b32_e32 v14, s29
	v_add_co_u32_e32 v12, vcc, s28, v12
	v_addc_co_u32_e32 v13, vcc, v14, v13, vcc
	global_load_dword v12, v[12:13], off
	s_or_b64 s[56:57], s[56:57], exec
	s_or_b64 s[58:59], s[58:59], exec
	s_waitcnt vmcnt(0)
	v_subrev_u32_e32 v12, s80, v12
	v_cmp_ne_u32_e32 vcc, v12, v20
	s_and_saveexec_b64 s[52:53], vcc
	s_cbranch_execz .LBB53_101
; %bb.103:                              ;   in Loop: Header=BB53_102 Depth=4
	v_add_u32_e32 v34, 1, v34
	v_cmp_ge_i32_e32 vcc, v34, v55
	s_andn2_b64 s[54:55], s[58:59], exec
	s_and_b64 s[58:59], vcc, exec
	s_andn2_b64 s[56:57], s[56:57], exec
	s_or_b64 s[58:59], s[54:55], s[58:59]
	s_branch .LBB53_101
.LBB53_104:                             ;   in Loop: Header=BB53_12 Depth=3
	s_or_b64 exec, exec, s[90:91]
	s_and_saveexec_b64 s[52:53], s[74:75]
	s_xor_b64 s[52:53], exec, s[52:53]
	s_cbranch_execz .LBB53_106
; %bb.105:                              ;   in Loop: Header=BB53_12 Depth=3
	v_lshlrev_b64 v[10:11], 4, v[10:11]
	v_mov_b32_e32 v12, s31
	v_add_co_u32_e32 v10, vcc, s30, v10
	v_addc_co_u32_e32 v11, vcc, v12, v11, vcc
	global_load_dwordx4 v[10:13], v[10:11], off
	s_waitcnt vmcnt(0)
	v_add_f64 v[28:29], v[28:29], v[10:11]
	v_add_f64 v[30:31], v[30:31], v[12:13]
.LBB53_106:                             ;   in Loop: Header=BB53_12 Depth=3
	s_or_b64 exec, exec, s[52:53]
	s_or_b64 exec, exec, s[68:69]
	v_cmp_eq_u32_e32 vcc, v20, v26
	s_and_saveexec_b64 s[52:53], vcc
	s_cbranch_execnz .LBB53_82
	s_branch .LBB53_83
.LBB53_107:                             ;   in Loop: Header=BB53_12 Depth=3
	v_cmp_neq_f64_e32 vcc, 0, v[16:17]
	v_pk_mov_b32 v[14:15], 0, 0
	s_and_saveexec_b64 s[52:53], vcc
	s_cbranch_execz .LBB53_109
; %bb.108:                              ;   in Loop: Header=BB53_12 Depth=3
	v_div_scale_f64 v[14:15], s[54:55], v[12:13], v[12:13], v[10:11]
	v_rcp_f64_e32 v[16:17], v[14:15]
	v_div_scale_f64 v[36:37], vcc, v[10:11], v[12:13], v[10:11]
	v_fma_f64 v[38:39], -v[14:15], v[16:17], 1.0
	v_fmac_f64_e32 v[16:17], v[16:17], v[38:39]
	v_fma_f64 v[38:39], -v[14:15], v[16:17], 1.0
	v_fmac_f64_e32 v[16:17], v[16:17], v[38:39]
	v_mul_f64 v[38:39], v[36:37], v[16:17]
	v_fma_f64 v[14:15], -v[14:15], v[38:39], v[36:37]
	v_div_fmas_f64 v[14:15], v[14:15], v[16:17], v[38:39]
	v_div_fixup_f64 v[10:11], v[14:15], v[12:13], v[10:11]
	v_fma_f64 v[10:11], v[10:11], v[10:11], 1.0
	v_cmp_gt_f64_e32 vcc, s[82:83], v[10:11]
	v_cndmask_b32_e64 v14, 0, 1, vcc
	v_lshlrev_b32_e32 v14, 8, v14
	v_ldexp_f64 v[10:11], v[10:11], v14
	v_rsq_f64_e32 v[14:15], v[10:11]
	v_mul_f64 v[16:17], v[10:11], v[14:15]
	v_mul_f64 v[14:15], v[14:15], 0.5
	v_fma_f64 v[36:37], -v[14:15], v[16:17], 0.5
	v_fmac_f64_e32 v[16:17], v[16:17], v[36:37]
	v_fmac_f64_e32 v[14:15], v[14:15], v[36:37]
	v_fma_f64 v[36:37], -v[16:17], v[16:17], v[10:11]
	v_fmac_f64_e32 v[16:17], v[36:37], v[14:15]
	v_fma_f64 v[36:37], -v[16:17], v[16:17], v[10:11]
	v_fmac_f64_e32 v[16:17], v[36:37], v[14:15]
	v_cndmask_b32_e32 v14, 0, v50, vcc
	v_ldexp_f64 v[14:15], v[16:17], v14
	v_cmp_class_f64_e32 vcc, v[10:11], v49
	v_cndmask_b32_e32 v11, v15, v11, vcc
	v_cndmask_b32_e32 v10, v14, v10, vcc
	v_mul_f64 v[14:15], v[12:13], v[10:11]
.LBB53_109:                             ;   in Loop: Header=BB53_12 Depth=3
	s_or_b64 exec, exec, s[52:53]
                                        ; implicit-def: $vgpr10_vgpr11
                                        ; implicit-def: $vgpr12_vgpr13
	s_andn2_saveexec_b64 s[52:53], s[56:57]
	s_cbranch_execz .LBB53_43
.LBB53_110:                             ;   in Loop: Header=BB53_12 Depth=3
	v_div_scale_f64 v[14:15], s[54:55], v[10:11], v[10:11], v[12:13]
	v_rcp_f64_e32 v[16:17], v[14:15]
	v_div_scale_f64 v[36:37], vcc, v[12:13], v[10:11], v[12:13]
	v_fma_f64 v[38:39], -v[14:15], v[16:17], 1.0
	v_fmac_f64_e32 v[16:17], v[16:17], v[38:39]
	v_fma_f64 v[38:39], -v[14:15], v[16:17], 1.0
	v_fmac_f64_e32 v[16:17], v[16:17], v[38:39]
	v_mul_f64 v[38:39], v[36:37], v[16:17]
	v_fma_f64 v[14:15], -v[14:15], v[38:39], v[36:37]
	v_div_fmas_f64 v[14:15], v[14:15], v[16:17], v[38:39]
	v_div_fixup_f64 v[12:13], v[14:15], v[10:11], v[12:13]
	v_fma_f64 v[12:13], v[12:13], v[12:13], 1.0
	v_cmp_gt_f64_e32 vcc, s[82:83], v[12:13]
	v_cndmask_b32_e64 v14, 0, 1, vcc
	v_lshlrev_b32_e32 v14, 8, v14
	v_ldexp_f64 v[12:13], v[12:13], v14
	v_rsq_f64_e32 v[14:15], v[12:13]
	v_mul_f64 v[16:17], v[12:13], v[14:15]
	v_mul_f64 v[14:15], v[14:15], 0.5
	v_fma_f64 v[36:37], -v[14:15], v[16:17], 0.5
	v_fmac_f64_e32 v[16:17], v[16:17], v[36:37]
	v_fmac_f64_e32 v[14:15], v[14:15], v[36:37]
	v_fma_f64 v[36:37], -v[16:17], v[16:17], v[12:13]
	v_fmac_f64_e32 v[16:17], v[36:37], v[14:15]
	v_fma_f64 v[36:37], -v[16:17], v[16:17], v[12:13]
	v_fmac_f64_e32 v[16:17], v[36:37], v[14:15]
	v_cndmask_b32_e32 v14, 0, v50, vcc
	v_ldexp_f64 v[14:15], v[16:17], v14
	v_cmp_class_f64_e32 vcc, v[12:13], v49
	v_cndmask_b32_e32 v13, v15, v13, vcc
	v_cndmask_b32_e32 v12, v14, v12, vcc
	v_mul_f64 v[14:15], v[10:11], v[12:13]
	s_or_b64 exec, exec, s[52:53]
	v_cmp_class_f64_e64 s[54:55], v[14:15], s67
	s_and_saveexec_b64 s[52:53], s[54:55]
	s_cbranch_execnz .LBB53_44
	s_branch .LBB53_45
.LBB53_111:                             ;   in Loop: Header=BB53_12 Depth=3
	v_cmp_neq_f64_e32 vcc, 0, v[16:17]
	v_pk_mov_b32 v[14:15], 0, 0
	s_and_saveexec_b64 s[52:53], vcc
	s_cbranch_execz .LBB53_113
; %bb.112:                              ;   in Loop: Header=BB53_12 Depth=3
	v_div_scale_f64 v[14:15], s[54:55], v[12:13], v[12:13], v[10:11]
	v_rcp_f64_e32 v[16:17], v[14:15]
	v_div_scale_f64 v[36:37], vcc, v[10:11], v[12:13], v[10:11]
	v_fma_f64 v[38:39], -v[14:15], v[16:17], 1.0
	v_fmac_f64_e32 v[16:17], v[16:17], v[38:39]
	v_fma_f64 v[38:39], -v[14:15], v[16:17], 1.0
	v_fmac_f64_e32 v[16:17], v[16:17], v[38:39]
	v_mul_f64 v[38:39], v[36:37], v[16:17]
	v_fma_f64 v[14:15], -v[14:15], v[38:39], v[36:37]
	v_div_fmas_f64 v[14:15], v[14:15], v[16:17], v[38:39]
	v_div_fixup_f64 v[10:11], v[14:15], v[12:13], v[10:11]
	v_fma_f64 v[10:11], v[10:11], v[10:11], 1.0
	v_cmp_gt_f64_e32 vcc, s[82:83], v[10:11]
	v_cndmask_b32_e64 v14, 0, 1, vcc
	v_lshlrev_b32_e32 v14, 8, v14
	v_ldexp_f64 v[10:11], v[10:11], v14
	v_rsq_f64_e32 v[14:15], v[10:11]
	v_mul_f64 v[16:17], v[10:11], v[14:15]
	v_mul_f64 v[14:15], v[14:15], 0.5
	v_fma_f64 v[36:37], -v[14:15], v[16:17], 0.5
	v_fmac_f64_e32 v[16:17], v[16:17], v[36:37]
	v_fmac_f64_e32 v[14:15], v[14:15], v[36:37]
	v_fma_f64 v[36:37], -v[16:17], v[16:17], v[10:11]
	v_fmac_f64_e32 v[16:17], v[36:37], v[14:15]
	v_fma_f64 v[36:37], -v[16:17], v[16:17], v[10:11]
	v_fmac_f64_e32 v[16:17], v[36:37], v[14:15]
	v_cndmask_b32_e32 v14, 0, v50, vcc
	v_ldexp_f64 v[14:15], v[16:17], v14
	v_cmp_class_f64_e32 vcc, v[10:11], v49
	v_cndmask_b32_e32 v11, v15, v11, vcc
	v_cndmask_b32_e32 v10, v14, v10, vcc
	v_mul_f64 v[14:15], v[12:13], v[10:11]
.LBB53_113:                             ;   in Loop: Header=BB53_12 Depth=3
	s_or_b64 exec, exec, s[52:53]
                                        ; implicit-def: $vgpr10_vgpr11
                                        ; implicit-def: $vgpr12_vgpr13
	s_andn2_saveexec_b64 s[52:53], s[56:57]
	s_cbranch_execz .LBB53_73
.LBB53_114:                             ;   in Loop: Header=BB53_12 Depth=3
	v_div_scale_f64 v[14:15], s[54:55], v[10:11], v[10:11], v[12:13]
	v_rcp_f64_e32 v[16:17], v[14:15]
	v_div_scale_f64 v[36:37], vcc, v[12:13], v[10:11], v[12:13]
	v_fma_f64 v[38:39], -v[14:15], v[16:17], 1.0
	v_fmac_f64_e32 v[16:17], v[16:17], v[38:39]
	v_fma_f64 v[38:39], -v[14:15], v[16:17], 1.0
	v_fmac_f64_e32 v[16:17], v[16:17], v[38:39]
	v_mul_f64 v[38:39], v[36:37], v[16:17]
	v_fma_f64 v[14:15], -v[14:15], v[38:39], v[36:37]
	v_div_fmas_f64 v[14:15], v[14:15], v[16:17], v[38:39]
	v_div_fixup_f64 v[12:13], v[14:15], v[10:11], v[12:13]
	v_fma_f64 v[12:13], v[12:13], v[12:13], 1.0
	v_cmp_gt_f64_e32 vcc, s[82:83], v[12:13]
	v_cndmask_b32_e64 v14, 0, 1, vcc
	v_lshlrev_b32_e32 v14, 8, v14
	v_ldexp_f64 v[12:13], v[12:13], v14
	v_rsq_f64_e32 v[14:15], v[12:13]
	v_mul_f64 v[16:17], v[12:13], v[14:15]
	v_mul_f64 v[14:15], v[14:15], 0.5
	v_fma_f64 v[36:37], -v[14:15], v[16:17], 0.5
	v_fmac_f64_e32 v[16:17], v[16:17], v[36:37]
	v_fmac_f64_e32 v[14:15], v[14:15], v[36:37]
	v_fma_f64 v[36:37], -v[16:17], v[16:17], v[12:13]
	v_fmac_f64_e32 v[16:17], v[36:37], v[14:15]
	v_fma_f64 v[36:37], -v[16:17], v[16:17], v[12:13]
	v_fmac_f64_e32 v[16:17], v[36:37], v[14:15]
	v_cndmask_b32_e32 v14, 0, v50, vcc
	v_ldexp_f64 v[14:15], v[16:17], v14
	v_cmp_class_f64_e32 vcc, v[12:13], v49
	v_cndmask_b32_e32 v13, v15, v13, vcc
	v_cndmask_b32_e32 v12, v14, v12, vcc
	v_mul_f64 v[14:15], v[10:11], v[12:13]
	s_or_b64 exec, exec, s[52:53]
	v_cmp_class_f64_e64 s[54:55], v[14:15], s67
	s_and_saveexec_b64 s[52:53], s[54:55]
	s_cbranch_execnz .LBB53_74
	s_branch .LBB53_75
.LBB53_115:                             ;   in Loop: Header=BB53_12 Depth=3
	v_cmp_neq_f64_e32 vcc, 0, v[16:17]
	v_pk_mov_b32 v[14:15], 0, 0
	s_and_saveexec_b64 s[52:53], vcc
	s_cbranch_execz .LBB53_117
; %bb.116:                              ;   in Loop: Header=BB53_12 Depth=3
	v_div_scale_f64 v[14:15], s[54:55], v[12:13], v[12:13], v[10:11]
	v_rcp_f64_e32 v[16:17], v[14:15]
	v_div_scale_f64 v[36:37], vcc, v[10:11], v[12:13], v[10:11]
	v_fma_f64 v[38:39], -v[14:15], v[16:17], 1.0
	v_fmac_f64_e32 v[16:17], v[16:17], v[38:39]
	v_fma_f64 v[38:39], -v[14:15], v[16:17], 1.0
	v_fmac_f64_e32 v[16:17], v[16:17], v[38:39]
	v_mul_f64 v[38:39], v[36:37], v[16:17]
	v_fma_f64 v[14:15], -v[14:15], v[38:39], v[36:37]
	v_div_fmas_f64 v[14:15], v[14:15], v[16:17], v[38:39]
	v_div_fixup_f64 v[10:11], v[14:15], v[12:13], v[10:11]
	v_fma_f64 v[10:11], v[10:11], v[10:11], 1.0
	v_cmp_gt_f64_e32 vcc, s[82:83], v[10:11]
	v_cndmask_b32_e64 v14, 0, 1, vcc
	v_lshlrev_b32_e32 v14, 8, v14
	v_ldexp_f64 v[10:11], v[10:11], v14
	v_rsq_f64_e32 v[14:15], v[10:11]
	v_mul_f64 v[16:17], v[10:11], v[14:15]
	v_mul_f64 v[14:15], v[14:15], 0.5
	v_fma_f64 v[36:37], -v[14:15], v[16:17], 0.5
	v_fmac_f64_e32 v[16:17], v[16:17], v[36:37]
	v_fmac_f64_e32 v[14:15], v[14:15], v[36:37]
	v_fma_f64 v[36:37], -v[16:17], v[16:17], v[10:11]
	v_fmac_f64_e32 v[16:17], v[36:37], v[14:15]
	v_fma_f64 v[36:37], -v[16:17], v[16:17], v[10:11]
	v_fmac_f64_e32 v[16:17], v[36:37], v[14:15]
	v_cndmask_b32_e32 v14, 0, v50, vcc
	v_ldexp_f64 v[14:15], v[16:17], v14
	v_cmp_class_f64_e32 vcc, v[10:11], v49
	v_cndmask_b32_e32 v11, v15, v11, vcc
	v_cndmask_b32_e32 v10, v14, v10, vcc
	v_mul_f64 v[14:15], v[12:13], v[10:11]
.LBB53_117:                             ;   in Loop: Header=BB53_12 Depth=3
	s_or_b64 exec, exec, s[52:53]
                                        ; implicit-def: $vgpr10_vgpr11
                                        ; implicit-def: $vgpr12_vgpr13
	s_andn2_saveexec_b64 s[52:53], s[56:57]
	s_cbranch_execz .LBB53_57
.LBB53_118:                             ;   in Loop: Header=BB53_12 Depth=3
	v_div_scale_f64 v[14:15], s[54:55], v[10:11], v[10:11], v[12:13]
	v_rcp_f64_e32 v[16:17], v[14:15]
	v_div_scale_f64 v[36:37], vcc, v[12:13], v[10:11], v[12:13]
	v_fma_f64 v[38:39], -v[14:15], v[16:17], 1.0
	v_fmac_f64_e32 v[16:17], v[16:17], v[38:39]
	v_fma_f64 v[38:39], -v[14:15], v[16:17], 1.0
	v_fmac_f64_e32 v[16:17], v[16:17], v[38:39]
	v_mul_f64 v[38:39], v[36:37], v[16:17]
	v_fma_f64 v[14:15], -v[14:15], v[38:39], v[36:37]
	v_div_fmas_f64 v[14:15], v[14:15], v[16:17], v[38:39]
	v_div_fixup_f64 v[12:13], v[14:15], v[10:11], v[12:13]
	v_fma_f64 v[12:13], v[12:13], v[12:13], 1.0
	v_cmp_gt_f64_e32 vcc, s[82:83], v[12:13]
	v_cndmask_b32_e64 v14, 0, 1, vcc
	v_lshlrev_b32_e32 v14, 8, v14
	v_ldexp_f64 v[12:13], v[12:13], v14
	v_rsq_f64_e32 v[14:15], v[12:13]
	v_mul_f64 v[16:17], v[12:13], v[14:15]
	v_mul_f64 v[14:15], v[14:15], 0.5
	v_fma_f64 v[36:37], -v[14:15], v[16:17], 0.5
	v_fmac_f64_e32 v[16:17], v[16:17], v[36:37]
	v_fmac_f64_e32 v[14:15], v[14:15], v[36:37]
	v_fma_f64 v[36:37], -v[16:17], v[16:17], v[12:13]
	v_fmac_f64_e32 v[16:17], v[36:37], v[14:15]
	v_fma_f64 v[36:37], -v[16:17], v[16:17], v[12:13]
	v_fmac_f64_e32 v[16:17], v[36:37], v[14:15]
	v_cndmask_b32_e32 v14, 0, v50, vcc
	v_ldexp_f64 v[14:15], v[16:17], v14
	v_cmp_class_f64_e32 vcc, v[12:13], v49
	v_cndmask_b32_e32 v13, v15, v13, vcc
	v_cndmask_b32_e32 v12, v14, v12, vcc
	v_mul_f64 v[14:15], v[10:11], v[12:13]
	s_or_b64 exec, exec, s[52:53]
	v_cmp_class_f64_e64 s[54:55], v[14:15], s67
	s_and_saveexec_b64 s[52:53], s[54:55]
	s_cbranch_execnz .LBB53_58
	s_branch .LBB53_59
.LBB53_119:                             ;   in Loop: Header=BB53_3 Depth=1
	s_and_b64 vcc, exec, s[34:35]
	s_cbranch_vccz .LBB53_135
; %bb.120:                              ;   in Loop: Header=BB53_3 Depth=1
	v_mov_b32_dpp v6, v4 row_shr:1 row_mask:0xf bank_mask:0xf
	v_mov_b32_dpp v7, v5 row_shr:1 row_mask:0xf bank_mask:0xf
	v_cmp_lt_f64_e32 vcc, v[4:5], v[6:7]
	v_cndmask_b32_e32 v5, v5, v7, vcc
	v_cndmask_b32_e32 v4, v4, v6, vcc
	s_nop 0
	v_mov_b32_dpp v7, v5 row_shr:2 row_mask:0xf bank_mask:0xf
	v_mov_b32_dpp v6, v4 row_shr:2 row_mask:0xf bank_mask:0xf
	v_cmp_lt_f64_e32 vcc, v[4:5], v[6:7]
	v_cndmask_b32_e32 v5, v5, v7, vcc
	v_cndmask_b32_e32 v4, v4, v6, vcc
	s_nop 0
	;; [unrolled: 6-line block ×3, first 2 shown]
	v_mov_b32_dpp v7, v5 row_shr:8 row_mask:0xf bank_mask:0xc
	v_mov_b32_dpp v6, v4 row_shr:8 row_mask:0xf bank_mask:0xc
	s_and_saveexec_b64 s[18:19], s[2:3]
	s_cbranch_execz .LBB53_122
; %bb.121:                              ;   in Loop: Header=BB53_3 Depth=1
	v_cmp_lt_f64_e32 vcc, v[4:5], v[6:7]
	v_cndmask_b32_e32 v5, v5, v7, vcc
	v_cndmask_b32_e32 v4, v4, v6, vcc
	ds_write_b64 v46, v[4:5]
.LBB53_122:                             ;   in Loop: Header=BB53_3 Depth=1
	s_or_b64 exec, exec, s[18:19]
	s_waitcnt lgkmcnt(0)
	s_barrier
	s_and_saveexec_b64 s[18:19], s[4:5]
	s_cbranch_execz .LBB53_124
; %bb.123:                              ;   in Loop: Header=BB53_3 Depth=1
	ds_read2_b64 v[4:7], v44 offset1:32
	s_waitcnt lgkmcnt(0)
	v_cmp_lt_f64_e32 vcc, v[4:5], v[6:7]
	v_cndmask_b32_e32 v5, v5, v7, vcc
	v_cndmask_b32_e32 v4, v4, v6, vcc
	ds_write_b64 v44, v[4:5]
.LBB53_124:                             ;   in Loop: Header=BB53_3 Depth=1
	s_or_b64 exec, exec, s[18:19]
	s_waitcnt lgkmcnt(0)
	s_barrier
	s_and_saveexec_b64 s[18:19], s[6:7]
	s_cbranch_execz .LBB53_126
; %bb.125:                              ;   in Loop: Header=BB53_3 Depth=1
	ds_read2_b64 v[4:7], v44 offset1:16
	s_waitcnt lgkmcnt(0)
	v_cmp_lt_f64_e32 vcc, v[4:5], v[6:7]
	v_cndmask_b32_e32 v5, v5, v7, vcc
	v_cndmask_b32_e32 v4, v4, v6, vcc
	ds_write_b64 v44, v[4:5]
.LBB53_126:                             ;   in Loop: Header=BB53_3 Depth=1
	;; [unrolled: 13-line block ×5, first 2 shown]
	s_or_b64 exec, exec, s[18:19]
	s_waitcnt lgkmcnt(0)
	s_barrier
	s_and_saveexec_b64 s[18:19], s[14:15]
	s_cbranch_execz .LBB53_134
; %bb.133:                              ;   in Loop: Header=BB53_3 Depth=1
	ds_read_b128 v[4:7], v19
	s_waitcnt lgkmcnt(0)
	v_cmp_lt_f64_e32 vcc, v[4:5], v[6:7]
	v_cndmask_b32_e32 v5, v5, v7, vcc
	v_cndmask_b32_e32 v4, v4, v6, vcc
	ds_write_b64 v19, v[4:5]
.LBB53_134:                             ;   in Loop: Header=BB53_3 Depth=1
	s_or_b64 exec, exec, s[18:19]
	v_readlane_b32 s0, v62, 12
	v_readlane_b32 s1, v62, 13
	s_waitcnt lgkmcnt(0)
	s_barrier
	ds_read_b64 v[4:5], v19
	s_load_dwordx2 s[0:1], s[0:1], 0x0
	s_waitcnt lgkmcnt(0)
	v_div_scale_f64 v[6:7], s[18:19], s[0:1], s[0:1], v[4:5]
	v_rcp_f64_e32 v[8:9], v[6:7]
	v_div_scale_f64 v[10:11], vcc, v[4:5], s[0:1], v[4:5]
	v_fma_f64 v[12:13], -v[6:7], v[8:9], 1.0
	v_fmac_f64_e32 v[8:9], v[8:9], v[12:13]
	v_fma_f64 v[12:13], -v[6:7], v[8:9], 1.0
	v_fmac_f64_e32 v[8:9], v[8:9], v[12:13]
	v_mul_f64 v[12:13], v[10:11], v[8:9]
	v_fma_f64 v[6:7], -v[6:7], v[12:13], v[10:11]
	v_div_fmas_f64 v[6:7], v[6:7], v[8:9], v[12:13]
	v_div_fixup_f64 v[4:5], v[6:7], s[0:1], v[4:5]
.LBB53_135:                             ;   in Loop: Header=BB53_3 Depth=1
	s_andn2_b64 vcc, exec, s[22:23]
	s_cbranch_vccnz .LBB53_151
; %bb.136:                              ;   in Loop: Header=BB53_3 Depth=1
	v_mov_b32_dpp v6, v2 row_shr:1 row_mask:0xf bank_mask:0xf
	v_mov_b32_dpp v7, v3 row_shr:1 row_mask:0xf bank_mask:0xf
	v_cmp_lt_f64_e32 vcc, v[2:3], v[6:7]
	v_cndmask_b32_e32 v3, v3, v7, vcc
	v_cndmask_b32_e32 v2, v2, v6, vcc
	s_nop 0
	v_mov_b32_dpp v7, v3 row_shr:2 row_mask:0xf bank_mask:0xf
	v_mov_b32_dpp v6, v2 row_shr:2 row_mask:0xf bank_mask:0xf
	v_cmp_lt_f64_e32 vcc, v[2:3], v[6:7]
	v_cndmask_b32_e32 v3, v3, v7, vcc
	v_cndmask_b32_e32 v2, v2, v6, vcc
	s_nop 0
	;; [unrolled: 6-line block ×3, first 2 shown]
	v_mov_b32_dpp v7, v3 row_shr:8 row_mask:0xf bank_mask:0xc
	v_mov_b32_dpp v6, v2 row_shr:8 row_mask:0xf bank_mask:0xc
	s_and_saveexec_b64 s[18:19], s[2:3]
	s_cbranch_execz .LBB53_138
; %bb.137:                              ;   in Loop: Header=BB53_3 Depth=1
	v_cmp_lt_f64_e32 vcc, v[2:3], v[6:7]
	v_cndmask_b32_e32 v3, v3, v7, vcc
	v_cndmask_b32_e32 v2, v2, v6, vcc
	ds_write_b64 v46, v[2:3]
.LBB53_138:                             ;   in Loop: Header=BB53_3 Depth=1
	s_or_b64 exec, exec, s[18:19]
	s_waitcnt lgkmcnt(0)
	s_barrier
	s_and_saveexec_b64 s[18:19], s[4:5]
	s_cbranch_execz .LBB53_140
; %bb.139:                              ;   in Loop: Header=BB53_3 Depth=1
	ds_read2_b64 v[6:9], v44 offset1:32
	s_waitcnt lgkmcnt(0)
	v_cmp_lt_f64_e32 vcc, v[6:7], v[8:9]
	v_cndmask_b32_e32 v3, v7, v9, vcc
	v_cndmask_b32_e32 v2, v6, v8, vcc
	ds_write_b64 v44, v[2:3]
.LBB53_140:                             ;   in Loop: Header=BB53_3 Depth=1
	s_or_b64 exec, exec, s[18:19]
	s_waitcnt lgkmcnt(0)
	s_barrier
	s_and_saveexec_b64 s[18:19], s[6:7]
	s_cbranch_execz .LBB53_142
; %bb.141:                              ;   in Loop: Header=BB53_3 Depth=1
	ds_read2_b64 v[6:9], v44 offset1:16
	s_waitcnt lgkmcnt(0)
	v_cmp_lt_f64_e32 vcc, v[6:7], v[8:9]
	v_cndmask_b32_e32 v3, v7, v9, vcc
	v_cndmask_b32_e32 v2, v6, v8, vcc
	ds_write_b64 v44, v[2:3]
.LBB53_142:                             ;   in Loop: Header=BB53_3 Depth=1
	;; [unrolled: 13-line block ×5, first 2 shown]
	s_or_b64 exec, exec, s[18:19]
	s_waitcnt lgkmcnt(0)
	s_barrier
	s_and_saveexec_b64 s[18:19], s[14:15]
	s_cbranch_execz .LBB53_150
; %bb.149:                              ;   in Loop: Header=BB53_3 Depth=1
	ds_read_b128 v[6:9], v19
	s_waitcnt lgkmcnt(0)
	v_cmp_lt_f64_e32 vcc, v[6:7], v[8:9]
	v_cndmask_b32_e32 v3, v7, v9, vcc
	v_cndmask_b32_e32 v2, v6, v8, vcc
	ds_write_b64 v19, v[2:3]
.LBB53_150:                             ;   in Loop: Header=BB53_3 Depth=1
	s_or_b64 exec, exec, s[18:19]
	v_readlane_b32 s0, v62, 12
	v_readlane_b32 s1, v62, 13
	s_waitcnt lgkmcnt(0)
	s_barrier
	ds_read_b64 v[2:3], v19
	s_load_dwordx2 s[0:1], s[0:1], 0x0
	s_waitcnt lgkmcnt(0)
	v_div_scale_f64 v[6:7], s[18:19], s[0:1], s[0:1], v[2:3]
	v_rcp_f64_e32 v[8:9], v[6:7]
	v_div_scale_f64 v[10:11], vcc, v[2:3], s[0:1], v[2:3]
	v_fma_f64 v[12:13], -v[6:7], v[8:9], 1.0
	v_fmac_f64_e32 v[8:9], v[8:9], v[12:13]
	v_fma_f64 v[12:13], -v[6:7], v[8:9], 1.0
	v_fmac_f64_e32 v[8:9], v[8:9], v[12:13]
	v_mul_f64 v[12:13], v[10:11], v[8:9]
	v_fma_f64 v[6:7], -v[6:7], v[12:13], v[10:11]
	v_div_fmas_f64 v[6:7], v[6:7], v[8:9], v[12:13]
	v_div_fixup_f64 v[2:3], v[6:7], s[0:1], v[2:3]
.LBB53_151:                             ;   in Loop: Header=BB53_3 Depth=1
	s_mov_b64 s[18:19], exec
	v_readlane_b32 s0, v62, 16
	v_readlane_b32 s1, v62, 17
	s_and_b64 s[0:1], s[18:19], s[0:1]
	s_mov_b64 exec, s[0:1]
	s_cbranch_execz .LBB53_163
; %bb.152:                              ;   in Loop: Header=BB53_3 Depth=1
	s_mov_b64 s[20:21], 0
	v_mov_b32_e32 v6, v43
	s_branch .LBB53_154
.LBB53_153:                             ;   in Loop: Header=BB53_154 Depth=2
	s_or_b64 exec, exec, s[68:69]
	v_add_u32_e32 v6, 64, v6
	v_cmp_le_u32_e32 vcc, s81, v6
	s_or_b64 s[20:21], vcc, s[20:21]
	s_andn2_b64 exec, exec, s[20:21]
	s_cbranch_execz .LBB53_163
.LBB53_154:                             ;   Parent Loop BB53_3 Depth=1
                                        ; =>  This Loop Header: Depth=2
                                        ;       Child Loop BB53_157 Depth 3
                                        ;       Child Loop BB53_160 Depth 3
	v_cmp_gt_i32_e32 vcc, s33, v6
	s_and_saveexec_b64 s[68:69], vcc
	s_cbranch_execz .LBB53_153
; %bb.155:                              ;   in Loop: Header=BB53_154 Depth=2
	v_ashrrev_i32_e32 v7, 31, v6
	v_lshlrev_b64 v[8:9], 2, v[6:7]
	v_mov_b32_e32 v11, s37
	v_add_co_u32_e32 v10, vcc, s36, v8
	v_addc_co_u32_e32 v11, vcc, v11, v9, vcc
	global_load_dword v12, v[10:11], off
	v_mov_b32_e32 v11, s39
	v_add_co_u32_e32 v10, vcc, s38, v8
	v_addc_co_u32_e32 v11, vcc, v11, v9, vcc
	global_load_dword v11, v[10:11], off
	s_waitcnt vmcnt(1)
	v_add_u32_e32 v10, v47, v12
	s_waitcnt vmcnt(0)
	v_subrev_u32_e32 v16, s73, v11
	v_cmp_lt_i32_e32 vcc, v10, v16
	s_and_saveexec_b64 s[52:53], vcc
	s_cbranch_execz .LBB53_158
; %bb.156:                              ;   in Loop: Header=BB53_154 Depth=2
	v_ashrrev_i32_e32 v11, 31, v10
	v_lshlrev_b64 v[14:15], 4, v[10:11]
	v_mov_b32_e32 v11, s43
	v_add_co_u32_e32 v12, vcc, s42, v14
	v_addc_co_u32_e32 v13, vcc, v11, v15, vcc
	v_mov_b32_e32 v11, s77
	v_add_co_u32_e32 v14, vcc, s76, v14
	v_addc_co_u32_e32 v15, vcc, v11, v15, vcc
	s_mov_b64 s[54:55], 0
.LBB53_157:                             ;   Parent Loop BB53_3 Depth=1
                                        ;     Parent Loop BB53_154 Depth=2
                                        ; =>    This Inner Loop Header: Depth=3
	global_load_dwordx4 v[20:23], v[14:15], off
	v_add_u32_e32 v10, 16, v10
	v_cmp_ge_i32_e32 vcc, v10, v16
	s_or_b64 s[54:55], vcc, s[54:55]
	s_waitcnt vmcnt(0)
	global_store_dwordx4 v[12:13], v[20:23], off
	v_add_co_u32_e32 v12, vcc, 0x100, v12
	v_addc_co_u32_e32 v13, vcc, 0, v13, vcc
	v_add_co_u32_e32 v14, vcc, 0x100, v14
	v_addc_co_u32_e32 v15, vcc, 0, v15, vcc
	s_andn2_b64 exec, exec, s[54:55]
	s_cbranch_execnz .LBB53_157
.LBB53_158:                             ;   in Loop: Header=BB53_154 Depth=2
	s_or_b64 exec, exec, s[52:53]
	v_mov_b32_e32 v11, s25
	v_add_co_u32_e32 v10, vcc, s24, v8
	v_addc_co_u32_e32 v11, vcc, v11, v9, vcc
	global_load_dword v10, v[10:11], off
	v_mov_b32_e32 v11, s27
	v_add_co_u32_e32 v8, vcc, s26, v8
	v_addc_co_u32_e32 v9, vcc, v11, v9, vcc
	global_load_dword v9, v[8:9], off
	s_waitcnt vmcnt(1)
	v_add_u32_e32 v8, v48, v10
	s_waitcnt vmcnt(0)
	v_subrev_u32_e32 v14, s80, v9
	v_cmp_lt_i32_e32 vcc, v8, v14
	s_and_saveexec_b64 s[52:53], vcc
	s_cbranch_execz .LBB53_161
; %bb.159:                              ;   in Loop: Header=BB53_154 Depth=2
	v_ashrrev_i32_e32 v9, 31, v8
	v_lshlrev_b64 v[12:13], 4, v[8:9]
	v_mov_b32_e32 v9, s31
	v_add_co_u32_e32 v10, vcc, s30, v12
	v_addc_co_u32_e32 v11, vcc, v9, v13, vcc
	v_mov_b32_e32 v9, s79
	v_add_co_u32_e32 v12, vcc, s78, v12
	v_addc_co_u32_e32 v13, vcc, v9, v13, vcc
	s_mov_b64 s[54:55], 0
.LBB53_160:                             ;   Parent Loop BB53_3 Depth=1
                                        ;     Parent Loop BB53_154 Depth=2
                                        ; =>    This Inner Loop Header: Depth=3
	global_load_dwordx4 v[20:23], v[12:13], off
	v_add_u32_e32 v8, 16, v8
	v_cmp_ge_i32_e32 vcc, v8, v14
	s_or_b64 s[54:55], vcc, s[54:55]
	s_waitcnt vmcnt(0)
	global_store_dwordx4 v[10:11], v[20:23], off
	v_add_co_u32_e32 v10, vcc, 0x100, v10
	v_addc_co_u32_e32 v11, vcc, 0, v11, vcc
	v_add_co_u32_e32 v12, vcc, 0x100, v12
	v_addc_co_u32_e32 v13, vcc, 0, v13, vcc
	s_andn2_b64 exec, exec, s[54:55]
	s_cbranch_execnz .LBB53_160
.LBB53_161:                             ;   in Loop: Header=BB53_154 Depth=2
	s_or_b64 exec, exec, s[52:53]
	s_and_b64 exec, exec, s[16:17]
	s_cbranch_execz .LBB53_153
; %bb.162:                              ;   in Loop: Header=BB53_154 Depth=2
	v_lshlrev_b64 v[12:13], 4, v[6:7]
	v_mov_b32_e32 v7, s63
	v_add_co_u32_e32 v8, vcc, s62, v12
	v_addc_co_u32_e32 v9, vcc, v7, v13, vcc
	global_load_dwordx4 v[8:11], v[8:9], off
	v_mov_b32_e32 v7, s61
	v_add_co_u32_e32 v12, vcc, s60, v12
	v_addc_co_u32_e32 v13, vcc, v7, v13, vcc
	s_waitcnt vmcnt(0)
	global_store_dwordx4 v[12:13], v[8:11], off
	s_branch .LBB53_153
.LBB53_163:                             ;   in Loop: Header=BB53_3 Depth=1
	s_or_b64 exec, exec, s[18:19]
	s_mov_b64 s[20:21], -1
	s_mov_b64 s[18:19], -1
	s_and_b64 vcc, exec, s[64:65]
	s_cbranch_vccz .LBB53_173
; %bb.164:                              ;   in Loop: Header=BB53_3 Depth=1
	v_readlane_b32 s0, v62, 18
	v_readlane_b32 s1, v62, 19
	s_and_b64 vcc, exec, s[0:1]
                                        ; implicit-def: $sgpr52_sgpr53
	s_cbranch_vccz .LBB53_170
; %bb.165:                              ;   in Loop: Header=BB53_3 Depth=1
	v_readlane_b32 s0, v62, 14
	v_readlane_b32 s1, v62, 15
	s_and_b64 vcc, exec, s[0:1]
                                        ; implicit-def: $sgpr52_sgpr53
	s_cbranch_vccz .LBB53_167
; %bb.166:                              ;   in Loop: Header=BB53_3 Depth=1
	v_readlane_b32 s52, v62, 0
	v_readlane_b32 s54, v62, 2
	;; [unrolled: 1-line block ×4, first 2 shown]
	v_cmp_ge_f64_e32 vcc, s[54:55], v[2:3]
	s_mov_b64 s[18:19], 0
	s_and_b64 s[52:53], vcc, exec
.LBB53_167:                             ;   in Loop: Header=BB53_3 Depth=1
	s_andn2_b64 vcc, exec, s[18:19]
	s_cbranch_vccnz .LBB53_169
; %bb.168:                              ;   in Loop: Header=BB53_3 Depth=1
	v_readlane_b32 s56, v62, 0
	v_readlane_b32 s58, v62, 2
	;; [unrolled: 1-line block ×3, first 2 shown]
	v_cmp_ge_f64_e32 vcc, s[58:59], v[4:5]
	s_andn2_b64 s[0:1], s[52:53], exec
	s_and_b64 s[18:19], vcc, exec
	s_or_b64 s[52:53], s[0:1], s[18:19]
	v_readlane_b32 s57, v62, 1
.LBB53_169:                             ;   in Loop: Header=BB53_3 Depth=1
	s_mov_b64 s[18:19], 0
.LBB53_170:                             ;   in Loop: Header=BB53_3 Depth=1
	s_andn2_b64 vcc, exec, s[18:19]
	s_cbranch_vccnz .LBB53_172
; %bb.171:                              ;   in Loop: Header=BB53_3 Depth=1
	v_readlane_b32 s56, v62, 0
	v_readlane_b32 s58, v62, 2
	;; [unrolled: 1-line block ×3, first 2 shown]
	v_cmp_ge_f64_e32 vcc, s[58:59], v[4:5]
	v_cmp_ge_f64_e64 s[18:19], s[58:59], v[2:3]
	s_and_b64 s[0:1], vcc, s[18:19]
	s_andn2_b64 s[18:19], s[52:53], exec
	s_and_b64 s[0:1], s[0:1], exec
	s_or_b64 s[52:53], s[18:19], s[0:1]
	v_readlane_b32 s57, v62, 1
.LBB53_172:                             ;   in Loop: Header=BB53_3 Depth=1
	s_xor_b64 s[18:19], s[52:53], -1
.LBB53_173:                             ;   in Loop: Header=BB53_3 Depth=1
	v_mov_b32_e32 v6, s66
	s_and_saveexec_b64 s[52:53], s[18:19]
	s_cbranch_execz .LBB53_2
; %bb.174:                              ;   in Loop: Header=BB53_3 Depth=1
	v_readlane_b32 s0, v62, 4
	s_add_i32 s66, s66, 1
	v_readlane_b32 s1, v62, 5
	s_cmp_eq_u32 s66, s1
	s_mov_b32 s19, s1
	s_cselect_b64 s[0:1], -1, 0
	v_mov_b32_e32 v6, s19
	s_orn2_b64 s[20:21], s[0:1], exec
	s_branch .LBB53_2
.LBB53_175:
	s_or_b64 exec, exec, s[70:71]
	v_readlane_b32 s24, v62, 8
	v_readlane_b32 s2, v62, 6
	;; [unrolled: 1-line block ×6, first 2 shown]
.LBB53_176:
	s_or_b64 exec, exec, s[2:3]
	s_andn2_b64 vcc, exec, s[64:65]
	s_cbranch_vccnz .LBB53_195
; %bb.177:
	v_mov_b32_dpp v7, v6 row_shr:1 row_mask:0xf bank_mask:0xf
	v_max_i32_e32 v6, v6, v7
	v_cmp_eq_u32_e32 vcc, 15, v42
	s_nop 0
	v_mov_b32_dpp v7, v6 row_shr:2 row_mask:0xf bank_mask:0xf
	v_max_i32_e32 v6, v6, v7
	s_nop 1
	v_mov_b32_dpp v7, v6 row_shr:4 row_mask:0xf bank_mask:0xe
	v_max_i32_e32 v6, v6, v7
	s_nop 1
	v_mov_b32_dpp v7, v6 row_shr:8 row_mask:0xf bank_mask:0xc
	s_and_saveexec_b64 s[0:1], vcc
	s_cbranch_execz .LBB53_179
; %bb.178:
	v_lshlrev_b32_e32 v1, 2, v1
	v_max_i32_e32 v6, v6, v7
	ds_write_b32 v1, v6 offset:512
.LBB53_179:
	s_or_b64 exec, exec, s[0:1]
	v_cmp_gt_u32_e32 vcc, 32, v0
	v_lshlrev_b32_e32 v1, 2, v0
	s_waitcnt lgkmcnt(0)
	s_barrier
	s_and_saveexec_b64 s[0:1], vcc
	s_cbranch_execz .LBB53_181
; %bb.180:
	ds_read2_b32 v[6:7], v1 offset0:128 offset1:160
	s_waitcnt lgkmcnt(0)
	v_max_i32_e32 v6, v6, v7
	ds_write_b32 v1, v6 offset:512
.LBB53_181:
	s_or_b64 exec, exec, s[0:1]
	v_cmp_gt_u32_e32 vcc, 16, v0
	s_waitcnt lgkmcnt(0)
	s_barrier
	s_and_saveexec_b64 s[0:1], vcc
	s_cbranch_execz .LBB53_183
; %bb.182:
	ds_read2_b32 v[6:7], v1 offset0:128 offset1:144
	s_waitcnt lgkmcnt(0)
	v_max_i32_e32 v6, v6, v7
	ds_write_b32 v1, v6 offset:512
.LBB53_183:
	s_or_b64 exec, exec, s[0:1]
	v_cmp_gt_u32_e32 vcc, 8, v0
	;; [unrolled: 12-line block ×4, first 2 shown]
	s_waitcnt lgkmcnt(0)
	s_barrier
	s_and_saveexec_b64 s[0:1], vcc
	s_cbranch_execz .LBB53_189
; %bb.188:
	ds_read2_b32 v[6:7], v1 offset0:128 offset1:130
	s_waitcnt lgkmcnt(0)
	v_max_i32_e32 v6, v6, v7
	ds_write_b32 v1, v6 offset:512
.LBB53_189:
	s_or_b64 exec, exec, s[0:1]
	v_cmp_eq_u32_e32 vcc, 0, v0
	s_waitcnt lgkmcnt(0)
	s_barrier
	s_and_saveexec_b64 s[0:1], vcc
	s_cbranch_execz .LBB53_191
; %bb.190:
	v_mov_b32_e32 v1, 0
	ds_read_b64 v[6:7], v1 offset:512
	s_waitcnt lgkmcnt(0)
	v_max_i32_e32 v6, v6, v7
	ds_write_b32 v1, v6 offset:512
.LBB53_191:
	s_or_b64 exec, exec, s[0:1]
	s_waitcnt lgkmcnt(0)
	s_barrier
	s_and_saveexec_b64 s[0:1], vcc
	s_cbranch_execz .LBB53_194
; %bb.192:
	v_mbcnt_lo_u32_b32 v1, exec_lo, 0
	v_mbcnt_hi_u32_b32 v1, exec_hi, v1
	v_cmp_eq_u32_e32 vcc, 0, v1
	s_and_b64 exec, exec, vcc
	s_cbranch_execz .LBB53_194
; %bb.193:
	v_mov_b32_e32 v1, 0
	ds_read_b32 v6, v1 offset:512
	v_readlane_b32 s4, v62, 0
	v_readlane_b32 s5, v62, 1
	;; [unrolled: 1-line block ×4, first 2 shown]
	s_waitcnt lgkmcnt(0)
	v_add_u32_e32 v6, 1, v6
	s_nop 0
	global_atomic_smax v1, v6, s[4:5]
.LBB53_194:
	s_or_b64 exec, exec, s[0:1]
.LBB53_195:
	v_cmp_eq_u32_e32 vcc, 0, v0
	s_mov_b32 s0, 0
	s_and_b64 s[2:3], vcc, s[34:35]
	s_and_saveexec_b64 s[4:5], s[2:3]
	s_cbranch_execz .LBB53_200
; %bb.196:
	v_mov_b32_e32 v0, 0
	global_load_dwordx2 v[6:7], v0, s[24:25] glc
	s_brev_b32 s1, 1
	s_mov_b64 s[6:7], 0
                                        ; implicit-def: $sgpr8_sgpr9
                                        ; implicit-def: $sgpr10_sgpr11
	s_waitcnt vmcnt(0)
	v_cmp_eq_u64_e64 s[12:13], s[0:1], v[6:7]
	v_cmp_eq_f64_e64 s[0:1], 0, v[4:5]
	s_branch .LBB53_198
.LBB53_197:                             ;   in Loop: Header=BB53_198 Depth=1
	s_or_b64 exec, exec, s[14:15]
	s_and_b64 s[2:3], exec, s[8:9]
	s_or_b64 s[6:7], s[2:3], s[6:7]
	s_andn2_b64 s[2:3], s[12:13], exec
	s_and_b64 s[12:13], s[10:11], exec
	s_or_b64 s[12:13], s[2:3], s[12:13]
	s_andn2_b64 exec, exec, s[6:7]
	s_cbranch_execz .LBB53_200
.LBB53_198:                             ; =>This Inner Loop Header: Depth=1
	v_cmp_lt_f64_e64 s[2:3], v[6:7], v[4:5]
	s_and_b64 s[14:15], s[0:1], s[12:13]
	s_or_b64 s[2:3], s[2:3], s[14:15]
	s_andn2_b64 s[10:11], s[10:11], exec
	s_or_b64 s[8:9], s[8:9], exec
	s_and_saveexec_b64 s[14:15], s[2:3]
	s_cbranch_execz .LBB53_197
; %bb.199:                              ;   in Loop: Header=BB53_198 Depth=1
	global_atomic_cmpswap_x2 v[8:9], v0, v[4:7], s[24:25] glc
	s_andn2_b64 s[8:9], s[8:9], exec
	s_andn2_b64 s[10:11], s[10:11], exec
                                        ; implicit-def: $sgpr12_sgpr13
	s_waitcnt vmcnt(0)
	v_cmp_eq_u64_e64 s[2:3], v[8:9], v[6:7]
	v_cndmask_b32_e64 v7, v9, v7, s[2:3]
	v_cndmask_b32_e64 v6, v8, v6, s[2:3]
	s_and_b64 s[2:3], s[2:3], exec
	v_cmp_class_f64_e64 s[16:17], v[6:7], 32
	s_or_b64 s[8:9], s[8:9], s[2:3]
	s_and_b64 s[2:3], s[16:17], exec
	s_or_b64 s[10:11], s[10:11], s[2:3]
	v_pk_mov_b32 v[6:7], v[8:9], v[8:9] op_sel:[0,1]
	s_branch .LBB53_197
.LBB53_200:
	s_or_b64 exec, exec, s[4:5]
	s_and_b64 s[0:1], vcc, s[22:23]
	s_and_saveexec_b64 s[2:3], s[0:1]
	s_cbranch_execz .LBB53_205
; %bb.201:
	v_mov_b32_e32 v0, 0
	global_load_dwordx2 v[4:5], v0, s[26:27] glc
	s_mov_b32 s0, 0
	s_brev_b32 s1, 1
	s_mov_b64 s[2:3], 0
	v_cmp_eq_f64_e32 vcc, 0, v[2:3]
                                        ; implicit-def: $sgpr4_sgpr5
                                        ; implicit-def: $sgpr6_sgpr7
	s_waitcnt vmcnt(0)
	v_cmp_eq_u64_e64 s[8:9], s[0:1], v[4:5]
	s_branch .LBB53_203
.LBB53_202:                             ;   in Loop: Header=BB53_203 Depth=1
	s_or_b64 exec, exec, s[10:11]
	s_and_b64 s[0:1], exec, s[4:5]
	s_or_b64 s[2:3], s[0:1], s[2:3]
	s_andn2_b64 s[0:1], s[8:9], exec
	s_and_b64 s[8:9], s[6:7], exec
	s_or_b64 s[8:9], s[0:1], s[8:9]
	s_andn2_b64 exec, exec, s[2:3]
	s_cbranch_execz .LBB53_205
.LBB53_203:                             ; =>This Inner Loop Header: Depth=1
	v_cmp_lt_f64_e64 s[0:1], v[4:5], v[2:3]
	s_and_b64 s[10:11], vcc, s[8:9]
	s_or_b64 s[0:1], s[0:1], s[10:11]
	s_andn2_b64 s[6:7], s[6:7], exec
	s_or_b64 s[4:5], s[4:5], exec
	s_and_saveexec_b64 s[10:11], s[0:1]
	s_cbranch_execz .LBB53_202
; %bb.204:                              ;   in Loop: Header=BB53_203 Depth=1
	global_atomic_cmpswap_x2 v[6:7], v0, v[2:5], s[26:27] glc
	s_andn2_b64 s[4:5], s[4:5], exec
	s_andn2_b64 s[6:7], s[6:7], exec
                                        ; implicit-def: $sgpr8_sgpr9
	s_waitcnt vmcnt(0)
	v_cmp_eq_u64_e64 s[0:1], v[6:7], v[4:5]
	v_cndmask_b32_e64 v5, v7, v5, s[0:1]
	v_cndmask_b32_e64 v4, v6, v4, s[0:1]
	s_and_b64 s[0:1], s[0:1], exec
	v_cmp_class_f64_e64 s[12:13], v[4:5], 32
	s_or_b64 s[4:5], s[4:5], s[0:1]
	s_and_b64 s[0:1], s[12:13], exec
	s_or_b64 s[6:7], s[6:7], s[0:1]
	v_pk_mov_b32 v[4:5], v[6:7], v[6:7] op_sel:[0,1]
	s_branch .LBB53_202
.LBB53_205:
	s_endpgm
	.section	.rodata,"a",@progbits
	.p2align	6, 0x0
	.amdhsa_kernel _ZN9rocsparseL6kernelILi1024ELi16E21rocsparse_complex_numIdEiiEEvbbbT3_PS3_NS_15floating_traitsIT1_E6data_tES3_T2_PKS9_SB_PKS3_PKS6_21rocsparse_index_base_SB_SB_SD_PS6_SH_SG_SB_SB_SD_SH_SH_SG_SH_SH_PS8_SI_PKS8_
		.amdhsa_group_segment_fixed_size 768
		.amdhsa_private_segment_fixed_size 0
		.amdhsa_kernarg_size 208
		.amdhsa_user_sgpr_count 6
		.amdhsa_user_sgpr_private_segment_buffer 1
		.amdhsa_user_sgpr_dispatch_ptr 0
		.amdhsa_user_sgpr_queue_ptr 0
		.amdhsa_user_sgpr_kernarg_segment_ptr 1
		.amdhsa_user_sgpr_dispatch_id 0
		.amdhsa_user_sgpr_flat_scratch_init 0
		.amdhsa_user_sgpr_kernarg_preload_length 0
		.amdhsa_user_sgpr_kernarg_preload_offset 0
		.amdhsa_user_sgpr_private_segment_size 0
		.amdhsa_uses_dynamic_stack 0
		.amdhsa_system_sgpr_private_segment_wavefront_offset 0
		.amdhsa_system_sgpr_workgroup_id_x 1
		.amdhsa_system_sgpr_workgroup_id_y 0
		.amdhsa_system_sgpr_workgroup_id_z 0
		.amdhsa_system_sgpr_workgroup_info 0
		.amdhsa_system_vgpr_workitem_id 0
		.amdhsa_next_free_vgpr 63
		.amdhsa_next_free_sgpr 96
		.amdhsa_accum_offset 64
		.amdhsa_reserve_vcc 1
		.amdhsa_reserve_flat_scratch 0
		.amdhsa_float_round_mode_32 0
		.amdhsa_float_round_mode_16_64 0
		.amdhsa_float_denorm_mode_32 3
		.amdhsa_float_denorm_mode_16_64 3
		.amdhsa_dx10_clamp 1
		.amdhsa_ieee_mode 1
		.amdhsa_fp16_overflow 0
		.amdhsa_tg_split 0
		.amdhsa_exception_fp_ieee_invalid_op 0
		.amdhsa_exception_fp_denorm_src 0
		.amdhsa_exception_fp_ieee_div_zero 0
		.amdhsa_exception_fp_ieee_overflow 0
		.amdhsa_exception_fp_ieee_underflow 0
		.amdhsa_exception_fp_ieee_inexact 0
		.amdhsa_exception_int_div_zero 0
	.end_amdhsa_kernel
	.section	.text._ZN9rocsparseL6kernelILi1024ELi16E21rocsparse_complex_numIdEiiEEvbbbT3_PS3_NS_15floating_traitsIT1_E6data_tES3_T2_PKS9_SB_PKS3_PKS6_21rocsparse_index_base_SB_SB_SD_PS6_SH_SG_SB_SB_SD_SH_SH_SG_SH_SH_PS8_SI_PKS8_,"axG",@progbits,_ZN9rocsparseL6kernelILi1024ELi16E21rocsparse_complex_numIdEiiEEvbbbT3_PS3_NS_15floating_traitsIT1_E6data_tES3_T2_PKS9_SB_PKS3_PKS6_21rocsparse_index_base_SB_SB_SD_PS6_SH_SG_SB_SB_SD_SH_SH_SG_SH_SH_PS8_SI_PKS8_,comdat
.Lfunc_end53:
	.size	_ZN9rocsparseL6kernelILi1024ELi16E21rocsparse_complex_numIdEiiEEvbbbT3_PS3_NS_15floating_traitsIT1_E6data_tES3_T2_PKS9_SB_PKS3_PKS6_21rocsparse_index_base_SB_SB_SD_PS6_SH_SG_SB_SB_SD_SH_SH_SG_SH_SH_PS8_SI_PKS8_, .Lfunc_end53-_ZN9rocsparseL6kernelILi1024ELi16E21rocsparse_complex_numIdEiiEEvbbbT3_PS3_NS_15floating_traitsIT1_E6data_tES3_T2_PKS9_SB_PKS3_PKS6_21rocsparse_index_base_SB_SB_SD_PS6_SH_SG_SB_SB_SD_SH_SH_SG_SH_SH_PS8_SI_PKS8_
                                        ; -- End function
	.section	.AMDGPU.csdata,"",@progbits
; Kernel info:
; codeLenInByte = 9100
; NumSgprs: 100
; NumVgprs: 63
; NumAgprs: 0
; TotalNumVgprs: 63
; ScratchSize: 0
; MemoryBound: 1
; FloatMode: 240
; IeeeMode: 1
; LDSByteSize: 768 bytes/workgroup (compile time only)
; SGPRBlocks: 12
; VGPRBlocks: 7
; NumSGPRsForWavesPerEU: 100
; NumVGPRsForWavesPerEU: 63
; AccumOffset: 64
; Occupancy: 8
; WaveLimiterHint : 1
; COMPUTE_PGM_RSRC2:SCRATCH_EN: 0
; COMPUTE_PGM_RSRC2:USER_SGPR: 6
; COMPUTE_PGM_RSRC2:TRAP_HANDLER: 0
; COMPUTE_PGM_RSRC2:TGID_X_EN: 1
; COMPUTE_PGM_RSRC2:TGID_Y_EN: 0
; COMPUTE_PGM_RSRC2:TGID_Z_EN: 0
; COMPUTE_PGM_RSRC2:TIDIG_COMP_CNT: 0
; COMPUTE_PGM_RSRC3_GFX90A:ACCUM_OFFSET: 15
; COMPUTE_PGM_RSRC3_GFX90A:TG_SPLIT: 0
	.section	.text._ZN9rocsparseL6kernelILi1024ELi32E21rocsparse_complex_numIdEiiEEvbbbT3_PS3_NS_15floating_traitsIT1_E6data_tES3_T2_PKS9_SB_PKS3_PKS6_21rocsparse_index_base_SB_SB_SD_PS6_SH_SG_SB_SB_SD_SH_SH_SG_SH_SH_PS8_SI_PKS8_,"axG",@progbits,_ZN9rocsparseL6kernelILi1024ELi32E21rocsparse_complex_numIdEiiEEvbbbT3_PS3_NS_15floating_traitsIT1_E6data_tES3_T2_PKS9_SB_PKS3_PKS6_21rocsparse_index_base_SB_SB_SD_PS6_SH_SG_SB_SB_SD_SH_SH_SG_SH_SH_PS8_SI_PKS8_,comdat
	.globl	_ZN9rocsparseL6kernelILi1024ELi32E21rocsparse_complex_numIdEiiEEvbbbT3_PS3_NS_15floating_traitsIT1_E6data_tES3_T2_PKS9_SB_PKS3_PKS6_21rocsparse_index_base_SB_SB_SD_PS6_SH_SG_SB_SB_SD_SH_SH_SG_SH_SH_PS8_SI_PKS8_ ; -- Begin function _ZN9rocsparseL6kernelILi1024ELi32E21rocsparse_complex_numIdEiiEEvbbbT3_PS3_NS_15floating_traitsIT1_E6data_tES3_T2_PKS9_SB_PKS3_PKS6_21rocsparse_index_base_SB_SB_SD_PS6_SH_SG_SB_SB_SD_SH_SH_SG_SH_SH_PS8_SI_PKS8_
	.p2align	8
	.type	_ZN9rocsparseL6kernelILi1024ELi32E21rocsparse_complex_numIdEiiEEvbbbT3_PS3_NS_15floating_traitsIT1_E6data_tES3_T2_PKS9_SB_PKS3_PKS6_21rocsparse_index_base_SB_SB_SD_PS6_SH_SG_SB_SB_SD_SH_SH_SG_SH_SH_PS8_SI_PKS8_,@function
_ZN9rocsparseL6kernelILi1024ELi32E21rocsparse_complex_numIdEiiEEvbbbT3_PS3_NS_15floating_traitsIT1_E6data_tES3_T2_PKS9_SB_PKS3_PKS6_21rocsparse_index_base_SB_SB_SD_PS6_SH_SG_SB_SB_SD_SH_SH_SG_SH_SH_PS8_SI_PKS8_: ; @_ZN9rocsparseL6kernelILi1024ELi32E21rocsparse_complex_numIdEiiEEvbbbT3_PS3_NS_15floating_traitsIT1_E6data_tES3_T2_PKS9_SB_PKS3_PKS6_21rocsparse_index_base_SB_SB_SD_PS6_SH_SG_SB_SB_SD_SH_SH_SG_SH_SH_PS8_SI_PKS8_
; %bb.0:
	s_load_dword s0, s[4:5], 0x0
	s_load_dwordx2 s[64:65], s[4:5], 0x0
	s_load_dwordx4 s[20:23], s[4:5], 0xb8
	s_load_dwordx4 s[8:11], s[4:5], 0x8
	s_load_dword s30, s[4:5], 0x18
	s_waitcnt lgkmcnt(0)
	s_bitcmp1_b32 s0, 0
	s_cselect_b64 s[62:63], -1, 0
	s_bitcmp1_b32 s0, 8
                                        ; implicit-def: $vgpr62 : SGPR spill to VGPR lane
	s_cselect_b64 s[60:61], -1, 0
	s_bitcmp1_b32 s64, 16
	v_writelane_b32 v62, s8, 0
	s_cselect_b64 s[34:35], -1, 0
	v_lshrrev_b32_e32 v1, 5, v0
	s_lshl_b32 s71, s6, 10
	v_writelane_b32 v62, s9, 1
	v_or_b32_e32 v43, s71, v1
	v_mov_b32_e32 v6, 0
	s_cmp_gt_i32 s65, 0
	v_pk_mov_b32 v[4:5], 0, 0
	v_writelane_b32 v62, s10, 2
	v_and_b32_e32 v42, 31, v0
	v_lshlrev_b32_e32 v44, 3, v0
	s_mov_b32 s31, 0
	v_mov_b32_e32 v7, v6
	v_cmp_gt_i32_e32 vcc, s30, v43
	s_cselect_b64 s[0:1], -1, 0
	s_mov_b64 s[68:69], 0
	v_pk_mov_b32 v[2:3], v[4:5], v[4:5] op_sel:[0,1]
	v_writelane_b32 v62, s11, 3
	ds_write_b64 v44, v[6:7]
	s_waitcnt lgkmcnt(0)
	s_barrier
	s_and_b64 s[0:1], s[0:1], vcc
	s_mov_b64 s[2:3], exec
	v_writelane_b32 v62, s2, 4
	s_and_b64 s[0:1], s[2:3], s[0:1]
	v_writelane_b32 v62, s3, 5
	s_mov_b64 exec, s[0:1]
	s_cbranch_execz .LBB54_172
; %bb.1:
	v_writelane_b32 v62, s20, 6
	s_load_dwordx2 s[0:1], s[4:5], 0xc8
	v_writelane_b32 v62, s21, 7
	v_writelane_b32 v62, s22, 8
	v_writelane_b32 v62, s23, 9
	s_load_dwordx4 s[56:59], s[4:5], 0xa8
	s_load_dwordx8 s[20:27], s[4:5], 0x78
	s_load_dwordx8 s[36:43], s[4:5], 0x48
	s_load_dwordx8 s[44:51], s[4:5], 0x20
	s_load_dword s33, s[4:5], 0x40
	s_load_dwordx2 s[74:75], s[4:5], 0x68
	s_load_dword s64, s[4:5], 0x70
	s_load_dwordx2 s[76:77], s[4:5], 0x98
	s_load_dword s70, s[4:5], 0xa0
	s_waitcnt lgkmcnt(0)
	v_writelane_b32 v62, s0, 10
	v_writelane_b32 v62, s1, 11
	s_xor_b64 s[0:1], s[60:61], -1
	v_writelane_b32 v62, s0, 12
	s_and_b64 s[16:17], s[60:61], s[34:35]
	v_writelane_b32 v62, s1, 13
	s_addk_i32 s71, 0x400
	s_xor_b64 s[16:17], s[16:17], -1
	v_pk_mov_b32 v[2:3], 0, 0
	s_mov_b32 s80, 0
	v_subrev_u32_e32 v45, s33, v42
	v_cmp_gt_u32_e64 s[0:1], s71, v43
	v_cmp_eq_u32_e64 s[2:3], 31, v42
	v_lshlrev_b32_e32 v46, 3, v1
	v_cmp_gt_u32_e64 s[4:5], 16, v0
	v_cmp_gt_u32_e64 s[6:7], 8, v0
	v_cmp_gt_u32_e64 s[8:9], 4, v0
	v_cmp_gt_u32_e64 s[10:11], 2, v0
	v_cmp_eq_u32_e64 s[12:13], 0, v0
	v_subrev_u32_e32 v47, s64, v42
	v_subrev_u32_e32 v48, s70, v42
	v_cmp_eq_u32_e64 s[14:15], 0, v42
	v_writelane_b32 v62, s16, 14
	s_brev_b32 s81, 8
	v_mov_b32_e32 v49, 0x260
	s_movk_i32 s78, 0x1f8
	v_mov_b32_e32 v19, 0
	v_mov_b32_e32 v50, 0xffffff80
	v_pk_mov_b32 v[4:5], v[2:3], v[2:3] op_sel:[0,1]
	v_writelane_b32 v62, s17, 15
	s_branch .LBB54_3
.LBB54_2:                               ;   in Loop: Header=BB54_3 Depth=1
	s_or_b64 exec, exec, s[28:29]
	s_and_b64 s[16:17], exec, s[18:19]
	s_or_b64 s[68:69], s[16:17], s[68:69]
	s_andn2_b64 exec, exec, s[68:69]
	s_cbranch_execz .LBB54_171
.LBB54_3:                               ; =>This Loop Header: Depth=1
                                        ;     Child Loop BB54_7 Depth 2
                                        ;       Child Loop BB54_12 Depth 3
                                        ;         Child Loop BB54_16 Depth 4
                                        ;         Child Loop BB54_51 Depth 4
	;; [unrolled: 1-line block ×5, first 2 shown]
                                        ;     Child Loop BB54_150 Depth 2
                                        ;       Child Loop BB54_153 Depth 3
                                        ;       Child Loop BB54_156 Depth 3
	s_mov_b32 s79, 0
	v_cndmask_b32_e64 v5, v5, 0, s[60:61]
	v_cndmask_b32_e64 v4, v4, 0, s[60:61]
	v_cndmask_b32_e64 v3, v3, 0, s[34:35]
	v_cndmask_b32_e64 v2, v2, 0, s[34:35]
	s_branch .LBB54_7
.LBB54_4:                               ;   in Loop: Header=BB54_7 Depth=2
	s_or_b64 exec, exec, s[86:87]
.LBB54_5:                               ;   in Loop: Header=BB54_7 Depth=2
	s_or_b64 exec, exec, s[84:85]
.LBB54_6:                               ;   in Loop: Header=BB54_7 Depth=2
	s_or_b64 exec, exec, s[82:83]
	s_add_i32 s79, s79, 1
	s_cmp_eq_u32 s79, 32
	s_cbranch_scc1 .LBB54_119
.LBB54_7:                               ;   Parent Loop BB54_3 Depth=1
                                        ; =>  This Loop Header: Depth=2
                                        ;       Child Loop BB54_12 Depth 3
                                        ;         Child Loop BB54_16 Depth 4
                                        ;         Child Loop BB54_51 Depth 4
	;; [unrolled: 1-line block ×5, first 2 shown]
	v_lshl_add_u32 v20, s79, 5, v43
	v_cmp_gt_i32_e32 vcc, s30, v20
	s_and_saveexec_b64 s[82:83], vcc
	s_cbranch_execz .LBB54_6
; %bb.8:                                ;   in Loop: Header=BB54_7 Depth=2
	v_ashrrev_i32_e32 v21, 31, v20
	v_lshlrev_b64 v[6:7], 2, v[20:21]
	v_mov_b32_e32 v9, s45
	v_add_co_u32_e32 v8, vcc, s44, v6
	v_addc_co_u32_e32 v9, vcc, v9, v7, vcc
	global_load_dword v10, v[8:9], off
	v_mov_b32_e32 v9, s47
	v_add_co_u32_e32 v8, vcc, s46, v6
	v_addc_co_u32_e32 v9, vcc, v9, v7, vcc
	global_load_dword v8, v[8:9], off
	s_waitcnt vmcnt(1)
	v_add_u32_e32 v22, v45, v10
	s_waitcnt vmcnt(0)
	v_subrev_u32_e32 v21, s33, v8
	v_cmp_lt_i32_e32 vcc, v22, v21
	s_and_saveexec_b64 s[84:85], vcc
	s_cbranch_execz .LBB54_5
; %bb.9:                                ;   in Loop: Header=BB54_7 Depth=2
	v_mov_b32_e32 v9, s39
	v_add_co_u32_e32 v8, vcc, s38, v6
	v_addc_co_u32_e32 v9, vcc, v9, v7, vcc
	v_mov_b32_e32 v10, s37
	v_add_co_u32_e32 v6, vcc, s36, v6
	v_addc_co_u32_e32 v7, vcc, v10, v7, vcc
	global_load_dword v6, v[6:7], off
	s_nop 0
	global_load_dword v7, v[8:9], off
	v_mov_b32_e32 v10, s41
	v_mov_b32_e32 v11, s43
	s_mov_b64 s[86:87], 0
	s_waitcnt vmcnt(1)
	v_subrev_u32_e32 v24, s64, v6
	v_ashrrev_i32_e32 v25, 31, v24
	s_waitcnt vmcnt(0)
	v_sub_u32_e32 v51, v7, v6
	v_lshlrev_b64 v[6:7], 2, v[24:25]
	v_lshlrev_b64 v[8:9], 4, v[24:25]
	v_add_co_u32_e32 v25, vcc, s40, v6
	v_addc_co_u32_e32 v52, vcc, v10, v7, vcc
	v_add_co_u32_e32 v53, vcc, s42, v8
	v_cmp_lt_i32_e64 s[16:17], 0, v51
	v_addc_co_u32_e32 v54, vcc, v11, v9, vcc
	s_branch .LBB54_12
.LBB54_10:                              ;   in Loop: Header=BB54_12 Depth=3
	s_or_b64 exec, exec, s[28:29]
.LBB54_11:                              ;   in Loop: Header=BB54_12 Depth=3
	s_or_b64 exec, exec, s[18:19]
	v_add_u32_e32 v22, 32, v22
	v_cmp_ge_i32_e32 vcc, v22, v21
	s_or_b64 s[86:87], vcc, s[86:87]
	s_andn2_b64 exec, exec, s[86:87]
	s_cbranch_execz .LBB54_4
.LBB54_12:                              ;   Parent Loop BB54_3 Depth=1
                                        ;     Parent Loop BB54_7 Depth=2
                                        ; =>    This Loop Header: Depth=3
                                        ;         Child Loop BB54_16 Depth 4
                                        ;         Child Loop BB54_51 Depth 4
	;; [unrolled: 1-line block ×5, first 2 shown]
	v_ashrrev_i32_e32 v23, 31, v22
	v_lshlrev_b64 v[6:7], 2, v[22:23]
	v_mov_b32_e32 v8, s49
	v_add_co_u32_e32 v6, vcc, s48, v6
	v_addc_co_u32_e32 v7, vcc, v8, v7, vcc
	global_load_dword v6, v[6:7], off
	v_mov_b32_e32 v9, s21
	v_mov_b32_e32 v10, s23
	v_pk_mov_b32 v[28:29], 0, 0
	v_mov_b32_e32 v18, 0
	v_pk_mov_b32 v[30:31], v[28:29], v[28:29] op_sel:[0,1]
	v_mov_b32_e32 v34, 0
	s_waitcnt vmcnt(0)
	v_subrev_u32_e32 v26, s33, v6
	v_ashrrev_i32_e32 v27, 31, v26
	v_lshlrev_b64 v[6:7], 2, v[26:27]
	v_add_co_u32_e32 v8, vcc, s20, v6
	v_addc_co_u32_e32 v9, vcc, v9, v7, vcc
	v_add_co_u32_e32 v6, vcc, s22, v6
	v_addc_co_u32_e32 v7, vcc, v10, v7, vcc
	global_load_dword v8, v[8:9], off
	s_nop 0
	global_load_dword v6, v[6:7], off
	s_waitcnt vmcnt(1)
	v_subrev_u32_e32 v32, s70, v8
	s_waitcnt vmcnt(0)
	v_sub_u32_e32 v55, v6, v8
	s_and_saveexec_b64 s[18:19], s[16:17]
	s_cbranch_execz .LBB54_20
; %bb.13:                               ;   in Loop: Header=BB54_12 Depth=3
	v_ashrrev_i32_e32 v33, 31, v32
	v_lshlrev_b64 v[6:7], 2, v[32:33]
	v_mov_b32_e32 v8, s25
	v_add_co_u32_e32 v6, vcc, s24, v6
	v_addc_co_u32_e32 v7, vcc, v8, v7, vcc
	v_lshlrev_b64 v[8:9], 4, v[32:33]
	v_mov_b32_e32 v10, s27
	v_add_co_u32_e32 v8, vcc, s26, v8
	v_mov_b32_e32 v34, 0
	v_pk_mov_b32 v[28:29], 0, 0
	v_addc_co_u32_e32 v9, vcc, v10, v9, vcc
	s_mov_b64 s[66:67], 0
	v_mov_b32_e32 v18, v34
	v_pk_mov_b32 v[30:31], v[28:29], v[28:29] op_sel:[0,1]
                                        ; implicit-def: $sgpr88_sgpr89
	s_branch .LBB54_16
.LBB54_14:                              ;   in Loop: Header=BB54_16 Depth=4
	s_or_b64 exec, exec, s[52:53]
	v_cmp_le_i32_e32 vcc, v10, v11
	v_addc_co_u32_e32 v18, vcc, 0, v18, vcc
	v_cmp_ge_i32_e32 vcc, v10, v11
	v_addc_co_u32_e32 v34, vcc, 0, v34, vcc
	v_cmp_ge_i32_e32 vcc, v18, v51
	s_andn2_b64 s[28:29], s[88:89], exec
	s_and_b64 s[52:53], vcc, exec
	s_or_b64 s[88:89], s[28:29], s[52:53]
.LBB54_15:                              ;   in Loop: Header=BB54_16 Depth=4
	s_or_b64 exec, exec, s[90:91]
	s_and_b64 s[28:29], exec, s[88:89]
	s_or_b64 s[66:67], s[28:29], s[66:67]
	s_andn2_b64 exec, exec, s[66:67]
	s_cbranch_execz .LBB54_19
.LBB54_16:                              ;   Parent Loop BB54_3 Depth=1
                                        ;     Parent Loop BB54_7 Depth=2
                                        ;       Parent Loop BB54_12 Depth=3
                                        ; =>      This Inner Loop Header: Depth=4
	v_cmp_lt_i32_e32 vcc, v34, v55
	s_or_b64 s[88:89], s[88:89], exec
	s_and_saveexec_b64 s[90:91], vcc
	s_cbranch_execz .LBB54_15
; %bb.17:                               ;   in Loop: Header=BB54_16 Depth=4
	v_lshlrev_b64 v[10:11], 2, v[18:19]
	v_add_co_u32_e32 v10, vcc, v25, v10
	v_addc_co_u32_e32 v11, vcc, v52, v11, vcc
	v_mov_b32_e32 v35, v19
	global_load_dword v12, v[10:11], off
	v_lshlrev_b64 v[10:11], 2, v[34:35]
	v_add_co_u32_e32 v10, vcc, v6, v10
	v_addc_co_u32_e32 v11, vcc, v7, v11, vcc
	global_load_dword v11, v[10:11], off
	s_waitcnt vmcnt(1)
	v_subrev_u32_e32 v10, s64, v12
	s_waitcnt vmcnt(0)
	v_subrev_u32_e32 v11, s70, v11
	v_cmp_eq_u32_e32 vcc, v10, v11
	s_and_saveexec_b64 s[52:53], vcc
	s_cbranch_execz .LBB54_14
; %bb.18:                               ;   in Loop: Header=BB54_16 Depth=4
	v_lshlrev_b64 v[12:13], 4, v[18:19]
	v_add_co_u32_e32 v12, vcc, v53, v12
	v_addc_co_u32_e32 v13, vcc, v54, v13, vcc
	v_lshlrev_b64 v[16:17], 4, v[34:35]
	v_add_co_u32_e32 v16, vcc, v8, v16
	v_addc_co_u32_e32 v17, vcc, v9, v17, vcc
	global_load_dwordx4 v[12:15], v[12:13], off
	s_nop 0
	global_load_dwordx4 v[36:39], v[16:17], off
	s_waitcnt vmcnt(0)
	v_fmac_f64_e32 v[28:29], v[12:13], v[36:37]
	v_fmac_f64_e32 v[30:31], v[14:15], v[36:37]
	v_fma_f64 v[28:29], -v[14:15], v[38:39], v[28:29]
	v_fmac_f64_e32 v[30:31], v[12:13], v[38:39]
	s_branch .LBB54_14
.LBB54_19:                              ;   in Loop: Header=BB54_12 Depth=3
	s_or_b64 exec, exec, s[66:67]
.LBB54_20:                              ;   in Loop: Header=BB54_12 Depth=3
	s_or_b64 exec, exec, s[18:19]
	v_lshlrev_b64 v[6:7], 4, v[22:23]
	v_mov_b32_e32 v8, s51
	v_add_co_u32_e32 v6, vcc, s50, v6
	v_addc_co_u32_e32 v7, vcc, v8, v7, vcc
	global_load_dwordx4 v[6:9], v[6:7], off
	v_cmp_le_i32_e64 s[18:19], v20, v26
	v_cmp_gt_i32_e32 vcc, v20, v26
	s_waitcnt vmcnt(0)
	v_add_f64 v[10:11], v[6:7], -v[28:29]
	v_add_f64 v[12:13], v[8:9], -v[30:31]
	s_and_saveexec_b64 s[66:67], vcc
	s_cbranch_execz .LBB54_30
; %bb.21:                               ;   in Loop: Header=BB54_12 Depth=3
	v_lshlrev_b64 v[14:15], 4, v[26:27]
	v_mov_b32_e32 v16, s57
	v_add_co_u32_e32 v14, vcc, s56, v14
	v_addc_co_u32_e32 v15, vcc, v16, v15, vcc
	global_load_dwordx4 v[14:17], v[14:15], off
                                        ; implicit-def: $vgpr40_vgpr41
	s_waitcnt vmcnt(0)
	v_xor_b32_e32 v23, 0x80000000, v15
	v_cmp_gt_f64_e32 vcc, 0, v[14:15]
	v_xor_b32_e32 v33, 0x80000000, v17
	v_cndmask_b32_e32 v37, v15, v23, vcc
	v_cmp_gt_f64_e32 vcc, 0, v[16:17]
	v_mov_b32_e32 v36, v14
	v_cndmask_b32_e32 v39, v17, v33, vcc
	v_mov_b32_e32 v38, v16
	v_cmp_ngt_f64_e32 vcc, v[36:37], v[38:39]
	s_and_saveexec_b64 s[28:29], vcc
	s_xor_b64 s[52:53], exec, s[28:29]
	s_cbranch_execz .LBB54_25
; %bb.22:                               ;   in Loop: Header=BB54_12 Depth=3
	v_cmp_neq_f64_e32 vcc, 0, v[16:17]
	v_pk_mov_b32 v[40:41], 0, 0
	s_and_saveexec_b64 s[54:55], vcc
	s_cbranch_execz .LBB54_24
; %bb.23:                               ;   in Loop: Header=BB54_12 Depth=3
	v_div_scale_f64 v[40:41], s[28:29], v[38:39], v[38:39], v[36:37]
	v_rcp_f64_e32 v[56:57], v[40:41]
	v_div_scale_f64 v[58:59], vcc, v[36:37], v[38:39], v[36:37]
	v_fma_f64 v[60:61], -v[40:41], v[56:57], 1.0
	v_fmac_f64_e32 v[56:57], v[56:57], v[60:61]
	v_fma_f64 v[60:61], -v[40:41], v[56:57], 1.0
	v_fmac_f64_e32 v[56:57], v[56:57], v[60:61]
	v_mul_f64 v[60:61], v[58:59], v[56:57]
	v_fma_f64 v[40:41], -v[40:41], v[60:61], v[58:59]
	v_div_fmas_f64 v[40:41], v[40:41], v[56:57], v[60:61]
	v_div_fixup_f64 v[36:37], v[40:41], v[38:39], v[36:37]
	v_fma_f64 v[36:37], v[36:37], v[36:37], 1.0
	v_cmp_gt_f64_e32 vcc, s[80:81], v[36:37]
	v_cndmask_b32_e64 v23, 0, 1, vcc
	v_lshlrev_b32_e32 v23, 8, v23
	v_ldexp_f64 v[36:37], v[36:37], v23
	v_rsq_f64_e32 v[40:41], v[36:37]
	v_cndmask_b32_e32 v23, 0, v50, vcc
	v_cmp_class_f64_e32 vcc, v[36:37], v49
	v_mul_f64 v[56:57], v[36:37], v[40:41]
	v_mul_f64 v[40:41], v[40:41], 0.5
	v_fma_f64 v[58:59], -v[40:41], v[56:57], 0.5
	v_fmac_f64_e32 v[56:57], v[56:57], v[58:59]
	v_fma_f64 v[60:61], -v[56:57], v[56:57], v[36:37]
	v_fmac_f64_e32 v[40:41], v[40:41], v[58:59]
	v_fmac_f64_e32 v[56:57], v[60:61], v[40:41]
	v_fma_f64 v[58:59], -v[56:57], v[56:57], v[36:37]
	v_fmac_f64_e32 v[56:57], v[58:59], v[40:41]
	v_ldexp_f64 v[40:41], v[56:57], v23
	v_cndmask_b32_e32 v37, v41, v37, vcc
	v_cndmask_b32_e32 v36, v40, v36, vcc
	v_mul_f64 v[40:41], v[38:39], v[36:37]
.LBB54_24:                              ;   in Loop: Header=BB54_12 Depth=3
	s_or_b64 exec, exec, s[54:55]
                                        ; implicit-def: $vgpr36_vgpr37
                                        ; implicit-def: $vgpr38_vgpr39
.LBB54_25:                              ;   in Loop: Header=BB54_12 Depth=3
	s_andn2_saveexec_b64 s[52:53], s[52:53]
	s_cbranch_execz .LBB54_27
; %bb.26:                               ;   in Loop: Header=BB54_12 Depth=3
	v_div_scale_f64 v[40:41], s[28:29], v[36:37], v[36:37], v[38:39]
	v_rcp_f64_e32 v[56:57], v[40:41]
	v_div_scale_f64 v[58:59], vcc, v[38:39], v[36:37], v[38:39]
	v_fma_f64 v[60:61], -v[40:41], v[56:57], 1.0
	v_fmac_f64_e32 v[56:57], v[56:57], v[60:61]
	v_fma_f64 v[60:61], -v[40:41], v[56:57], 1.0
	v_fmac_f64_e32 v[56:57], v[56:57], v[60:61]
	v_mul_f64 v[60:61], v[58:59], v[56:57]
	v_fma_f64 v[40:41], -v[40:41], v[60:61], v[58:59]
	v_div_fmas_f64 v[40:41], v[40:41], v[56:57], v[60:61]
	v_div_fixup_f64 v[38:39], v[40:41], v[36:37], v[38:39]
	v_fma_f64 v[38:39], v[38:39], v[38:39], 1.0
	v_cmp_gt_f64_e32 vcc, s[80:81], v[38:39]
	v_cndmask_b32_e64 v23, 0, 1, vcc
	v_lshlrev_b32_e32 v23, 8, v23
	v_ldexp_f64 v[38:39], v[38:39], v23
	v_rsq_f64_e32 v[40:41], v[38:39]
	v_cndmask_b32_e32 v23, 0, v50, vcc
	v_cmp_class_f64_e32 vcc, v[38:39], v49
	v_mul_f64 v[56:57], v[38:39], v[40:41]
	v_mul_f64 v[40:41], v[40:41], 0.5
	v_fma_f64 v[58:59], -v[40:41], v[56:57], 0.5
	v_fmac_f64_e32 v[56:57], v[56:57], v[58:59]
	v_fma_f64 v[60:61], -v[56:57], v[56:57], v[38:39]
	v_fmac_f64_e32 v[40:41], v[40:41], v[58:59]
	v_fmac_f64_e32 v[56:57], v[60:61], v[40:41]
	v_fma_f64 v[58:59], -v[56:57], v[56:57], v[38:39]
	v_fmac_f64_e32 v[56:57], v[58:59], v[40:41]
	v_ldexp_f64 v[40:41], v[56:57], v23
	v_cndmask_b32_e32 v39, v41, v39, vcc
	v_cndmask_b32_e32 v38, v40, v38, vcc
	v_mul_f64 v[40:41], v[36:37], v[38:39]
.LBB54_27:                              ;   in Loop: Header=BB54_12 Depth=3
	s_or_b64 exec, exec, s[52:53]
	v_pk_mov_b32 v[38:39], 0, 0
	v_cmp_lt_f64_e32 vcc, 0, v[40:41]
	v_pk_mov_b32 v[36:37], v[38:39], v[38:39] op_sel:[0,1]
	s_and_saveexec_b64 s[52:53], vcc
	s_cbranch_execz .LBB54_29
; %bb.28:                               ;   in Loop: Header=BB54_12 Depth=3
	v_mul_f64 v[36:37], v[16:17], v[16:17]
	v_fmac_f64_e32 v[36:37], v[14:15], v[14:15]
	v_div_scale_f64 v[38:39], s[28:29], v[36:37], v[36:37], 1.0
	v_rcp_f64_e32 v[40:41], v[38:39]
	v_div_scale_f64 v[56:57], vcc, 1.0, v[36:37], 1.0
	v_fma_f64 v[58:59], -v[38:39], v[40:41], 1.0
	v_fmac_f64_e32 v[40:41], v[40:41], v[58:59]
	v_fma_f64 v[58:59], -v[38:39], v[40:41], 1.0
	v_fmac_f64_e32 v[40:41], v[40:41], v[58:59]
	v_mul_f64 v[58:59], v[56:57], v[40:41]
	v_fma_f64 v[38:39], -v[38:39], v[58:59], v[56:57]
	v_div_fmas_f64 v[38:39], v[38:39], v[40:41], v[58:59]
	v_div_fixup_f64 v[38:39], v[38:39], v[36:37], 1.0
	v_mul_f64 v[36:37], v[12:13], v[16:17]
	v_fmac_f64_e32 v[36:37], v[10:11], v[14:15]
	v_mul_f64 v[10:11], v[16:17], -v[10:11]
	v_fmac_f64_e32 v[10:11], v[12:13], v[14:15]
	v_mul_f64 v[36:37], v[36:37], v[38:39]
	v_mul_f64 v[38:39], v[10:11], v[38:39]
.LBB54_29:                              ;   in Loop: Header=BB54_12 Depth=3
	s_or_b64 exec, exec, s[52:53]
	v_pk_mov_b32 v[12:13], v[38:39], v[38:39] op_sel:[0,1]
	v_pk_mov_b32 v[10:11], v[36:37], v[36:37] op_sel:[0,1]
.LBB54_30:                              ;   in Loop: Header=BB54_12 Depth=3
	s_or_b64 exec, exec, s[66:67]
	v_xor_b32_e32 v14, 0x80000000, v11
	v_cmp_gt_f64_e32 vcc, 0, v[10:11]
	v_cndmask_b32_e32 v15, v11, v14, vcc
	v_cndmask_b32_e32 v14, v10, v10, vcc
	v_xor_b32_e32 v16, 0x80000000, v13
	v_cmp_gt_f64_e32 vcc, 0, v[12:13]
	v_cndmask_b32_e32 v17, v13, v16, vcc
	v_cndmask_b32_e32 v16, v12, v12, vcc
	v_cmp_ngt_f64_e32 vcc, v[14:15], v[16:17]
                                        ; implicit-def: $vgpr36_vgpr37
	s_and_saveexec_b64 s[28:29], vcc
	s_xor_b64 s[52:53], exec, s[28:29]
	s_cbranch_execnz .LBB54_34
; %bb.31:                               ;   in Loop: Header=BB54_12 Depth=3
	s_andn2_saveexec_b64 s[52:53], s[52:53]
	s_cbranch_execnz .LBB54_37
.LBB54_32:                              ;   in Loop: Header=BB54_12 Depth=3
	s_or_b64 exec, exec, s[52:53]
	v_cmp_class_f64_e64 s[88:89], v[36:37], s78
	s_and_saveexec_b64 s[90:91], s[88:89]
	s_cbranch_execnz .LBB54_38
.LBB54_33:                              ;   in Loop: Header=BB54_12 Depth=3
	s_or_b64 exec, exec, s[90:91]
	s_and_b64 s[28:29], s[88:89], s[34:35]
	s_and_saveexec_b64 s[18:19], s[28:29]
	s_cbranch_execz .LBB54_11
	s_branch .LBB54_79
.LBB54_34:                              ;   in Loop: Header=BB54_12 Depth=3
	v_cmp_neq_f64_e32 vcc, 0, v[12:13]
	v_pk_mov_b32 v[36:37], 0, 0
	s_and_saveexec_b64 s[54:55], vcc
	s_cbranch_execz .LBB54_36
; %bb.35:                               ;   in Loop: Header=BB54_12 Depth=3
	v_div_scale_f64 v[36:37], s[28:29], v[16:17], v[16:17], v[14:15]
	v_rcp_f64_e32 v[38:39], v[36:37]
	v_div_scale_f64 v[40:41], vcc, v[14:15], v[16:17], v[14:15]
	v_fma_f64 v[56:57], -v[36:37], v[38:39], 1.0
	v_fmac_f64_e32 v[38:39], v[38:39], v[56:57]
	v_fma_f64 v[56:57], -v[36:37], v[38:39], 1.0
	v_fmac_f64_e32 v[38:39], v[38:39], v[56:57]
	v_mul_f64 v[56:57], v[40:41], v[38:39]
	v_fma_f64 v[36:37], -v[36:37], v[56:57], v[40:41]
	v_div_fmas_f64 v[36:37], v[36:37], v[38:39], v[56:57]
	v_div_fixup_f64 v[14:15], v[36:37], v[16:17], v[14:15]
	v_fma_f64 v[14:15], v[14:15], v[14:15], 1.0
	v_cmp_gt_f64_e32 vcc, s[80:81], v[14:15]
	v_cndmask_b32_e64 v23, 0, 1, vcc
	v_lshlrev_b32_e32 v23, 8, v23
	v_ldexp_f64 v[14:15], v[14:15], v23
	v_rsq_f64_e32 v[36:37], v[14:15]
	v_cndmask_b32_e32 v23, 0, v50, vcc
	v_cmp_class_f64_e32 vcc, v[14:15], v49
	v_mul_f64 v[38:39], v[14:15], v[36:37]
	v_mul_f64 v[36:37], v[36:37], 0.5
	v_fma_f64 v[40:41], -v[36:37], v[38:39], 0.5
	v_fmac_f64_e32 v[38:39], v[38:39], v[40:41]
	v_fma_f64 v[56:57], -v[38:39], v[38:39], v[14:15]
	v_fmac_f64_e32 v[36:37], v[36:37], v[40:41]
	v_fmac_f64_e32 v[38:39], v[56:57], v[36:37]
	v_fma_f64 v[40:41], -v[38:39], v[38:39], v[14:15]
	v_fmac_f64_e32 v[38:39], v[40:41], v[36:37]
	v_ldexp_f64 v[36:37], v[38:39], v23
	v_cndmask_b32_e32 v15, v37, v15, vcc
	v_cndmask_b32_e32 v14, v36, v14, vcc
	v_mul_f64 v[36:37], v[16:17], v[14:15]
.LBB54_36:                              ;   in Loop: Header=BB54_12 Depth=3
	s_or_b64 exec, exec, s[54:55]
                                        ; implicit-def: $vgpr14_vgpr15
                                        ; implicit-def: $vgpr16_vgpr17
	s_andn2_saveexec_b64 s[52:53], s[52:53]
	s_cbranch_execz .LBB54_32
.LBB54_37:                              ;   in Loop: Header=BB54_12 Depth=3
	v_div_scale_f64 v[36:37], s[28:29], v[14:15], v[14:15], v[16:17]
	v_rcp_f64_e32 v[38:39], v[36:37]
	v_div_scale_f64 v[40:41], vcc, v[16:17], v[14:15], v[16:17]
	v_fma_f64 v[56:57], -v[36:37], v[38:39], 1.0
	v_fmac_f64_e32 v[38:39], v[38:39], v[56:57]
	v_fma_f64 v[56:57], -v[36:37], v[38:39], 1.0
	v_fmac_f64_e32 v[38:39], v[38:39], v[56:57]
	v_mul_f64 v[56:57], v[40:41], v[38:39]
	v_fma_f64 v[36:37], -v[36:37], v[56:57], v[40:41]
	v_div_fmas_f64 v[36:37], v[36:37], v[38:39], v[56:57]
	v_div_fixup_f64 v[16:17], v[36:37], v[14:15], v[16:17]
	v_fma_f64 v[16:17], v[16:17], v[16:17], 1.0
	v_cmp_gt_f64_e32 vcc, s[80:81], v[16:17]
	v_cndmask_b32_e64 v23, 0, 1, vcc
	v_lshlrev_b32_e32 v23, 8, v23
	v_ldexp_f64 v[16:17], v[16:17], v23
	v_rsq_f64_e32 v[36:37], v[16:17]
	v_cndmask_b32_e32 v23, 0, v50, vcc
	v_cmp_class_f64_e32 vcc, v[16:17], v49
	v_mul_f64 v[38:39], v[16:17], v[36:37]
	v_mul_f64 v[36:37], v[36:37], 0.5
	v_fma_f64 v[40:41], -v[36:37], v[38:39], 0.5
	v_fmac_f64_e32 v[38:39], v[38:39], v[40:41]
	v_fma_f64 v[56:57], -v[38:39], v[38:39], v[16:17]
	v_fmac_f64_e32 v[36:37], v[36:37], v[40:41]
	v_fmac_f64_e32 v[38:39], v[56:57], v[36:37]
	v_fma_f64 v[40:41], -v[38:39], v[38:39], v[16:17]
	v_fmac_f64_e32 v[38:39], v[40:41], v[36:37]
	v_ldexp_f64 v[36:37], v[38:39], v23
	v_cndmask_b32_e32 v17, v37, v17, vcc
	v_cndmask_b32_e32 v16, v36, v16, vcc
	v_mul_f64 v[36:37], v[14:15], v[16:17]
	s_or_b64 exec, exec, s[52:53]
	v_cmp_class_f64_e64 s[88:89], v[36:37], s78
	s_and_saveexec_b64 s[90:91], s[88:89]
	s_cbranch_execz .LBB54_33
.LBB54_38:                              ;   in Loop: Header=BB54_12 Depth=3
	s_and_saveexec_b64 s[28:29], s[18:19]
	s_xor_b64 s[18:19], exec, s[28:29]
	s_cbranch_execz .LBB54_63
; %bb.39:                               ;   in Loop: Header=BB54_12 Depth=3
	v_cmp_ge_i32_e32 vcc, v20, v26
	s_and_saveexec_b64 s[28:29], vcc
	s_xor_b64 s[92:93], exec, s[28:29]
	s_cbranch_execz .LBB54_47
; %bb.40:                               ;   in Loop: Header=BB54_12 Depth=3
	v_lshlrev_b64 v[14:15], 4, v[26:27]
	v_mov_b32_e32 v17, s59
	v_add_co_u32_e32 v16, vcc, s58, v14
	v_addc_co_u32_e32 v17, vcc, v17, v15, vcc
	s_andn2_b64 vcc, exec, s[60:61]
	global_store_dwordx4 v[16:17], v[10:13], off
	s_cbranch_vccnz .LBB54_46
; %bb.41:                               ;   in Loop: Header=BB54_12 Depth=3
	v_mov_b32_e32 v16, s57
	v_add_co_u32_e32 v14, vcc, s56, v14
	v_addc_co_u32_e32 v15, vcc, v16, v15, vcc
	global_load_dwordx4 v[14:17], v[14:15], off
	s_waitcnt vmcnt(0)
	v_add_f64 v[10:11], v[14:15], -v[10:11]
	v_add_f64 v[16:17], v[16:17], -v[12:13]
	v_xor_b32_e32 v12, 0x80000000, v11
	v_cmp_gt_f64_e32 vcc, 0, v[10:11]
	v_xor_b32_e32 v13, 0x80000000, v17
	v_cndmask_b32_e32 v11, v11, v12, vcc
	v_cndmask_b32_e32 v10, v10, v10, vcc
	v_cmp_gt_f64_e32 vcc, 0, v[16:17]
	v_cndmask_b32_e32 v13, v17, v13, vcc
	v_cndmask_b32_e32 v12, v16, v16, vcc
	v_cmp_ngt_f64_e32 vcc, v[10:11], v[12:13]
                                        ; implicit-def: $vgpr14_vgpr15
	s_and_saveexec_b64 s[28:29], vcc
	s_xor_b64 s[66:67], exec, s[28:29]
	s_cbranch_execnz .LBB54_107
; %bb.42:                               ;   in Loop: Header=BB54_12 Depth=3
	s_andn2_saveexec_b64 s[52:53], s[66:67]
	s_cbranch_execnz .LBB54_110
.LBB54_43:                              ;   in Loop: Header=BB54_12 Depth=3
	s_or_b64 exec, exec, s[52:53]
	v_cmp_class_f64_e64 s[52:53], v[14:15], s78
	s_and_saveexec_b64 s[28:29], s[52:53]
.LBB54_44:                              ;   in Loop: Header=BB54_12 Depth=3
	v_cmp_lt_f64_e32 vcc, v[4:5], v[14:15]
	v_cndmask_b32_e32 v5, v5, v15, vcc
	v_cndmask_b32_e32 v4, v4, v14, vcc
.LBB54_45:                              ;   in Loop: Header=BB54_12 Depth=3
	s_or_b64 exec, exec, s[28:29]
.LBB54_46:                              ;   in Loop: Header=BB54_12 Depth=3
                                        ; implicit-def: $vgpr10_vgpr11
.LBB54_47:                              ;   in Loop: Header=BB54_12 Depth=3
	s_andn2_saveexec_b64 s[92:93], s[92:93]
	s_cbranch_execz .LBB54_62
; %bb.48:                               ;   in Loop: Header=BB54_12 Depth=3
	v_cmp_lt_i32_e32 vcc, v34, v55
	s_and_saveexec_b64 s[94:95], vcc
	s_cbranch_execz .LBB54_61
; %bb.49:                               ;   in Loop: Header=BB54_12 Depth=3
	s_mov_b64 s[66:67], 0
	v_mov_b32_e32 v16, v34
                                        ; implicit-def: $sgpr72_sgpr73
                                        ; implicit-def: $sgpr54_sgpr55
                                        ; implicit-def: $sgpr52_sgpr53
	s_branch .LBB54_51
.LBB54_50:                              ;   in Loop: Header=BB54_51 Depth=4
	s_or_b64 exec, exec, s[28:29]
	s_and_b64 s[28:29], exec, s[54:55]
	s_or_b64 s[66:67], s[28:29], s[66:67]
	s_andn2_b64 s[28:29], s[72:73], exec
	s_and_b64 s[72:73], s[52:53], exec
	s_or_b64 s[72:73], s[28:29], s[72:73]
	s_andn2_b64 exec, exec, s[66:67]
	s_cbranch_execz .LBB54_53
.LBB54_51:                              ;   Parent Loop BB54_3 Depth=1
                                        ;     Parent Loop BB54_7 Depth=2
                                        ;       Parent Loop BB54_12 Depth=3
                                        ; =>      This Inner Loop Header: Depth=4
	v_add_u32_e32 v14, v32, v16
	v_ashrrev_i32_e32 v15, 31, v14
	v_lshlrev_b64 v[36:37], 2, v[14:15]
	v_mov_b32_e32 v17, s25
	v_add_co_u32_e32 v36, vcc, s24, v36
	v_addc_co_u32_e32 v37, vcc, v17, v37, vcc
	global_load_dword v17, v[36:37], off
	s_or_b64 s[52:53], s[52:53], exec
	s_or_b64 s[54:55], s[54:55], exec
	s_waitcnt vmcnt(0)
	v_subrev_u32_e32 v17, s70, v17
	v_cmp_ne_u32_e32 vcc, v17, v20
	s_and_saveexec_b64 s[28:29], vcc
	s_cbranch_execz .LBB54_50
; %bb.52:                               ;   in Loop: Header=BB54_51 Depth=4
	v_add_u32_e32 v16, 1, v16
	v_cmp_ge_i32_e32 vcc, v16, v55
	s_andn2_b64 s[54:55], s[54:55], exec
	s_and_b64 vcc, vcc, exec
	s_andn2_b64 s[52:53], s[52:53], exec
	s_or_b64 s[54:55], s[54:55], vcc
	s_branch .LBB54_50
.LBB54_53:                              ;   in Loop: Header=BB54_12 Depth=3
	s_or_b64 exec, exec, s[66:67]
	s_and_saveexec_b64 s[28:29], s[72:73]
	s_xor_b64 s[66:67], exec, s[28:29]
	s_cbranch_execz .LBB54_60
; %bb.54:                               ;   in Loop: Header=BB54_12 Depth=3
	v_lshlrev_b64 v[14:15], 4, v[14:15]
	v_mov_b32_e32 v17, s77
	v_add_co_u32_e32 v16, vcc, s76, v14
	v_addc_co_u32_e32 v17, vcc, v17, v15, vcc
	s_andn2_b64 vcc, exec, s[60:61]
	global_store_dwordx4 v[16:17], v[10:13], off
	s_cbranch_vccnz .LBB54_60
; %bb.55:                               ;   in Loop: Header=BB54_12 Depth=3
	v_mov_b32_e32 v16, s27
	v_add_co_u32_e32 v14, vcc, s26, v14
	v_addc_co_u32_e32 v15, vcc, v16, v15, vcc
	global_load_dwordx4 v[14:17], v[14:15], off
	s_waitcnt vmcnt(0)
	v_add_f64 v[10:11], v[14:15], -v[10:11]
	v_add_f64 v[16:17], v[16:17], -v[12:13]
	v_xor_b32_e32 v12, 0x80000000, v11
	v_cmp_gt_f64_e32 vcc, 0, v[10:11]
	v_xor_b32_e32 v13, 0x80000000, v17
	v_cndmask_b32_e32 v11, v11, v12, vcc
	v_cndmask_b32_e32 v10, v10, v10, vcc
	v_cmp_gt_f64_e32 vcc, 0, v[16:17]
	v_cndmask_b32_e32 v13, v17, v13, vcc
	v_cndmask_b32_e32 v12, v16, v16, vcc
	v_cmp_ngt_f64_e32 vcc, v[10:11], v[12:13]
                                        ; implicit-def: $vgpr14_vgpr15
	s_and_saveexec_b64 s[28:29], vcc
	s_xor_b64 s[72:73], exec, s[28:29]
	s_cbranch_execnz .LBB54_115
; %bb.56:                               ;   in Loop: Header=BB54_12 Depth=3
	s_andn2_saveexec_b64 s[52:53], s[72:73]
	s_cbranch_execnz .LBB54_118
.LBB54_57:                              ;   in Loop: Header=BB54_12 Depth=3
	s_or_b64 exec, exec, s[52:53]
	v_cmp_class_f64_e64 s[52:53], v[14:15], s78
	s_and_saveexec_b64 s[28:29], s[52:53]
.LBB54_58:                              ;   in Loop: Header=BB54_12 Depth=3
	v_cmp_lt_f64_e32 vcc, v[4:5], v[14:15]
	v_cndmask_b32_e32 v5, v5, v15, vcc
	v_cndmask_b32_e32 v4, v4, v14, vcc
.LBB54_59:                              ;   in Loop: Header=BB54_12 Depth=3
	s_or_b64 exec, exec, s[28:29]
.LBB54_60:                              ;   in Loop: Header=BB54_12 Depth=3
	s_or_b64 exec, exec, s[66:67]
.LBB54_61:                              ;   in Loop: Header=BB54_12 Depth=3
	s_or_b64 exec, exec, s[94:95]
.LBB54_62:                              ;   in Loop: Header=BB54_12 Depth=3
	s_or_b64 exec, exec, s[92:93]
                                        ; implicit-def: $vgpr10_vgpr11
.LBB54_63:                              ;   in Loop: Header=BB54_12 Depth=3
	s_andn2_saveexec_b64 s[18:19], s[18:19]
	s_cbranch_execz .LBB54_78
; %bb.64:                               ;   in Loop: Header=BB54_12 Depth=3
	v_cmp_lt_i32_e32 vcc, v18, v51
	s_and_saveexec_b64 s[92:93], vcc
	s_cbranch_execz .LBB54_77
; %bb.65:                               ;   in Loop: Header=BB54_12 Depth=3
	s_mov_b64 s[66:67], 0
	v_mov_b32_e32 v16, v18
                                        ; implicit-def: $sgpr72_sgpr73
                                        ; implicit-def: $sgpr54_sgpr55
                                        ; implicit-def: $sgpr52_sgpr53
	s_branch .LBB54_67
.LBB54_66:                              ;   in Loop: Header=BB54_67 Depth=4
	s_or_b64 exec, exec, s[94:95]
	s_and_b64 s[28:29], exec, s[54:55]
	s_or_b64 s[66:67], s[28:29], s[66:67]
	s_andn2_b64 s[28:29], s[72:73], exec
	s_and_b64 s[72:73], s[52:53], exec
	s_or_b64 s[72:73], s[28:29], s[72:73]
	s_andn2_b64 exec, exec, s[66:67]
	s_cbranch_execz .LBB54_69
.LBB54_67:                              ;   Parent Loop BB54_3 Depth=1
                                        ;     Parent Loop BB54_7 Depth=2
                                        ;       Parent Loop BB54_12 Depth=3
                                        ; =>      This Inner Loop Header: Depth=4
	v_add_u32_e32 v14, v24, v16
	v_ashrrev_i32_e32 v15, 31, v14
	v_lshlrev_b64 v[36:37], 2, v[14:15]
	v_mov_b32_e32 v17, s41
	v_add_co_u32_e32 v36, vcc, s40, v36
	v_addc_co_u32_e32 v37, vcc, v17, v37, vcc
	global_load_dword v17, v[36:37], off
	s_or_b64 s[52:53], s[52:53], exec
	s_or_b64 s[54:55], s[54:55], exec
	s_waitcnt vmcnt(0)
	v_subrev_u32_e32 v17, s64, v17
	v_cmp_ne_u32_e32 vcc, v17, v26
	s_and_saveexec_b64 s[94:95], vcc
	s_cbranch_execz .LBB54_66
; %bb.68:                               ;   in Loop: Header=BB54_67 Depth=4
	v_add_u32_e32 v16, 1, v16
	v_cmp_ge_i32_e32 vcc, v16, v51
	s_andn2_b64 s[28:29], s[54:55], exec
	s_and_b64 s[54:55], vcc, exec
	s_andn2_b64 s[52:53], s[52:53], exec
	s_or_b64 s[54:55], s[28:29], s[54:55]
	s_branch .LBB54_66
.LBB54_69:                              ;   in Loop: Header=BB54_12 Depth=3
	s_or_b64 exec, exec, s[66:67]
	s_and_saveexec_b64 s[28:29], s[72:73]
	s_xor_b64 s[66:67], exec, s[28:29]
	s_cbranch_execz .LBB54_76
; %bb.70:                               ;   in Loop: Header=BB54_12 Depth=3
	v_lshlrev_b64 v[14:15], 4, v[14:15]
	v_mov_b32_e32 v17, s75
	v_add_co_u32_e32 v16, vcc, s74, v14
	v_addc_co_u32_e32 v17, vcc, v17, v15, vcc
	s_andn2_b64 vcc, exec, s[60:61]
	global_store_dwordx4 v[16:17], v[10:13], off
	s_cbranch_vccnz .LBB54_76
; %bb.71:                               ;   in Loop: Header=BB54_12 Depth=3
	v_mov_b32_e32 v16, s43
	v_add_co_u32_e32 v14, vcc, s42, v14
	v_addc_co_u32_e32 v15, vcc, v16, v15, vcc
	global_load_dwordx4 v[14:17], v[14:15], off
	s_waitcnt vmcnt(0)
	v_add_f64 v[10:11], v[14:15], -v[10:11]
	v_add_f64 v[16:17], v[16:17], -v[12:13]
	v_xor_b32_e32 v12, 0x80000000, v11
	v_cmp_gt_f64_e32 vcc, 0, v[10:11]
	v_xor_b32_e32 v13, 0x80000000, v17
	v_cndmask_b32_e32 v11, v11, v12, vcc
	v_cndmask_b32_e32 v10, v10, v10, vcc
	v_cmp_gt_f64_e32 vcc, 0, v[16:17]
	v_cndmask_b32_e32 v13, v17, v13, vcc
	v_cndmask_b32_e32 v12, v16, v16, vcc
	v_cmp_ngt_f64_e32 vcc, v[10:11], v[12:13]
                                        ; implicit-def: $vgpr14_vgpr15
	s_and_saveexec_b64 s[28:29], vcc
	s_xor_b64 s[72:73], exec, s[28:29]
	s_cbranch_execnz .LBB54_111
; %bb.72:                               ;   in Loop: Header=BB54_12 Depth=3
	s_andn2_saveexec_b64 s[52:53], s[72:73]
	s_cbranch_execnz .LBB54_114
.LBB54_73:                              ;   in Loop: Header=BB54_12 Depth=3
	s_or_b64 exec, exec, s[52:53]
	v_cmp_class_f64_e64 s[52:53], v[14:15], s78
	s_and_saveexec_b64 s[28:29], s[52:53]
.LBB54_74:                              ;   in Loop: Header=BB54_12 Depth=3
	v_cmp_lt_f64_e32 vcc, v[4:5], v[14:15]
	v_cndmask_b32_e32 v5, v5, v15, vcc
	v_cndmask_b32_e32 v4, v4, v14, vcc
.LBB54_75:                              ;   in Loop: Header=BB54_12 Depth=3
	s_or_b64 exec, exec, s[28:29]
.LBB54_76:                              ;   in Loop: Header=BB54_12 Depth=3
	s_or_b64 exec, exec, s[66:67]
.LBB54_77:                              ;   in Loop: Header=BB54_12 Depth=3
	s_or_b64 exec, exec, s[92:93]
.LBB54_78:                              ;   in Loop: Header=BB54_12 Depth=3
	s_or_b64 exec, exec, s[18:19]
	s_or_b64 exec, exec, s[90:91]
	s_and_b64 s[28:29], s[88:89], s[34:35]
	s_and_saveexec_b64 s[18:19], s[28:29]
	s_cbranch_execz .LBB54_11
.LBB54_79:                              ;   in Loop: Header=BB54_12 Depth=3
	v_cmp_ge_i32_e32 vcc, v34, v55
	s_and_saveexec_b64 s[28:29], vcc
	s_xor_b64 s[66:67], exec, s[28:29]
	s_cbranch_execnz .LBB54_86
; %bb.80:                               ;   in Loop: Header=BB54_12 Depth=3
	s_andn2_saveexec_b64 s[66:67], s[66:67]
	s_cbranch_execnz .LBB54_100
.LBB54_81:                              ;   in Loop: Header=BB54_12 Depth=3
	s_or_b64 exec, exec, s[66:67]
	v_cmp_eq_u32_e32 vcc, v20, v26
	s_and_saveexec_b64 s[52:53], vcc
	s_cbranch_execz .LBB54_83
.LBB54_82:                              ;   in Loop: Header=BB54_12 Depth=3
	v_lshlrev_b64 v[10:11], 4, v[26:27]
	v_mov_b32_e32 v12, s57
	v_add_co_u32_e32 v10, vcc, s56, v10
	v_addc_co_u32_e32 v11, vcc, v12, v11, vcc
	global_load_dwordx4 v[10:13], v[10:11], off
	s_waitcnt vmcnt(0)
	v_add_f64 v[28:29], v[28:29], v[10:11]
	v_add_f64 v[30:31], v[30:31], v[12:13]
.LBB54_83:                              ;   in Loop: Header=BB54_12 Depth=3
	s_or_b64 exec, exec, s[52:53]
	v_add_f64 v[6:7], v[6:7], -v[28:29]
	v_add_f64 v[12:13], v[8:9], -v[30:31]
	v_xor_b32_e32 v8, 0x80000000, v7
	v_cmp_gt_f64_e32 vcc, 0, v[6:7]
	v_cndmask_b32_e32 v7, v7, v8, vcc
	v_cndmask_b32_e32 v6, v6, v6, vcc
	v_xor_b32_e32 v8, 0x80000000, v13
	v_cmp_gt_f64_e32 vcc, 0, v[12:13]
	v_cndmask_b32_e32 v9, v13, v8, vcc
	v_cndmask_b32_e32 v8, v12, v12, vcc
	v_cmp_ngt_f64_e32 vcc, v[6:7], v[8:9]
                                        ; implicit-def: $vgpr10_vgpr11
	s_and_saveexec_b64 s[28:29], vcc
	s_xor_b64 s[52:53], exec, s[28:29]
	s_cbranch_execnz .LBB54_91
; %bb.84:                               ;   in Loop: Header=BB54_12 Depth=3
	s_andn2_saveexec_b64 s[52:53], s[52:53]
	s_cbranch_execnz .LBB54_94
.LBB54_85:                              ;   in Loop: Header=BB54_12 Depth=3
	s_or_b64 exec, exec, s[52:53]
	v_cmp_class_f64_e64 s[52:53], v[10:11], s78
	s_and_saveexec_b64 s[28:29], s[52:53]
	s_cbranch_execz .LBB54_10
	s_branch .LBB54_95
.LBB54_86:                              ;   in Loop: Header=BB54_12 Depth=3
	v_cmp_lt_i32_e32 vcc, v18, v51
	s_and_saveexec_b64 s[88:89], vcc
	s_cbranch_execz .LBB54_99
; %bb.87:                               ;   in Loop: Header=BB54_12 Depth=3
	s_mov_b64 s[92:93], 0
                                        ; implicit-def: $sgpr90_sgpr91
                                        ; implicit-def: $sgpr94_sgpr95
                                        ; implicit-def: $sgpr72_sgpr73
	s_branch .LBB54_89
.LBB54_88:                              ;   in Loop: Header=BB54_89 Depth=4
	s_or_b64 exec, exec, s[52:53]
	s_and_b64 s[28:29], exec, s[94:95]
	s_or_b64 s[92:93], s[28:29], s[92:93]
	s_andn2_b64 s[28:29], s[90:91], exec
	s_and_b64 s[52:53], s[72:73], exec
	s_or_b64 s[90:91], s[28:29], s[52:53]
	s_andn2_b64 exec, exec, s[92:93]
	s_cbranch_execz .LBB54_96
.LBB54_89:                              ;   Parent Loop BB54_3 Depth=1
                                        ;     Parent Loop BB54_7 Depth=2
                                        ;       Parent Loop BB54_12 Depth=3
                                        ; =>      This Inner Loop Header: Depth=4
	v_add_u32_e32 v10, v24, v18
	v_ashrrev_i32_e32 v11, 31, v10
	v_lshlrev_b64 v[12:13], 2, v[10:11]
	v_mov_b32_e32 v14, s41
	v_add_co_u32_e32 v12, vcc, s40, v12
	v_addc_co_u32_e32 v13, vcc, v14, v13, vcc
	global_load_dword v12, v[12:13], off
	s_or_b64 s[72:73], s[72:73], exec
	s_or_b64 s[94:95], s[94:95], exec
	s_waitcnt vmcnt(0)
	v_subrev_u32_e32 v12, s64, v12
	v_cmp_ne_u32_e32 vcc, v12, v26
	s_and_saveexec_b64 s[52:53], vcc
	s_cbranch_execz .LBB54_88
; %bb.90:                               ;   in Loop: Header=BB54_89 Depth=4
	v_add_u32_e32 v18, 1, v18
	v_cmp_ge_i32_e32 vcc, v18, v51
	s_andn2_b64 s[28:29], s[94:95], exec
	s_and_b64 s[54:55], vcc, exec
	s_andn2_b64 s[72:73], s[72:73], exec
	s_or_b64 s[94:95], s[28:29], s[54:55]
	s_branch .LBB54_88
.LBB54_91:                              ;   in Loop: Header=BB54_12 Depth=3
	v_cmp_neq_f64_e32 vcc, 0, v[12:13]
	v_pk_mov_b32 v[10:11], 0, 0
	s_and_saveexec_b64 s[54:55], vcc
	s_cbranch_execz .LBB54_93
; %bb.92:                               ;   in Loop: Header=BB54_12 Depth=3
	v_div_scale_f64 v[10:11], s[28:29], v[8:9], v[8:9], v[6:7]
	v_rcp_f64_e32 v[12:13], v[10:11]
	v_div_scale_f64 v[14:15], vcc, v[6:7], v[8:9], v[6:7]
	v_fma_f64 v[16:17], -v[10:11], v[12:13], 1.0
	v_fmac_f64_e32 v[12:13], v[12:13], v[16:17]
	v_fma_f64 v[16:17], -v[10:11], v[12:13], 1.0
	v_fmac_f64_e32 v[12:13], v[12:13], v[16:17]
	v_mul_f64 v[16:17], v[14:15], v[12:13]
	v_fma_f64 v[10:11], -v[10:11], v[16:17], v[14:15]
	v_div_fmas_f64 v[10:11], v[10:11], v[12:13], v[16:17]
	v_div_fixup_f64 v[6:7], v[10:11], v[8:9], v[6:7]
	v_fma_f64 v[6:7], v[6:7], v[6:7], 1.0
	v_cmp_gt_f64_e32 vcc, s[80:81], v[6:7]
	v_cndmask_b32_e64 v10, 0, 1, vcc
	v_lshlrev_b32_e32 v10, 8, v10
	v_ldexp_f64 v[6:7], v[6:7], v10
	v_rsq_f64_e32 v[10:11], v[6:7]
	v_mul_f64 v[12:13], v[6:7], v[10:11]
	v_mul_f64 v[10:11], v[10:11], 0.5
	v_fma_f64 v[14:15], -v[10:11], v[12:13], 0.5
	v_fmac_f64_e32 v[12:13], v[12:13], v[14:15]
	v_fma_f64 v[16:17], -v[12:13], v[12:13], v[6:7]
	v_fmac_f64_e32 v[10:11], v[10:11], v[14:15]
	v_fmac_f64_e32 v[12:13], v[16:17], v[10:11]
	v_fma_f64 v[14:15], -v[12:13], v[12:13], v[6:7]
	v_fmac_f64_e32 v[12:13], v[14:15], v[10:11]
	v_cndmask_b32_e32 v10, 0, v50, vcc
	v_ldexp_f64 v[10:11], v[12:13], v10
	v_cmp_class_f64_e32 vcc, v[6:7], v49
	v_cndmask_b32_e32 v7, v11, v7, vcc
	v_cndmask_b32_e32 v6, v10, v6, vcc
	v_mul_f64 v[10:11], v[8:9], v[6:7]
.LBB54_93:                              ;   in Loop: Header=BB54_12 Depth=3
	s_or_b64 exec, exec, s[54:55]
                                        ; implicit-def: $vgpr6_vgpr7
                                        ; implicit-def: $vgpr8_vgpr9
	s_andn2_saveexec_b64 s[52:53], s[52:53]
	s_cbranch_execz .LBB54_85
.LBB54_94:                              ;   in Loop: Header=BB54_12 Depth=3
	v_div_scale_f64 v[10:11], s[28:29], v[6:7], v[6:7], v[8:9]
	v_rcp_f64_e32 v[12:13], v[10:11]
	v_div_scale_f64 v[14:15], vcc, v[8:9], v[6:7], v[8:9]
	v_fma_f64 v[16:17], -v[10:11], v[12:13], 1.0
	v_fmac_f64_e32 v[12:13], v[12:13], v[16:17]
	v_fma_f64 v[16:17], -v[10:11], v[12:13], 1.0
	v_fmac_f64_e32 v[12:13], v[12:13], v[16:17]
	v_mul_f64 v[16:17], v[14:15], v[12:13]
	v_fma_f64 v[10:11], -v[10:11], v[16:17], v[14:15]
	v_div_fmas_f64 v[10:11], v[10:11], v[12:13], v[16:17]
	v_div_fixup_f64 v[8:9], v[10:11], v[6:7], v[8:9]
	v_fma_f64 v[8:9], v[8:9], v[8:9], 1.0
	v_cmp_gt_f64_e32 vcc, s[80:81], v[8:9]
	v_cndmask_b32_e64 v10, 0, 1, vcc
	v_lshlrev_b32_e32 v10, 8, v10
	v_ldexp_f64 v[8:9], v[8:9], v10
	v_rsq_f64_e32 v[10:11], v[8:9]
	v_mul_f64 v[12:13], v[8:9], v[10:11]
	v_mul_f64 v[10:11], v[10:11], 0.5
	v_fma_f64 v[14:15], -v[10:11], v[12:13], 0.5
	v_fmac_f64_e32 v[12:13], v[12:13], v[14:15]
	v_fma_f64 v[16:17], -v[12:13], v[12:13], v[8:9]
	v_fmac_f64_e32 v[10:11], v[10:11], v[14:15]
	v_fmac_f64_e32 v[12:13], v[16:17], v[10:11]
	v_fma_f64 v[14:15], -v[12:13], v[12:13], v[8:9]
	v_fmac_f64_e32 v[12:13], v[14:15], v[10:11]
	v_cndmask_b32_e32 v10, 0, v50, vcc
	v_ldexp_f64 v[10:11], v[12:13], v10
	v_cmp_class_f64_e32 vcc, v[8:9], v49
	v_cndmask_b32_e32 v9, v11, v9, vcc
	v_cndmask_b32_e32 v8, v10, v8, vcc
	v_mul_f64 v[10:11], v[6:7], v[8:9]
	s_or_b64 exec, exec, s[52:53]
	v_cmp_class_f64_e64 s[52:53], v[10:11], s78
	s_and_saveexec_b64 s[28:29], s[52:53]
	s_cbranch_execz .LBB54_10
.LBB54_95:                              ;   in Loop: Header=BB54_12 Depth=3
	v_cmp_lt_f64_e32 vcc, v[2:3], v[10:11]
	v_cndmask_b32_e32 v3, v3, v11, vcc
	v_cndmask_b32_e32 v2, v2, v10, vcc
	s_branch .LBB54_10
.LBB54_96:                              ;   in Loop: Header=BB54_12 Depth=3
	s_or_b64 exec, exec, s[92:93]
	s_and_saveexec_b64 s[28:29], s[90:91]
	s_xor_b64 s[52:53], exec, s[28:29]
	s_cbranch_execz .LBB54_98
; %bb.97:                               ;   in Loop: Header=BB54_12 Depth=3
	v_lshlrev_b64 v[10:11], 4, v[10:11]
	v_mov_b32_e32 v12, s43
	v_add_co_u32_e32 v14, vcc, s42, v10
	v_addc_co_u32_e32 v15, vcc, v12, v11, vcc
	v_lshlrev_b64 v[10:11], 4, v[26:27]
	v_mov_b32_e32 v12, s57
	v_add_co_u32_e32 v10, vcc, s56, v10
	v_addc_co_u32_e32 v11, vcc, v12, v11, vcc
	global_load_dwordx4 v[10:13], v[10:11], off
	s_nop 0
	global_load_dwordx4 v[14:17], v[14:15], off
	s_waitcnt vmcnt(0)
	v_mul_f64 v[32:33], v[12:13], -v[16:17]
	v_mul_f64 v[12:13], v[12:13], v[14:15]
	v_fmac_f64_e32 v[32:33], v[14:15], v[10:11]
	v_fmac_f64_e32 v[12:13], v[16:17], v[10:11]
	v_add_f64 v[28:29], v[28:29], v[32:33]
	v_add_f64 v[30:31], v[30:31], v[12:13]
.LBB54_98:                              ;   in Loop: Header=BB54_12 Depth=3
	s_or_b64 exec, exec, s[52:53]
.LBB54_99:                              ;   in Loop: Header=BB54_12 Depth=3
	s_or_b64 exec, exec, s[88:89]
                                        ; implicit-def: $vgpr34
                                        ; implicit-def: $vgpr32
                                        ; implicit-def: $vgpr55
	s_andn2_saveexec_b64 s[66:67], s[66:67]
	s_cbranch_execz .LBB54_81
.LBB54_100:                             ;   in Loop: Header=BB54_12 Depth=3
	s_mov_b64 s[90:91], 0
                                        ; implicit-def: $sgpr88_sgpr89
                                        ; implicit-def: $sgpr92_sgpr93
                                        ; implicit-def: $sgpr72_sgpr73
	s_branch .LBB54_102
.LBB54_101:                             ;   in Loop: Header=BB54_102 Depth=4
	s_or_b64 exec, exec, s[52:53]
	s_and_b64 s[28:29], exec, s[92:93]
	s_or_b64 s[90:91], s[28:29], s[90:91]
	s_andn2_b64 s[28:29], s[88:89], exec
	s_and_b64 s[52:53], s[72:73], exec
	s_or_b64 s[88:89], s[28:29], s[52:53]
	s_andn2_b64 exec, exec, s[90:91]
	s_cbranch_execz .LBB54_104
.LBB54_102:                             ;   Parent Loop BB54_3 Depth=1
                                        ;     Parent Loop BB54_7 Depth=2
                                        ;       Parent Loop BB54_12 Depth=3
                                        ; =>      This Inner Loop Header: Depth=4
	v_add_u32_e32 v10, v32, v34
	v_ashrrev_i32_e32 v11, 31, v10
	v_lshlrev_b64 v[12:13], 2, v[10:11]
	v_mov_b32_e32 v14, s25
	v_add_co_u32_e32 v12, vcc, s24, v12
	v_addc_co_u32_e32 v13, vcc, v14, v13, vcc
	global_load_dword v12, v[12:13], off
	s_or_b64 s[72:73], s[72:73], exec
	s_or_b64 s[92:93], s[92:93], exec
	s_waitcnt vmcnt(0)
	v_subrev_u32_e32 v12, s70, v12
	v_cmp_ne_u32_e32 vcc, v12, v20
	s_and_saveexec_b64 s[52:53], vcc
	s_cbranch_execz .LBB54_101
; %bb.103:                              ;   in Loop: Header=BB54_102 Depth=4
	v_add_u32_e32 v34, 1, v34
	v_cmp_ge_i32_e32 vcc, v34, v55
	s_andn2_b64 s[28:29], s[92:93], exec
	s_and_b64 s[54:55], vcc, exec
	s_andn2_b64 s[72:73], s[72:73], exec
	s_or_b64 s[92:93], s[28:29], s[54:55]
	s_branch .LBB54_101
.LBB54_104:                             ;   in Loop: Header=BB54_12 Depth=3
	s_or_b64 exec, exec, s[90:91]
	s_and_saveexec_b64 s[28:29], s[88:89]
	s_xor_b64 s[52:53], exec, s[28:29]
	s_cbranch_execz .LBB54_106
; %bb.105:                              ;   in Loop: Header=BB54_12 Depth=3
	v_lshlrev_b64 v[10:11], 4, v[10:11]
	v_mov_b32_e32 v12, s27
	v_add_co_u32_e32 v10, vcc, s26, v10
	v_addc_co_u32_e32 v11, vcc, v12, v11, vcc
	global_load_dwordx4 v[10:13], v[10:11], off
	s_waitcnt vmcnt(0)
	v_add_f64 v[28:29], v[28:29], v[10:11]
	v_add_f64 v[30:31], v[30:31], v[12:13]
.LBB54_106:                             ;   in Loop: Header=BB54_12 Depth=3
	s_or_b64 exec, exec, s[52:53]
	s_or_b64 exec, exec, s[66:67]
	v_cmp_eq_u32_e32 vcc, v20, v26
	s_and_saveexec_b64 s[52:53], vcc
	s_cbranch_execnz .LBB54_82
	s_branch .LBB54_83
.LBB54_107:                             ;   in Loop: Header=BB54_12 Depth=3
	v_cmp_neq_f64_e32 vcc, 0, v[16:17]
	v_pk_mov_b32 v[14:15], 0, 0
	s_and_saveexec_b64 s[52:53], vcc
	s_cbranch_execz .LBB54_109
; %bb.108:                              ;   in Loop: Header=BB54_12 Depth=3
	v_div_scale_f64 v[14:15], s[28:29], v[12:13], v[12:13], v[10:11]
	v_rcp_f64_e32 v[16:17], v[14:15]
	v_div_scale_f64 v[36:37], vcc, v[10:11], v[12:13], v[10:11]
	v_fma_f64 v[38:39], -v[14:15], v[16:17], 1.0
	v_fmac_f64_e32 v[16:17], v[16:17], v[38:39]
	v_fma_f64 v[38:39], -v[14:15], v[16:17], 1.0
	v_fmac_f64_e32 v[16:17], v[16:17], v[38:39]
	v_mul_f64 v[38:39], v[36:37], v[16:17]
	v_fma_f64 v[14:15], -v[14:15], v[38:39], v[36:37]
	v_div_fmas_f64 v[14:15], v[14:15], v[16:17], v[38:39]
	v_div_fixup_f64 v[10:11], v[14:15], v[12:13], v[10:11]
	v_fma_f64 v[10:11], v[10:11], v[10:11], 1.0
	v_cmp_gt_f64_e32 vcc, s[80:81], v[10:11]
	v_cndmask_b32_e64 v14, 0, 1, vcc
	v_lshlrev_b32_e32 v14, 8, v14
	v_ldexp_f64 v[10:11], v[10:11], v14
	v_rsq_f64_e32 v[14:15], v[10:11]
	v_mul_f64 v[16:17], v[10:11], v[14:15]
	v_mul_f64 v[14:15], v[14:15], 0.5
	v_fma_f64 v[36:37], -v[14:15], v[16:17], 0.5
	v_fmac_f64_e32 v[16:17], v[16:17], v[36:37]
	v_fmac_f64_e32 v[14:15], v[14:15], v[36:37]
	v_fma_f64 v[36:37], -v[16:17], v[16:17], v[10:11]
	v_fmac_f64_e32 v[16:17], v[36:37], v[14:15]
	v_fma_f64 v[36:37], -v[16:17], v[16:17], v[10:11]
	v_fmac_f64_e32 v[16:17], v[36:37], v[14:15]
	v_cndmask_b32_e32 v14, 0, v50, vcc
	v_ldexp_f64 v[14:15], v[16:17], v14
	v_cmp_class_f64_e32 vcc, v[10:11], v49
	v_cndmask_b32_e32 v11, v15, v11, vcc
	v_cndmask_b32_e32 v10, v14, v10, vcc
	v_mul_f64 v[14:15], v[12:13], v[10:11]
.LBB54_109:                             ;   in Loop: Header=BB54_12 Depth=3
	s_or_b64 exec, exec, s[52:53]
                                        ; implicit-def: $vgpr10_vgpr11
                                        ; implicit-def: $vgpr12_vgpr13
	s_andn2_saveexec_b64 s[52:53], s[66:67]
	s_cbranch_execz .LBB54_43
.LBB54_110:                             ;   in Loop: Header=BB54_12 Depth=3
	v_div_scale_f64 v[14:15], s[28:29], v[10:11], v[10:11], v[12:13]
	v_rcp_f64_e32 v[16:17], v[14:15]
	v_div_scale_f64 v[36:37], vcc, v[12:13], v[10:11], v[12:13]
	v_fma_f64 v[38:39], -v[14:15], v[16:17], 1.0
	v_fmac_f64_e32 v[16:17], v[16:17], v[38:39]
	v_fma_f64 v[38:39], -v[14:15], v[16:17], 1.0
	v_fmac_f64_e32 v[16:17], v[16:17], v[38:39]
	v_mul_f64 v[38:39], v[36:37], v[16:17]
	v_fma_f64 v[14:15], -v[14:15], v[38:39], v[36:37]
	v_div_fmas_f64 v[14:15], v[14:15], v[16:17], v[38:39]
	v_div_fixup_f64 v[12:13], v[14:15], v[10:11], v[12:13]
	v_fma_f64 v[12:13], v[12:13], v[12:13], 1.0
	v_cmp_gt_f64_e32 vcc, s[80:81], v[12:13]
	v_cndmask_b32_e64 v14, 0, 1, vcc
	v_lshlrev_b32_e32 v14, 8, v14
	v_ldexp_f64 v[12:13], v[12:13], v14
	v_rsq_f64_e32 v[14:15], v[12:13]
	v_mul_f64 v[16:17], v[12:13], v[14:15]
	v_mul_f64 v[14:15], v[14:15], 0.5
	v_fma_f64 v[36:37], -v[14:15], v[16:17], 0.5
	v_fmac_f64_e32 v[16:17], v[16:17], v[36:37]
	v_fmac_f64_e32 v[14:15], v[14:15], v[36:37]
	v_fma_f64 v[36:37], -v[16:17], v[16:17], v[12:13]
	v_fmac_f64_e32 v[16:17], v[36:37], v[14:15]
	v_fma_f64 v[36:37], -v[16:17], v[16:17], v[12:13]
	v_fmac_f64_e32 v[16:17], v[36:37], v[14:15]
	v_cndmask_b32_e32 v14, 0, v50, vcc
	v_ldexp_f64 v[14:15], v[16:17], v14
	v_cmp_class_f64_e32 vcc, v[12:13], v49
	v_cndmask_b32_e32 v13, v15, v13, vcc
	v_cndmask_b32_e32 v12, v14, v12, vcc
	v_mul_f64 v[14:15], v[10:11], v[12:13]
	s_or_b64 exec, exec, s[52:53]
	v_cmp_class_f64_e64 s[52:53], v[14:15], s78
	s_and_saveexec_b64 s[28:29], s[52:53]
	s_cbranch_execnz .LBB54_44
	s_branch .LBB54_45
.LBB54_111:                             ;   in Loop: Header=BB54_12 Depth=3
	v_cmp_neq_f64_e32 vcc, 0, v[16:17]
	v_pk_mov_b32 v[14:15], 0, 0
	s_and_saveexec_b64 s[52:53], vcc
	s_cbranch_execz .LBB54_113
; %bb.112:                              ;   in Loop: Header=BB54_12 Depth=3
	v_div_scale_f64 v[14:15], s[28:29], v[12:13], v[12:13], v[10:11]
	v_rcp_f64_e32 v[16:17], v[14:15]
	v_div_scale_f64 v[36:37], vcc, v[10:11], v[12:13], v[10:11]
	v_fma_f64 v[38:39], -v[14:15], v[16:17], 1.0
	v_fmac_f64_e32 v[16:17], v[16:17], v[38:39]
	v_fma_f64 v[38:39], -v[14:15], v[16:17], 1.0
	v_fmac_f64_e32 v[16:17], v[16:17], v[38:39]
	v_mul_f64 v[38:39], v[36:37], v[16:17]
	v_fma_f64 v[14:15], -v[14:15], v[38:39], v[36:37]
	v_div_fmas_f64 v[14:15], v[14:15], v[16:17], v[38:39]
	v_div_fixup_f64 v[10:11], v[14:15], v[12:13], v[10:11]
	v_fma_f64 v[10:11], v[10:11], v[10:11], 1.0
	v_cmp_gt_f64_e32 vcc, s[80:81], v[10:11]
	v_cndmask_b32_e64 v14, 0, 1, vcc
	v_lshlrev_b32_e32 v14, 8, v14
	v_ldexp_f64 v[10:11], v[10:11], v14
	v_rsq_f64_e32 v[14:15], v[10:11]
	v_mul_f64 v[16:17], v[10:11], v[14:15]
	v_mul_f64 v[14:15], v[14:15], 0.5
	v_fma_f64 v[36:37], -v[14:15], v[16:17], 0.5
	v_fmac_f64_e32 v[16:17], v[16:17], v[36:37]
	v_fmac_f64_e32 v[14:15], v[14:15], v[36:37]
	v_fma_f64 v[36:37], -v[16:17], v[16:17], v[10:11]
	v_fmac_f64_e32 v[16:17], v[36:37], v[14:15]
	v_fma_f64 v[36:37], -v[16:17], v[16:17], v[10:11]
	v_fmac_f64_e32 v[16:17], v[36:37], v[14:15]
	v_cndmask_b32_e32 v14, 0, v50, vcc
	v_ldexp_f64 v[14:15], v[16:17], v14
	v_cmp_class_f64_e32 vcc, v[10:11], v49
	v_cndmask_b32_e32 v11, v15, v11, vcc
	v_cndmask_b32_e32 v10, v14, v10, vcc
	v_mul_f64 v[14:15], v[12:13], v[10:11]
.LBB54_113:                             ;   in Loop: Header=BB54_12 Depth=3
	s_or_b64 exec, exec, s[52:53]
                                        ; implicit-def: $vgpr10_vgpr11
                                        ; implicit-def: $vgpr12_vgpr13
	s_andn2_saveexec_b64 s[52:53], s[72:73]
	s_cbranch_execz .LBB54_73
.LBB54_114:                             ;   in Loop: Header=BB54_12 Depth=3
	v_div_scale_f64 v[14:15], s[28:29], v[10:11], v[10:11], v[12:13]
	v_rcp_f64_e32 v[16:17], v[14:15]
	v_div_scale_f64 v[36:37], vcc, v[12:13], v[10:11], v[12:13]
	v_fma_f64 v[38:39], -v[14:15], v[16:17], 1.0
	v_fmac_f64_e32 v[16:17], v[16:17], v[38:39]
	v_fma_f64 v[38:39], -v[14:15], v[16:17], 1.0
	v_fmac_f64_e32 v[16:17], v[16:17], v[38:39]
	v_mul_f64 v[38:39], v[36:37], v[16:17]
	v_fma_f64 v[14:15], -v[14:15], v[38:39], v[36:37]
	v_div_fmas_f64 v[14:15], v[14:15], v[16:17], v[38:39]
	v_div_fixup_f64 v[12:13], v[14:15], v[10:11], v[12:13]
	v_fma_f64 v[12:13], v[12:13], v[12:13], 1.0
	v_cmp_gt_f64_e32 vcc, s[80:81], v[12:13]
	v_cndmask_b32_e64 v14, 0, 1, vcc
	v_lshlrev_b32_e32 v14, 8, v14
	v_ldexp_f64 v[12:13], v[12:13], v14
	v_rsq_f64_e32 v[14:15], v[12:13]
	v_mul_f64 v[16:17], v[12:13], v[14:15]
	v_mul_f64 v[14:15], v[14:15], 0.5
	v_fma_f64 v[36:37], -v[14:15], v[16:17], 0.5
	v_fmac_f64_e32 v[16:17], v[16:17], v[36:37]
	v_fmac_f64_e32 v[14:15], v[14:15], v[36:37]
	v_fma_f64 v[36:37], -v[16:17], v[16:17], v[12:13]
	v_fmac_f64_e32 v[16:17], v[36:37], v[14:15]
	v_fma_f64 v[36:37], -v[16:17], v[16:17], v[12:13]
	v_fmac_f64_e32 v[16:17], v[36:37], v[14:15]
	v_cndmask_b32_e32 v14, 0, v50, vcc
	v_ldexp_f64 v[14:15], v[16:17], v14
	v_cmp_class_f64_e32 vcc, v[12:13], v49
	v_cndmask_b32_e32 v13, v15, v13, vcc
	v_cndmask_b32_e32 v12, v14, v12, vcc
	v_mul_f64 v[14:15], v[10:11], v[12:13]
	s_or_b64 exec, exec, s[52:53]
	v_cmp_class_f64_e64 s[52:53], v[14:15], s78
	s_and_saveexec_b64 s[28:29], s[52:53]
	s_cbranch_execnz .LBB54_74
	s_branch .LBB54_75
.LBB54_115:                             ;   in Loop: Header=BB54_12 Depth=3
	v_cmp_neq_f64_e32 vcc, 0, v[16:17]
	v_pk_mov_b32 v[14:15], 0, 0
	s_and_saveexec_b64 s[52:53], vcc
	s_cbranch_execz .LBB54_117
; %bb.116:                              ;   in Loop: Header=BB54_12 Depth=3
	v_div_scale_f64 v[14:15], s[28:29], v[12:13], v[12:13], v[10:11]
	v_rcp_f64_e32 v[16:17], v[14:15]
	v_div_scale_f64 v[36:37], vcc, v[10:11], v[12:13], v[10:11]
	v_fma_f64 v[38:39], -v[14:15], v[16:17], 1.0
	v_fmac_f64_e32 v[16:17], v[16:17], v[38:39]
	v_fma_f64 v[38:39], -v[14:15], v[16:17], 1.0
	v_fmac_f64_e32 v[16:17], v[16:17], v[38:39]
	v_mul_f64 v[38:39], v[36:37], v[16:17]
	v_fma_f64 v[14:15], -v[14:15], v[38:39], v[36:37]
	v_div_fmas_f64 v[14:15], v[14:15], v[16:17], v[38:39]
	v_div_fixup_f64 v[10:11], v[14:15], v[12:13], v[10:11]
	v_fma_f64 v[10:11], v[10:11], v[10:11], 1.0
	v_cmp_gt_f64_e32 vcc, s[80:81], v[10:11]
	v_cndmask_b32_e64 v14, 0, 1, vcc
	v_lshlrev_b32_e32 v14, 8, v14
	v_ldexp_f64 v[10:11], v[10:11], v14
	v_rsq_f64_e32 v[14:15], v[10:11]
	v_mul_f64 v[16:17], v[10:11], v[14:15]
	v_mul_f64 v[14:15], v[14:15], 0.5
	v_fma_f64 v[36:37], -v[14:15], v[16:17], 0.5
	v_fmac_f64_e32 v[16:17], v[16:17], v[36:37]
	v_fmac_f64_e32 v[14:15], v[14:15], v[36:37]
	v_fma_f64 v[36:37], -v[16:17], v[16:17], v[10:11]
	v_fmac_f64_e32 v[16:17], v[36:37], v[14:15]
	v_fma_f64 v[36:37], -v[16:17], v[16:17], v[10:11]
	v_fmac_f64_e32 v[16:17], v[36:37], v[14:15]
	v_cndmask_b32_e32 v14, 0, v50, vcc
	v_ldexp_f64 v[14:15], v[16:17], v14
	v_cmp_class_f64_e32 vcc, v[10:11], v49
	v_cndmask_b32_e32 v11, v15, v11, vcc
	v_cndmask_b32_e32 v10, v14, v10, vcc
	v_mul_f64 v[14:15], v[12:13], v[10:11]
.LBB54_117:                             ;   in Loop: Header=BB54_12 Depth=3
	s_or_b64 exec, exec, s[52:53]
                                        ; implicit-def: $vgpr10_vgpr11
                                        ; implicit-def: $vgpr12_vgpr13
	s_andn2_saveexec_b64 s[52:53], s[72:73]
	s_cbranch_execz .LBB54_57
.LBB54_118:                             ;   in Loop: Header=BB54_12 Depth=3
	v_div_scale_f64 v[14:15], s[28:29], v[10:11], v[10:11], v[12:13]
	v_rcp_f64_e32 v[16:17], v[14:15]
	v_div_scale_f64 v[36:37], vcc, v[12:13], v[10:11], v[12:13]
	v_fma_f64 v[38:39], -v[14:15], v[16:17], 1.0
	v_fmac_f64_e32 v[16:17], v[16:17], v[38:39]
	v_fma_f64 v[38:39], -v[14:15], v[16:17], 1.0
	v_fmac_f64_e32 v[16:17], v[16:17], v[38:39]
	v_mul_f64 v[38:39], v[36:37], v[16:17]
	v_fma_f64 v[14:15], -v[14:15], v[38:39], v[36:37]
	v_div_fmas_f64 v[14:15], v[14:15], v[16:17], v[38:39]
	v_div_fixup_f64 v[12:13], v[14:15], v[10:11], v[12:13]
	v_fma_f64 v[12:13], v[12:13], v[12:13], 1.0
	v_cmp_gt_f64_e32 vcc, s[80:81], v[12:13]
	v_cndmask_b32_e64 v14, 0, 1, vcc
	v_lshlrev_b32_e32 v14, 8, v14
	v_ldexp_f64 v[12:13], v[12:13], v14
	v_rsq_f64_e32 v[14:15], v[12:13]
	v_mul_f64 v[16:17], v[12:13], v[14:15]
	v_mul_f64 v[14:15], v[14:15], 0.5
	v_fma_f64 v[36:37], -v[14:15], v[16:17], 0.5
	v_fmac_f64_e32 v[16:17], v[16:17], v[36:37]
	v_fmac_f64_e32 v[14:15], v[14:15], v[36:37]
	v_fma_f64 v[36:37], -v[16:17], v[16:17], v[12:13]
	v_fmac_f64_e32 v[16:17], v[36:37], v[14:15]
	v_fma_f64 v[36:37], -v[16:17], v[16:17], v[12:13]
	v_fmac_f64_e32 v[16:17], v[36:37], v[14:15]
	v_cndmask_b32_e32 v14, 0, v50, vcc
	v_ldexp_f64 v[14:15], v[16:17], v14
	v_cmp_class_f64_e32 vcc, v[12:13], v49
	v_cndmask_b32_e32 v13, v15, v13, vcc
	v_cndmask_b32_e32 v12, v14, v12, vcc
	v_mul_f64 v[14:15], v[10:11], v[12:13]
	s_or_b64 exec, exec, s[52:53]
	v_cmp_class_f64_e64 s[52:53], v[14:15], s78
	s_and_saveexec_b64 s[28:29], s[52:53]
	s_cbranch_execnz .LBB54_58
	s_branch .LBB54_59
.LBB54_119:                             ;   in Loop: Header=BB54_3 Depth=1
	s_and_b64 vcc, exec, s[60:61]
	s_cbranch_vccnz .LBB54_122
; %bb.120:                              ;   in Loop: Header=BB54_3 Depth=1
	s_andn2_b64 vcc, exec, s[34:35]
	s_cbranch_vccz .LBB54_135
.LBB54_121:                             ;   in Loop: Header=BB54_3 Depth=1
	s_and_saveexec_b64 s[16:17], s[0:1]
	s_cbranch_execnz .LBB54_148
	s_branch .LBB54_159
.LBB54_122:                             ;   in Loop: Header=BB54_3 Depth=1
	v_mov_b32_dpp v6, v4 row_shr:1 row_mask:0xf bank_mask:0xf
	v_mov_b32_dpp v7, v5 row_shr:1 row_mask:0xf bank_mask:0xf
	v_cmp_lt_f64_e32 vcc, v[4:5], v[6:7]
	v_cndmask_b32_e32 v5, v5, v7, vcc
	v_cndmask_b32_e32 v4, v4, v6, vcc
	s_nop 0
	v_mov_b32_dpp v7, v5 row_shr:2 row_mask:0xf bank_mask:0xf
	v_mov_b32_dpp v6, v4 row_shr:2 row_mask:0xf bank_mask:0xf
	v_cmp_lt_f64_e32 vcc, v[4:5], v[6:7]
	v_cndmask_b32_e32 v5, v5, v7, vcc
	v_cndmask_b32_e32 v4, v4, v6, vcc
	s_nop 0
	;; [unrolled: 6-line block ×4, first 2 shown]
	v_mov_b32_dpp v7, v5 row_bcast:15 row_mask:0xa bank_mask:0xf
	v_mov_b32_dpp v6, v4 row_bcast:15 row_mask:0xa bank_mask:0xf
	s_and_saveexec_b64 s[16:17], s[2:3]
	s_cbranch_execz .LBB54_124
; %bb.123:                              ;   in Loop: Header=BB54_3 Depth=1
	v_cmp_lt_f64_e32 vcc, v[4:5], v[6:7]
	v_cndmask_b32_e32 v5, v5, v7, vcc
	v_cndmask_b32_e32 v4, v4, v6, vcc
	ds_write_b64 v46, v[4:5]
.LBB54_124:                             ;   in Loop: Header=BB54_3 Depth=1
	s_or_b64 exec, exec, s[16:17]
	s_waitcnt lgkmcnt(0)
	s_barrier
	s_and_saveexec_b64 s[16:17], s[4:5]
	s_cbranch_execz .LBB54_126
; %bb.125:                              ;   in Loop: Header=BB54_3 Depth=1
	ds_read2_b64 v[4:7], v44 offset1:16
	s_waitcnt lgkmcnt(0)
	v_cmp_lt_f64_e32 vcc, v[4:5], v[6:7]
	v_cndmask_b32_e32 v5, v5, v7, vcc
	v_cndmask_b32_e32 v4, v4, v6, vcc
	ds_write_b64 v44, v[4:5]
.LBB54_126:                             ;   in Loop: Header=BB54_3 Depth=1
	s_or_b64 exec, exec, s[16:17]
	s_waitcnt lgkmcnt(0)
	s_barrier
	s_and_saveexec_b64 s[16:17], s[6:7]
	s_cbranch_execz .LBB54_128
; %bb.127:                              ;   in Loop: Header=BB54_3 Depth=1
	ds_read2_b64 v[4:7], v44 offset1:8
	s_waitcnt lgkmcnt(0)
	v_cmp_lt_f64_e32 vcc, v[4:5], v[6:7]
	v_cndmask_b32_e32 v5, v5, v7, vcc
	v_cndmask_b32_e32 v4, v4, v6, vcc
	ds_write_b64 v44, v[4:5]
.LBB54_128:                             ;   in Loop: Header=BB54_3 Depth=1
	;; [unrolled: 13-line block ×4, first 2 shown]
	s_or_b64 exec, exec, s[16:17]
	s_waitcnt lgkmcnt(0)
	s_barrier
	s_and_saveexec_b64 s[16:17], s[12:13]
	s_cbranch_execz .LBB54_134
; %bb.133:                              ;   in Loop: Header=BB54_3 Depth=1
	ds_read_b128 v[4:7], v19
	s_waitcnt lgkmcnt(0)
	v_cmp_lt_f64_e32 vcc, v[4:5], v[6:7]
	v_cndmask_b32_e32 v5, v5, v7, vcc
	v_cndmask_b32_e32 v4, v4, v6, vcc
	ds_write_b64 v19, v[4:5]
.LBB54_134:                             ;   in Loop: Header=BB54_3 Depth=1
	s_or_b64 exec, exec, s[16:17]
	v_readlane_b32 s16, v62, 10
	v_readlane_b32 s17, v62, 11
	s_waitcnt lgkmcnt(0)
	s_barrier
	ds_read_b64 v[4:5], v19
	s_load_dwordx2 s[16:17], s[16:17], 0x0
	s_waitcnt lgkmcnt(0)
	v_div_scale_f64 v[6:7], s[18:19], s[16:17], s[16:17], v[4:5]
	v_rcp_f64_e32 v[8:9], v[6:7]
	v_div_scale_f64 v[10:11], vcc, v[4:5], s[16:17], v[4:5]
	v_fma_f64 v[12:13], -v[6:7], v[8:9], 1.0
	v_fmac_f64_e32 v[8:9], v[8:9], v[12:13]
	v_fma_f64 v[12:13], -v[6:7], v[8:9], 1.0
	v_fmac_f64_e32 v[8:9], v[8:9], v[12:13]
	v_mul_f64 v[12:13], v[10:11], v[8:9]
	v_fma_f64 v[6:7], -v[6:7], v[12:13], v[10:11]
	v_div_fmas_f64 v[6:7], v[6:7], v[8:9], v[12:13]
	v_div_fixup_f64 v[4:5], v[6:7], s[16:17], v[4:5]
	s_andn2_b64 vcc, exec, s[34:35]
	s_cbranch_vccnz .LBB54_121
.LBB54_135:                             ;   in Loop: Header=BB54_3 Depth=1
	v_mov_b32_dpp v6, v2 row_shr:1 row_mask:0xf bank_mask:0xf
	v_mov_b32_dpp v7, v3 row_shr:1 row_mask:0xf bank_mask:0xf
	v_cmp_lt_f64_e32 vcc, v[2:3], v[6:7]
	v_cndmask_b32_e32 v3, v3, v7, vcc
	v_cndmask_b32_e32 v2, v2, v6, vcc
	s_nop 0
	v_mov_b32_dpp v7, v3 row_shr:2 row_mask:0xf bank_mask:0xf
	v_mov_b32_dpp v6, v2 row_shr:2 row_mask:0xf bank_mask:0xf
	v_cmp_lt_f64_e32 vcc, v[2:3], v[6:7]
	v_cndmask_b32_e32 v3, v3, v7, vcc
	v_cndmask_b32_e32 v2, v2, v6, vcc
	s_nop 0
	;; [unrolled: 6-line block ×4, first 2 shown]
	v_mov_b32_dpp v7, v3 row_bcast:15 row_mask:0xa bank_mask:0xf
	v_mov_b32_dpp v6, v2 row_bcast:15 row_mask:0xa bank_mask:0xf
	s_and_saveexec_b64 s[16:17], s[2:3]
	s_cbranch_execz .LBB54_137
; %bb.136:                              ;   in Loop: Header=BB54_3 Depth=1
	v_cmp_lt_f64_e32 vcc, v[2:3], v[6:7]
	v_cndmask_b32_e32 v3, v3, v7, vcc
	v_cndmask_b32_e32 v2, v2, v6, vcc
	ds_write_b64 v46, v[2:3]
.LBB54_137:                             ;   in Loop: Header=BB54_3 Depth=1
	s_or_b64 exec, exec, s[16:17]
	s_waitcnt lgkmcnt(0)
	s_barrier
	s_and_saveexec_b64 s[16:17], s[4:5]
	s_cbranch_execz .LBB54_139
; %bb.138:                              ;   in Loop: Header=BB54_3 Depth=1
	ds_read2_b64 v[6:9], v44 offset1:16
	s_waitcnt lgkmcnt(0)
	v_cmp_lt_f64_e32 vcc, v[6:7], v[8:9]
	v_cndmask_b32_e32 v3, v7, v9, vcc
	v_cndmask_b32_e32 v2, v6, v8, vcc
	ds_write_b64 v44, v[2:3]
.LBB54_139:                             ;   in Loop: Header=BB54_3 Depth=1
	s_or_b64 exec, exec, s[16:17]
	s_waitcnt lgkmcnt(0)
	s_barrier
	s_and_saveexec_b64 s[16:17], s[6:7]
	s_cbranch_execz .LBB54_141
; %bb.140:                              ;   in Loop: Header=BB54_3 Depth=1
	ds_read2_b64 v[6:9], v44 offset1:8
	s_waitcnt lgkmcnt(0)
	v_cmp_lt_f64_e32 vcc, v[6:7], v[8:9]
	v_cndmask_b32_e32 v3, v7, v9, vcc
	v_cndmask_b32_e32 v2, v6, v8, vcc
	ds_write_b64 v44, v[2:3]
.LBB54_141:                             ;   in Loop: Header=BB54_3 Depth=1
	;; [unrolled: 13-line block ×4, first 2 shown]
	s_or_b64 exec, exec, s[16:17]
	s_waitcnt lgkmcnt(0)
	s_barrier
	s_and_saveexec_b64 s[16:17], s[12:13]
	s_cbranch_execz .LBB54_147
; %bb.146:                              ;   in Loop: Header=BB54_3 Depth=1
	ds_read_b128 v[6:9], v19
	s_waitcnt lgkmcnt(0)
	v_cmp_lt_f64_e32 vcc, v[6:7], v[8:9]
	v_cndmask_b32_e32 v3, v7, v9, vcc
	v_cndmask_b32_e32 v2, v6, v8, vcc
	ds_write_b64 v19, v[2:3]
.LBB54_147:                             ;   in Loop: Header=BB54_3 Depth=1
	s_or_b64 exec, exec, s[16:17]
	v_readlane_b32 s16, v62, 10
	v_readlane_b32 s17, v62, 11
	s_waitcnt lgkmcnt(0)
	s_barrier
	ds_read_b64 v[2:3], v19
	s_load_dwordx2 s[16:17], s[16:17], 0x0
	s_waitcnt lgkmcnt(0)
	v_div_scale_f64 v[6:7], s[18:19], s[16:17], s[16:17], v[2:3]
	v_rcp_f64_e32 v[8:9], v[6:7]
	v_div_scale_f64 v[10:11], vcc, v[2:3], s[16:17], v[2:3]
	v_fma_f64 v[12:13], -v[6:7], v[8:9], 1.0
	v_fmac_f64_e32 v[8:9], v[8:9], v[12:13]
	v_fma_f64 v[12:13], -v[6:7], v[8:9], 1.0
	v_fmac_f64_e32 v[8:9], v[8:9], v[12:13]
	v_mul_f64 v[12:13], v[10:11], v[8:9]
	v_fma_f64 v[6:7], -v[6:7], v[12:13], v[10:11]
	v_div_fmas_f64 v[6:7], v[6:7], v[8:9], v[12:13]
	v_div_fixup_f64 v[2:3], v[6:7], s[16:17], v[2:3]
	s_and_saveexec_b64 s[16:17], s[0:1]
	s_cbranch_execz .LBB54_159
.LBB54_148:                             ;   in Loop: Header=BB54_3 Depth=1
	s_mov_b64 s[18:19], 0
	v_mov_b32_e32 v6, v43
	s_branch .LBB54_150
.LBB54_149:                             ;   in Loop: Header=BB54_150 Depth=2
	s_or_b64 exec, exec, s[66:67]
	v_add_u32_e32 v6, 32, v6
	v_cmp_le_u32_e32 vcc, s71, v6
	s_or_b64 s[18:19], vcc, s[18:19]
	s_andn2_b64 exec, exec, s[18:19]
	s_cbranch_execz .LBB54_159
.LBB54_150:                             ;   Parent Loop BB54_3 Depth=1
                                        ; =>  This Loop Header: Depth=2
                                        ;       Child Loop BB54_153 Depth 3
                                        ;       Child Loop BB54_156 Depth 3
	v_cmp_gt_i32_e32 vcc, s30, v6
	s_and_saveexec_b64 s[66:67], vcc
	s_cbranch_execz .LBB54_149
; %bb.151:                              ;   in Loop: Header=BB54_150 Depth=2
	v_ashrrev_i32_e32 v7, 31, v6
	v_lshlrev_b64 v[8:9], 2, v[6:7]
	v_mov_b32_e32 v11, s37
	v_add_co_u32_e32 v10, vcc, s36, v8
	v_addc_co_u32_e32 v11, vcc, v11, v9, vcc
	global_load_dword v12, v[10:11], off
	v_mov_b32_e32 v11, s39
	v_add_co_u32_e32 v10, vcc, s38, v8
	v_addc_co_u32_e32 v11, vcc, v11, v9, vcc
	global_load_dword v11, v[10:11], off
	s_waitcnt vmcnt(1)
	v_add_u32_e32 v10, v47, v12
	s_waitcnt vmcnt(0)
	v_subrev_u32_e32 v16, s64, v11
	v_cmp_lt_i32_e32 vcc, v10, v16
	s_and_saveexec_b64 s[52:53], vcc
	s_cbranch_execz .LBB54_154
; %bb.152:                              ;   in Loop: Header=BB54_150 Depth=2
	v_ashrrev_i32_e32 v11, 31, v10
	v_lshlrev_b64 v[14:15], 4, v[10:11]
	v_mov_b32_e32 v11, s43
	v_add_co_u32_e32 v12, vcc, s42, v14
	v_addc_co_u32_e32 v13, vcc, v11, v15, vcc
	v_mov_b32_e32 v11, s75
	v_add_co_u32_e32 v14, vcc, s74, v14
	v_addc_co_u32_e32 v15, vcc, v11, v15, vcc
	s_mov_b64 s[54:55], 0
.LBB54_153:                             ;   Parent Loop BB54_3 Depth=1
                                        ;     Parent Loop BB54_150 Depth=2
                                        ; =>    This Inner Loop Header: Depth=3
	global_load_dwordx4 v[20:23], v[14:15], off
	v_add_u32_e32 v10, 32, v10
	v_cmp_ge_i32_e32 vcc, v10, v16
	s_or_b64 s[54:55], vcc, s[54:55]
	s_waitcnt vmcnt(0)
	global_store_dwordx4 v[12:13], v[20:23], off
	v_add_co_u32_e32 v12, vcc, 0x200, v12
	v_addc_co_u32_e32 v13, vcc, 0, v13, vcc
	v_add_co_u32_e32 v14, vcc, 0x200, v14
	v_addc_co_u32_e32 v15, vcc, 0, v15, vcc
	s_andn2_b64 exec, exec, s[54:55]
	s_cbranch_execnz .LBB54_153
.LBB54_154:                             ;   in Loop: Header=BB54_150 Depth=2
	s_or_b64 exec, exec, s[52:53]
	v_mov_b32_e32 v11, s21
	v_add_co_u32_e32 v10, vcc, s20, v8
	v_addc_co_u32_e32 v11, vcc, v11, v9, vcc
	global_load_dword v10, v[10:11], off
	v_mov_b32_e32 v11, s23
	v_add_co_u32_e32 v8, vcc, s22, v8
	v_addc_co_u32_e32 v9, vcc, v11, v9, vcc
	global_load_dword v9, v[8:9], off
	s_waitcnt vmcnt(1)
	v_add_u32_e32 v8, v48, v10
	s_waitcnt vmcnt(0)
	v_subrev_u32_e32 v14, s70, v9
	v_cmp_lt_i32_e32 vcc, v8, v14
	s_and_saveexec_b64 s[52:53], vcc
	s_cbranch_execz .LBB54_157
; %bb.155:                              ;   in Loop: Header=BB54_150 Depth=2
	v_ashrrev_i32_e32 v9, 31, v8
	v_lshlrev_b64 v[12:13], 4, v[8:9]
	v_mov_b32_e32 v9, s27
	v_add_co_u32_e32 v10, vcc, s26, v12
	v_addc_co_u32_e32 v11, vcc, v9, v13, vcc
	v_mov_b32_e32 v9, s77
	v_add_co_u32_e32 v12, vcc, s76, v12
	v_addc_co_u32_e32 v13, vcc, v9, v13, vcc
	s_mov_b64 s[54:55], 0
.LBB54_156:                             ;   Parent Loop BB54_3 Depth=1
                                        ;     Parent Loop BB54_150 Depth=2
                                        ; =>    This Inner Loop Header: Depth=3
	global_load_dwordx4 v[20:23], v[12:13], off
	v_add_u32_e32 v8, 32, v8
	v_cmp_ge_i32_e32 vcc, v8, v14
	s_or_b64 s[54:55], vcc, s[54:55]
	s_waitcnt vmcnt(0)
	global_store_dwordx4 v[10:11], v[20:23], off
	v_add_co_u32_e32 v10, vcc, 0x200, v10
	v_addc_co_u32_e32 v11, vcc, 0, v11, vcc
	v_add_co_u32_e32 v12, vcc, 0x200, v12
	v_addc_co_u32_e32 v13, vcc, 0, v13, vcc
	s_andn2_b64 exec, exec, s[54:55]
	s_cbranch_execnz .LBB54_156
.LBB54_157:                             ;   in Loop: Header=BB54_150 Depth=2
	s_or_b64 exec, exec, s[52:53]
	s_and_b64 exec, exec, s[14:15]
	s_cbranch_execz .LBB54_149
; %bb.158:                              ;   in Loop: Header=BB54_150 Depth=2
	v_lshlrev_b64 v[12:13], 4, v[6:7]
	v_mov_b32_e32 v7, s59
	v_add_co_u32_e32 v8, vcc, s58, v12
	v_addc_co_u32_e32 v9, vcc, v7, v13, vcc
	global_load_dwordx4 v[8:11], v[8:9], off
	v_mov_b32_e32 v7, s57
	v_add_co_u32_e32 v12, vcc, s56, v12
	v_addc_co_u32_e32 v13, vcc, v7, v13, vcc
	s_waitcnt vmcnt(0)
	global_store_dwordx4 v[12:13], v[8:11], off
	s_branch .LBB54_149
.LBB54_159:                             ;   in Loop: Header=BB54_3 Depth=1
	s_or_b64 exec, exec, s[16:17]
	s_mov_b64 s[18:19], -1
	s_mov_b64 s[16:17], -1
	s_and_b64 vcc, exec, s[62:63]
	s_cbranch_vccz .LBB54_169
; %bb.160:                              ;   in Loop: Header=BB54_3 Depth=1
	v_readlane_b32 s28, v62, 14
	v_readlane_b32 s29, v62, 15
	s_and_b64 vcc, exec, s[28:29]
                                        ; implicit-def: $sgpr52_sgpr53
	s_cbranch_vccz .LBB54_166
; %bb.161:                              ;   in Loop: Header=BB54_3 Depth=1
	v_readlane_b32 s28, v62, 12
	v_readlane_b32 s29, v62, 13
	s_and_b64 vcc, exec, s[28:29]
                                        ; implicit-def: $sgpr52_sgpr53
	s_cbranch_vccz .LBB54_163
; %bb.162:                              ;   in Loop: Header=BB54_3 Depth=1
	v_readlane_b32 s52, v62, 0
	v_readlane_b32 s54, v62, 2
	v_readlane_b32 s55, v62, 3
	v_readlane_b32 s53, v62, 1
	v_cmp_ge_f64_e32 vcc, s[54:55], v[2:3]
	s_mov_b64 s[16:17], 0
	s_and_b64 s[52:53], vcc, exec
.LBB54_163:                             ;   in Loop: Header=BB54_3 Depth=1
	s_andn2_b64 vcc, exec, s[16:17]
	s_cbranch_vccnz .LBB54_165
; %bb.164:                              ;   in Loop: Header=BB54_3 Depth=1
	v_readlane_b32 s84, v62, 0
	v_readlane_b32 s86, v62, 2
	;; [unrolled: 1-line block ×3, first 2 shown]
	v_cmp_ge_f64_e32 vcc, s[86:87], v[4:5]
	s_andn2_b64 s[16:17], s[52:53], exec
	s_and_b64 s[28:29], vcc, exec
	s_or_b64 s[52:53], s[16:17], s[28:29]
	v_readlane_b32 s85, v62, 1
.LBB54_165:                             ;   in Loop: Header=BB54_3 Depth=1
	s_mov_b64 s[16:17], 0
.LBB54_166:                             ;   in Loop: Header=BB54_3 Depth=1
	s_andn2_b64 vcc, exec, s[16:17]
	s_cbranch_vccnz .LBB54_168
; %bb.167:                              ;   in Loop: Header=BB54_3 Depth=1
	v_readlane_b32 s84, v62, 0
	v_readlane_b32 s86, v62, 2
	;; [unrolled: 1-line block ×3, first 2 shown]
	v_cmp_ge_f64_e32 vcc, s[86:87], v[4:5]
	v_cmp_ge_f64_e64 s[16:17], s[86:87], v[2:3]
	s_and_b64 s[16:17], vcc, s[16:17]
	s_andn2_b64 s[28:29], s[52:53], exec
	s_and_b64 s[16:17], s[16:17], exec
	s_or_b64 s[52:53], s[28:29], s[16:17]
	v_readlane_b32 s85, v62, 1
.LBB54_168:                             ;   in Loop: Header=BB54_3 Depth=1
	s_xor_b64 s[16:17], s[52:53], -1
.LBB54_169:                             ;   in Loop: Header=BB54_3 Depth=1
	v_mov_b32_e32 v6, s31
	s_and_saveexec_b64 s[28:29], s[16:17]
	s_cbranch_execz .LBB54_2
; %bb.170:                              ;   in Loop: Header=BB54_3 Depth=1
	s_add_i32 s31, s31, 1
	s_cmp_eq_u32 s31, s65
	s_cselect_b64 s[16:17], -1, 0
	v_mov_b32_e32 v6, s65
	s_orn2_b64 s[18:19], s[16:17], exec
	s_branch .LBB54_2
.LBB54_171:
	s_or_b64 exec, exec, s[68:69]
	v_readlane_b32 s20, v62, 6
	v_readlane_b32 s21, v62, 7
	;; [unrolled: 1-line block ×4, first 2 shown]
.LBB54_172:
	v_readlane_b32 s0, v62, 4
	v_readlane_b32 s1, v62, 5
	s_or_b64 exec, exec, s[0:1]
	s_andn2_b64 vcc, exec, s[62:63]
	s_cbranch_vccnz .LBB54_189
; %bb.173:
	v_mov_b32_dpp v7, v6 row_shr:1 row_mask:0xf bank_mask:0xf
	v_max_i32_e32 v6, v6, v7
	v_cmp_eq_u32_e32 vcc, 31, v42
	s_nop 0
	v_mov_b32_dpp v7, v6 row_shr:2 row_mask:0xf bank_mask:0xf
	v_max_i32_e32 v6, v6, v7
	s_nop 1
	v_mov_b32_dpp v7, v6 row_shr:4 row_mask:0xf bank_mask:0xe
	v_max_i32_e32 v6, v6, v7
	;; [unrolled: 3-line block ×3, first 2 shown]
	s_nop 1
	v_mov_b32_dpp v7, v6 row_bcast:15 row_mask:0xa bank_mask:0xf
	s_and_saveexec_b64 s[0:1], vcc
	s_cbranch_execz .LBB54_175
; %bb.174:
	v_lshlrev_b32_e32 v1, 2, v1
	v_max_i32_e32 v6, v6, v7
	ds_write_b32 v1, v6 offset:256
.LBB54_175:
	s_or_b64 exec, exec, s[0:1]
	v_cmp_gt_u32_e32 vcc, 16, v0
	v_lshlrev_b32_e32 v1, 2, v0
	s_waitcnt lgkmcnt(0)
	s_barrier
	s_and_saveexec_b64 s[0:1], vcc
	s_cbranch_execz .LBB54_177
; %bb.176:
	ds_read2_b32 v[6:7], v1 offset0:64 offset1:80
	s_waitcnt lgkmcnt(0)
	v_max_i32_e32 v6, v6, v7
	ds_write_b32 v1, v6 offset:256
.LBB54_177:
	s_or_b64 exec, exec, s[0:1]
	v_cmp_gt_u32_e32 vcc, 8, v0
	s_waitcnt lgkmcnt(0)
	s_barrier
	s_and_saveexec_b64 s[0:1], vcc
	s_cbranch_execz .LBB54_179
; %bb.178:
	ds_read2_b32 v[6:7], v1 offset0:64 offset1:72
	s_waitcnt lgkmcnt(0)
	v_max_i32_e32 v6, v6, v7
	ds_write_b32 v1, v6 offset:256
.LBB54_179:
	s_or_b64 exec, exec, s[0:1]
	v_cmp_gt_u32_e32 vcc, 4, v0
	s_waitcnt lgkmcnt(0)
	s_barrier
	s_and_saveexec_b64 s[0:1], vcc
	s_cbranch_execz .LBB54_181
; %bb.180:
	ds_read2_b32 v[6:7], v1 offset0:64 offset1:68
	s_waitcnt lgkmcnt(0)
	v_max_i32_e32 v6, v6, v7
	ds_write_b32 v1, v6 offset:256
.LBB54_181:
	s_or_b64 exec, exec, s[0:1]
	v_cmp_gt_u32_e32 vcc, 2, v0
	s_waitcnt lgkmcnt(0)
	s_barrier
	s_and_saveexec_b64 s[0:1], vcc
	s_cbranch_execz .LBB54_183
; %bb.182:
	ds_read2_b32 v[6:7], v1 offset0:64 offset1:66
	s_waitcnt lgkmcnt(0)
	v_max_i32_e32 v6, v6, v7
	ds_write_b32 v1, v6 offset:256
.LBB54_183:
	s_or_b64 exec, exec, s[0:1]
	v_cmp_eq_u32_e32 vcc, 0, v0
	s_waitcnt lgkmcnt(0)
	s_barrier
	s_and_saveexec_b64 s[0:1], vcc
	s_cbranch_execz .LBB54_185
; %bb.184:
	v_mov_b32_e32 v1, 0
	ds_read_b64 v[6:7], v1 offset:256
	s_waitcnt lgkmcnt(0)
	v_max_i32_e32 v6, v6, v7
	ds_write_b32 v1, v6 offset:256
.LBB54_185:
	s_or_b64 exec, exec, s[0:1]
	s_waitcnt lgkmcnt(0)
	s_barrier
	s_and_saveexec_b64 s[0:1], vcc
	s_cbranch_execz .LBB54_188
; %bb.186:
	v_mbcnt_lo_u32_b32 v1, exec_lo, 0
	v_mbcnt_hi_u32_b32 v1, exec_hi, v1
	v_cmp_eq_u32_e32 vcc, 0, v1
	s_and_b64 exec, exec, vcc
	s_cbranch_execz .LBB54_188
; %bb.187:
	v_mov_b32_e32 v1, 0
	ds_read_b32 v6, v1 offset:256
	v_readlane_b32 s4, v62, 0
	v_readlane_b32 s5, v62, 1
	;; [unrolled: 1-line block ×4, first 2 shown]
	s_waitcnt lgkmcnt(0)
	v_add_u32_e32 v6, 1, v6
	s_nop 0
	global_atomic_smax v1, v6, s[4:5]
.LBB54_188:
	s_or_b64 exec, exec, s[0:1]
.LBB54_189:
	v_cmp_eq_u32_e32 vcc, 0, v0
	s_mov_b32 s0, 0
	s_and_b64 s[2:3], vcc, s[60:61]
	s_and_saveexec_b64 s[4:5], s[2:3]
	s_cbranch_execz .LBB54_194
; %bb.190:
	v_mov_b32_e32 v0, 0
	global_load_dwordx2 v[6:7], v0, s[20:21] glc
	s_brev_b32 s1, 1
	s_mov_b64 s[6:7], 0
                                        ; implicit-def: $sgpr8_sgpr9
                                        ; implicit-def: $sgpr10_sgpr11
	s_waitcnt vmcnt(0)
	v_cmp_eq_u64_e64 s[12:13], s[0:1], v[6:7]
	v_cmp_eq_f64_e64 s[0:1], 0, v[4:5]
	s_branch .LBB54_192
.LBB54_191:                             ;   in Loop: Header=BB54_192 Depth=1
	s_or_b64 exec, exec, s[14:15]
	s_and_b64 s[2:3], exec, s[8:9]
	s_or_b64 s[6:7], s[2:3], s[6:7]
	s_andn2_b64 s[2:3], s[12:13], exec
	s_and_b64 s[12:13], s[10:11], exec
	s_or_b64 s[12:13], s[2:3], s[12:13]
	s_andn2_b64 exec, exec, s[6:7]
	s_cbranch_execz .LBB54_194
.LBB54_192:                             ; =>This Inner Loop Header: Depth=1
	v_cmp_lt_f64_e64 s[2:3], v[6:7], v[4:5]
	s_and_b64 s[14:15], s[0:1], s[12:13]
	s_or_b64 s[2:3], s[2:3], s[14:15]
	s_andn2_b64 s[10:11], s[10:11], exec
	s_or_b64 s[8:9], s[8:9], exec
	s_and_saveexec_b64 s[14:15], s[2:3]
	s_cbranch_execz .LBB54_191
; %bb.193:                              ;   in Loop: Header=BB54_192 Depth=1
	global_atomic_cmpswap_x2 v[8:9], v0, v[4:7], s[20:21] glc
	s_andn2_b64 s[8:9], s[8:9], exec
	s_andn2_b64 s[10:11], s[10:11], exec
                                        ; implicit-def: $sgpr12_sgpr13
	s_waitcnt vmcnt(0)
	v_cmp_eq_u64_e64 s[2:3], v[8:9], v[6:7]
	v_cndmask_b32_e64 v7, v9, v7, s[2:3]
	v_cndmask_b32_e64 v6, v8, v6, s[2:3]
	s_and_b64 s[2:3], s[2:3], exec
	v_cmp_class_f64_e64 s[16:17], v[6:7], 32
	s_or_b64 s[8:9], s[8:9], s[2:3]
	s_and_b64 s[2:3], s[16:17], exec
	s_or_b64 s[10:11], s[10:11], s[2:3]
	v_pk_mov_b32 v[6:7], v[8:9], v[8:9] op_sel:[0,1]
	s_branch .LBB54_191
.LBB54_194:
	s_or_b64 exec, exec, s[4:5]
	s_and_b64 s[0:1], vcc, s[34:35]
	s_and_saveexec_b64 s[2:3], s[0:1]
	s_cbranch_execz .LBB54_199
; %bb.195:
	v_mov_b32_e32 v0, 0
	global_load_dwordx2 v[4:5], v0, s[22:23] glc
	s_mov_b32 s0, 0
	s_brev_b32 s1, 1
	s_mov_b64 s[2:3], 0
	v_cmp_eq_f64_e32 vcc, 0, v[2:3]
                                        ; implicit-def: $sgpr4_sgpr5
                                        ; implicit-def: $sgpr6_sgpr7
	s_waitcnt vmcnt(0)
	v_cmp_eq_u64_e64 s[8:9], s[0:1], v[4:5]
	s_branch .LBB54_197
.LBB54_196:                             ;   in Loop: Header=BB54_197 Depth=1
	s_or_b64 exec, exec, s[10:11]
	s_and_b64 s[0:1], exec, s[4:5]
	s_or_b64 s[2:3], s[0:1], s[2:3]
	s_andn2_b64 s[0:1], s[8:9], exec
	s_and_b64 s[8:9], s[6:7], exec
	s_or_b64 s[8:9], s[0:1], s[8:9]
	s_andn2_b64 exec, exec, s[2:3]
	s_cbranch_execz .LBB54_199
.LBB54_197:                             ; =>This Inner Loop Header: Depth=1
	v_cmp_lt_f64_e64 s[0:1], v[4:5], v[2:3]
	s_and_b64 s[10:11], vcc, s[8:9]
	s_or_b64 s[0:1], s[0:1], s[10:11]
	s_andn2_b64 s[6:7], s[6:7], exec
	s_or_b64 s[4:5], s[4:5], exec
	s_and_saveexec_b64 s[10:11], s[0:1]
	s_cbranch_execz .LBB54_196
; %bb.198:                              ;   in Loop: Header=BB54_197 Depth=1
	global_atomic_cmpswap_x2 v[6:7], v0, v[2:5], s[22:23] glc
	s_andn2_b64 s[4:5], s[4:5], exec
	s_andn2_b64 s[6:7], s[6:7], exec
                                        ; implicit-def: $sgpr8_sgpr9
	s_waitcnt vmcnt(0)
	v_cmp_eq_u64_e64 s[0:1], v[6:7], v[4:5]
	v_cndmask_b32_e64 v5, v7, v5, s[0:1]
	v_cndmask_b32_e64 v4, v6, v4, s[0:1]
	s_and_b64 s[0:1], s[0:1], exec
	v_cmp_class_f64_e64 s[12:13], v[4:5], 32
	s_or_b64 s[4:5], s[4:5], s[0:1]
	s_and_b64 s[0:1], s[12:13], exec
	s_or_b64 s[6:7], s[6:7], s[0:1]
	v_pk_mov_b32 v[4:5], v[6:7], v[6:7] op_sel:[0,1]
	s_branch .LBB54_196
.LBB54_199:
	s_endpgm
	.section	.rodata,"a",@progbits
	.p2align	6, 0x0
	.amdhsa_kernel _ZN9rocsparseL6kernelILi1024ELi32E21rocsparse_complex_numIdEiiEEvbbbT3_PS3_NS_15floating_traitsIT1_E6data_tES3_T2_PKS9_SB_PKS3_PKS6_21rocsparse_index_base_SB_SB_SD_PS6_SH_SG_SB_SB_SD_SH_SH_SG_SH_SH_PS8_SI_PKS8_
		.amdhsa_group_segment_fixed_size 384
		.amdhsa_private_segment_fixed_size 0
		.amdhsa_kernarg_size 208
		.amdhsa_user_sgpr_count 6
		.amdhsa_user_sgpr_private_segment_buffer 1
		.amdhsa_user_sgpr_dispatch_ptr 0
		.amdhsa_user_sgpr_queue_ptr 0
		.amdhsa_user_sgpr_kernarg_segment_ptr 1
		.amdhsa_user_sgpr_dispatch_id 0
		.amdhsa_user_sgpr_flat_scratch_init 0
		.amdhsa_user_sgpr_kernarg_preload_length 0
		.amdhsa_user_sgpr_kernarg_preload_offset 0
		.amdhsa_user_sgpr_private_segment_size 0
		.amdhsa_uses_dynamic_stack 0
		.amdhsa_system_sgpr_private_segment_wavefront_offset 0
		.amdhsa_system_sgpr_workgroup_id_x 1
		.amdhsa_system_sgpr_workgroup_id_y 0
		.amdhsa_system_sgpr_workgroup_id_z 0
		.amdhsa_system_sgpr_workgroup_info 0
		.amdhsa_system_vgpr_workitem_id 0
		.amdhsa_next_free_vgpr 63
		.amdhsa_next_free_sgpr 96
		.amdhsa_accum_offset 64
		.amdhsa_reserve_vcc 1
		.amdhsa_reserve_flat_scratch 0
		.amdhsa_float_round_mode_32 0
		.amdhsa_float_round_mode_16_64 0
		.amdhsa_float_denorm_mode_32 3
		.amdhsa_float_denorm_mode_16_64 3
		.amdhsa_dx10_clamp 1
		.amdhsa_ieee_mode 1
		.amdhsa_fp16_overflow 0
		.amdhsa_tg_split 0
		.amdhsa_exception_fp_ieee_invalid_op 0
		.amdhsa_exception_fp_denorm_src 0
		.amdhsa_exception_fp_ieee_div_zero 0
		.amdhsa_exception_fp_ieee_overflow 0
		.amdhsa_exception_fp_ieee_underflow 0
		.amdhsa_exception_fp_ieee_inexact 0
		.amdhsa_exception_int_div_zero 0
	.end_amdhsa_kernel
	.section	.text._ZN9rocsparseL6kernelILi1024ELi32E21rocsparse_complex_numIdEiiEEvbbbT3_PS3_NS_15floating_traitsIT1_E6data_tES3_T2_PKS9_SB_PKS3_PKS6_21rocsparse_index_base_SB_SB_SD_PS6_SH_SG_SB_SB_SD_SH_SH_SG_SH_SH_PS8_SI_PKS8_,"axG",@progbits,_ZN9rocsparseL6kernelILi1024ELi32E21rocsparse_complex_numIdEiiEEvbbbT3_PS3_NS_15floating_traitsIT1_E6data_tES3_T2_PKS9_SB_PKS3_PKS6_21rocsparse_index_base_SB_SB_SD_PS6_SH_SG_SB_SB_SD_SH_SH_SG_SH_SH_PS8_SI_PKS8_,comdat
.Lfunc_end54:
	.size	_ZN9rocsparseL6kernelILi1024ELi32E21rocsparse_complex_numIdEiiEEvbbbT3_PS3_NS_15floating_traitsIT1_E6data_tES3_T2_PKS9_SB_PKS3_PKS6_21rocsparse_index_base_SB_SB_SD_PS6_SH_SG_SB_SB_SD_SH_SH_SG_SH_SH_PS8_SI_PKS8_, .Lfunc_end54-_ZN9rocsparseL6kernelILi1024ELi32E21rocsparse_complex_numIdEiiEEvbbbT3_PS3_NS_15floating_traitsIT1_E6data_tES3_T2_PKS9_SB_PKS3_PKS6_21rocsparse_index_base_SB_SB_SD_PS6_SH_SG_SB_SB_SD_SH_SH_SG_SH_SH_PS8_SI_PKS8_
                                        ; -- End function
	.section	.AMDGPU.csdata,"",@progbits
; Kernel info:
; codeLenInByte = 8964
; NumSgprs: 100
; NumVgprs: 63
; NumAgprs: 0
; TotalNumVgprs: 63
; ScratchSize: 0
; MemoryBound: 1
; FloatMode: 240
; IeeeMode: 1
; LDSByteSize: 384 bytes/workgroup (compile time only)
; SGPRBlocks: 12
; VGPRBlocks: 7
; NumSGPRsForWavesPerEU: 100
; NumVGPRsForWavesPerEU: 63
; AccumOffset: 64
; Occupancy: 8
; WaveLimiterHint : 1
; COMPUTE_PGM_RSRC2:SCRATCH_EN: 0
; COMPUTE_PGM_RSRC2:USER_SGPR: 6
; COMPUTE_PGM_RSRC2:TRAP_HANDLER: 0
; COMPUTE_PGM_RSRC2:TGID_X_EN: 1
; COMPUTE_PGM_RSRC2:TGID_Y_EN: 0
; COMPUTE_PGM_RSRC2:TGID_Z_EN: 0
; COMPUTE_PGM_RSRC2:TIDIG_COMP_CNT: 0
; COMPUTE_PGM_RSRC3_GFX90A:ACCUM_OFFSET: 15
; COMPUTE_PGM_RSRC3_GFX90A:TG_SPLIT: 0
	.section	.text._ZN9rocsparseL6kernelILi1024ELi64E21rocsparse_complex_numIdEiiEEvbbbT3_PS3_NS_15floating_traitsIT1_E6data_tES3_T2_PKS9_SB_PKS3_PKS6_21rocsparse_index_base_SB_SB_SD_PS6_SH_SG_SB_SB_SD_SH_SH_SG_SH_SH_PS8_SI_PKS8_,"axG",@progbits,_ZN9rocsparseL6kernelILi1024ELi64E21rocsparse_complex_numIdEiiEEvbbbT3_PS3_NS_15floating_traitsIT1_E6data_tES3_T2_PKS9_SB_PKS3_PKS6_21rocsparse_index_base_SB_SB_SD_PS6_SH_SG_SB_SB_SD_SH_SH_SG_SH_SH_PS8_SI_PKS8_,comdat
	.globl	_ZN9rocsparseL6kernelILi1024ELi64E21rocsparse_complex_numIdEiiEEvbbbT3_PS3_NS_15floating_traitsIT1_E6data_tES3_T2_PKS9_SB_PKS3_PKS6_21rocsparse_index_base_SB_SB_SD_PS6_SH_SG_SB_SB_SD_SH_SH_SG_SH_SH_PS8_SI_PKS8_ ; -- Begin function _ZN9rocsparseL6kernelILi1024ELi64E21rocsparse_complex_numIdEiiEEvbbbT3_PS3_NS_15floating_traitsIT1_E6data_tES3_T2_PKS9_SB_PKS3_PKS6_21rocsparse_index_base_SB_SB_SD_PS6_SH_SG_SB_SB_SD_SH_SH_SG_SH_SH_PS8_SI_PKS8_
	.p2align	8
	.type	_ZN9rocsparseL6kernelILi1024ELi64E21rocsparse_complex_numIdEiiEEvbbbT3_PS3_NS_15floating_traitsIT1_E6data_tES3_T2_PKS9_SB_PKS3_PKS6_21rocsparse_index_base_SB_SB_SD_PS6_SH_SG_SB_SB_SD_SH_SH_SG_SH_SH_PS8_SI_PKS8_,@function
_ZN9rocsparseL6kernelILi1024ELi64E21rocsparse_complex_numIdEiiEEvbbbT3_PS3_NS_15floating_traitsIT1_E6data_tES3_T2_PKS9_SB_PKS3_PKS6_21rocsparse_index_base_SB_SB_SD_PS6_SH_SG_SB_SB_SD_SH_SH_SG_SH_SH_PS8_SI_PKS8_: ; @_ZN9rocsparseL6kernelILi1024ELi64E21rocsparse_complex_numIdEiiEEvbbbT3_PS3_NS_15floating_traitsIT1_E6data_tES3_T2_PKS9_SB_PKS3_PKS6_21rocsparse_index_base_SB_SB_SD_PS6_SH_SG_SB_SB_SD_SH_SH_SG_SH_SH_PS8_SI_PKS8_
; %bb.0:
	s_load_dword s0, s[4:5], 0x0
	s_load_dwordx2 s[62:63], s[4:5], 0x0
	s_load_dwordx4 s[20:23], s[4:5], 0xb8
	s_load_dwordx4 s[8:11], s[4:5], 0x8
	s_load_dword s33, s[4:5], 0x18
	s_waitcnt lgkmcnt(0)
	s_bitcmp1_b32 s0, 0
	s_cselect_b64 s[60:61], -1, 0
	s_bitcmp1_b32 s0, 8
                                        ; implicit-def: $vgpr62 : SGPR spill to VGPR lane
	s_cselect_b64 s[34:35], -1, 0
	s_bitcmp1_b32 s62, 16
	v_writelane_b32 v62, s8, 0
	s_cselect_b64 s[18:19], -1, 0
	v_lshrrev_b32_e32 v1, 6, v0
	s_lshl_b32 s31, s6, 10
	v_writelane_b32 v62, s9, 1
	v_or_b32_e32 v43, s31, v1
	v_mov_b32_e32 v6, 0
	s_cmp_gt_i32 s63, 0
	v_pk_mov_b32 v[4:5], 0, 0
	v_writelane_b32 v62, s10, 2
	v_and_b32_e32 v42, 63, v0
	v_lshlrev_b32_e32 v44, 3, v0
	s_mov_b32 s62, 0
	v_mov_b32_e32 v7, v6
	v_cmp_gt_i32_e32 vcc, s33, v43
	s_cselect_b64 s[0:1], -1, 0
	s_mov_b64 s[66:67], 0
	v_pk_mov_b32 v[2:3], v[4:5], v[4:5] op_sel:[0,1]
	v_writelane_b32 v62, s11, 3
	ds_write_b64 v44, v[6:7]
	s_waitcnt lgkmcnt(0)
	s_barrier
	s_and_b64 s[0:1], s[0:1], vcc
	s_mov_b64 s[2:3], exec
	v_writelane_b32 v62, s2, 4
	s_and_b64 s[0:1], s[2:3], s[0:1]
	v_writelane_b32 v62, s3, 5
	s_mov_b64 exec, s[0:1]
	s_cbranch_execz .LBB55_168
; %bb.1:
	v_writelane_b32 v62, s20, 6
	v_writelane_b32 v62, s21, 7
	s_load_dwordx2 s[0:1], s[4:5], 0xc8
	v_writelane_b32 v62, s22, 8
	v_writelane_b32 v62, s23, 9
	s_load_dwordx4 s[56:59], s[4:5], 0xa8
	s_load_dwordx8 s[20:27], s[4:5], 0x78
	s_load_dwordx8 s[36:43], s[4:5], 0x48
	;; [unrolled: 1-line block ×3, first 2 shown]
	s_load_dword s28, s[4:5], 0x40
	s_load_dwordx2 s[72:73], s[4:5], 0x68
	s_load_dword s29, s[4:5], 0x70
	s_load_dwordx2 s[74:75], s[4:5], 0x98
	s_load_dword s30, s[4:5], 0xa0
	s_waitcnt lgkmcnt(0)
	v_writelane_b32 v62, s0, 10
	v_writelane_b32 v62, s1, 11
	s_xor_b64 s[0:1], s[34:35], -1
	v_writelane_b32 v62, s0, 12
	s_addk_i32 s31, 0x400
	s_and_b64 s[14:15], s[34:35], s[18:19]
	v_pk_mov_b32 v[2:3], 0, 0
	s_mov_b32 s78, 0
	v_writelane_b32 v62, s1, 13
	v_subrev_u32_e32 v45, s28, v42
	v_cmp_gt_u32_e64 s[0:1], s31, v43
	v_cmp_eq_u32_e64 s[2:3], 63, v42
	v_lshlrev_b32_e32 v46, 3, v1
	v_cmp_gt_u32_e64 s[4:5], 8, v0
	v_cmp_gt_u32_e64 s[6:7], 4, v0
	;; [unrolled: 1-line block ×3, first 2 shown]
	v_cmp_eq_u32_e64 s[10:11], 0, v0
	v_subrev_u32_e32 v47, s29, v42
	v_subrev_u32_e32 v48, s30, v42
	v_cmp_eq_u32_e64 s[12:13], 0, v42
	s_xor_b64 s[76:77], s[14:15], -1
	s_brev_b32 s79, 8
	v_mov_b32_e32 v49, 0x260
	s_movk_i32 s68, 0x1f8
	v_mov_b32_e32 v19, 0
	v_mov_b32_e32 v50, 0xffffff80
	v_pk_mov_b32 v[4:5], v[2:3], v[2:3] op_sel:[0,1]
	s_branch .LBB55_3
.LBB55_2:                               ;   in Loop: Header=BB55_3 Depth=1
	s_or_b64 exec, exec, s[52:53]
	s_and_b64 s[14:15], exec, s[16:17]
	s_or_b64 s[66:67], s[14:15], s[66:67]
	s_andn2_b64 exec, exec, s[66:67]
	s_cbranch_execz .LBB55_167
.LBB55_3:                               ; =>This Loop Header: Depth=1
                                        ;     Child Loop BB55_7 Depth 2
                                        ;       Child Loop BB55_12 Depth 3
                                        ;         Child Loop BB55_16 Depth 4
                                        ;         Child Loop BB55_51 Depth 4
	;; [unrolled: 1-line block ×5, first 2 shown]
                                        ;     Child Loop BB55_146 Depth 2
                                        ;       Child Loop BB55_149 Depth 3
                                        ;       Child Loop BB55_152 Depth 3
	s_mov_b32 s69, 0
	v_cndmask_b32_e64 v5, v5, 0, s[34:35]
	v_cndmask_b32_e64 v4, v4, 0, s[34:35]
	;; [unrolled: 1-line block ×4, first 2 shown]
	s_branch .LBB55_7
.LBB55_4:                               ;   in Loop: Header=BB55_7 Depth=2
	s_or_b64 exec, exec, s[84:85]
.LBB55_5:                               ;   in Loop: Header=BB55_7 Depth=2
	s_or_b64 exec, exec, s[82:83]
.LBB55_6:                               ;   in Loop: Header=BB55_7 Depth=2
	s_or_b64 exec, exec, s[80:81]
	s_add_i32 s69, s69, 1
	s_cmp_eq_u32 s69, 64
	s_cbranch_scc1 .LBB55_119
.LBB55_7:                               ;   Parent Loop BB55_3 Depth=1
                                        ; =>  This Loop Header: Depth=2
                                        ;       Child Loop BB55_12 Depth 3
                                        ;         Child Loop BB55_16 Depth 4
                                        ;         Child Loop BB55_51 Depth 4
	;; [unrolled: 1-line block ×5, first 2 shown]
	v_lshl_add_u32 v20, s69, 4, v43
	v_cmp_gt_i32_e32 vcc, s33, v20
	s_and_saveexec_b64 s[80:81], vcc
	s_cbranch_execz .LBB55_6
; %bb.8:                                ;   in Loop: Header=BB55_7 Depth=2
	v_ashrrev_i32_e32 v21, 31, v20
	v_lshlrev_b64 v[6:7], 2, v[20:21]
	v_mov_b32_e32 v9, s45
	v_add_co_u32_e32 v8, vcc, s44, v6
	v_addc_co_u32_e32 v9, vcc, v9, v7, vcc
	global_load_dword v10, v[8:9], off
	v_mov_b32_e32 v9, s47
	v_add_co_u32_e32 v8, vcc, s46, v6
	v_addc_co_u32_e32 v9, vcc, v9, v7, vcc
	global_load_dword v8, v[8:9], off
	s_waitcnt vmcnt(1)
	v_add_u32_e32 v22, v45, v10
	s_waitcnt vmcnt(0)
	v_subrev_u32_e32 v21, s28, v8
	v_cmp_lt_i32_e32 vcc, v22, v21
	s_and_saveexec_b64 s[82:83], vcc
	s_cbranch_execz .LBB55_5
; %bb.9:                                ;   in Loop: Header=BB55_7 Depth=2
	v_mov_b32_e32 v9, s39
	v_add_co_u32_e32 v8, vcc, s38, v6
	v_addc_co_u32_e32 v9, vcc, v9, v7, vcc
	v_mov_b32_e32 v10, s37
	v_add_co_u32_e32 v6, vcc, s36, v6
	v_addc_co_u32_e32 v7, vcc, v10, v7, vcc
	global_load_dword v6, v[6:7], off
	s_nop 0
	global_load_dword v7, v[8:9], off
	v_mov_b32_e32 v10, s41
	v_mov_b32_e32 v11, s43
	s_mov_b64 s[84:85], 0
	s_waitcnt vmcnt(1)
	v_subrev_u32_e32 v24, s29, v6
	v_ashrrev_i32_e32 v25, 31, v24
	s_waitcnt vmcnt(0)
	v_sub_u32_e32 v51, v7, v6
	v_lshlrev_b64 v[6:7], 2, v[24:25]
	v_lshlrev_b64 v[8:9], 4, v[24:25]
	v_add_co_u32_e32 v25, vcc, s40, v6
	v_addc_co_u32_e32 v52, vcc, v10, v7, vcc
	v_add_co_u32_e32 v53, vcc, s42, v8
	v_cmp_lt_i32_e64 s[14:15], 0, v51
	v_addc_co_u32_e32 v54, vcc, v11, v9, vcc
	s_branch .LBB55_12
.LBB55_10:                              ;   in Loop: Header=BB55_12 Depth=3
	s_or_b64 exec, exec, s[52:53]
.LBB55_11:                              ;   in Loop: Header=BB55_12 Depth=3
	s_or_b64 exec, exec, s[16:17]
	v_add_u32_e32 v22, 64, v22
	v_cmp_ge_i32_e32 vcc, v22, v21
	s_or_b64 s[84:85], vcc, s[84:85]
	s_andn2_b64 exec, exec, s[84:85]
	s_cbranch_execz .LBB55_4
.LBB55_12:                              ;   Parent Loop BB55_3 Depth=1
                                        ;     Parent Loop BB55_7 Depth=2
                                        ; =>    This Loop Header: Depth=3
                                        ;         Child Loop BB55_16 Depth 4
                                        ;         Child Loop BB55_51 Depth 4
	;; [unrolled: 1-line block ×5, first 2 shown]
	v_ashrrev_i32_e32 v23, 31, v22
	v_lshlrev_b64 v[6:7], 2, v[22:23]
	v_mov_b32_e32 v8, s49
	v_add_co_u32_e32 v6, vcc, s48, v6
	v_addc_co_u32_e32 v7, vcc, v8, v7, vcc
	global_load_dword v6, v[6:7], off
	v_mov_b32_e32 v9, s21
	v_mov_b32_e32 v10, s23
	v_pk_mov_b32 v[28:29], 0, 0
	v_mov_b32_e32 v18, 0
	v_pk_mov_b32 v[30:31], v[28:29], v[28:29] op_sel:[0,1]
	v_mov_b32_e32 v34, 0
	s_waitcnt vmcnt(0)
	v_subrev_u32_e32 v26, s28, v6
	v_ashrrev_i32_e32 v27, 31, v26
	v_lshlrev_b64 v[6:7], 2, v[26:27]
	v_add_co_u32_e32 v8, vcc, s20, v6
	v_addc_co_u32_e32 v9, vcc, v9, v7, vcc
	v_add_co_u32_e32 v6, vcc, s22, v6
	v_addc_co_u32_e32 v7, vcc, v10, v7, vcc
	global_load_dword v8, v[8:9], off
	s_nop 0
	global_load_dword v6, v[6:7], off
	s_waitcnt vmcnt(1)
	v_subrev_u32_e32 v32, s30, v8
	s_waitcnt vmcnt(0)
	v_sub_u32_e32 v55, v6, v8
	s_and_saveexec_b64 s[16:17], s[14:15]
	s_cbranch_execz .LBB55_20
; %bb.13:                               ;   in Loop: Header=BB55_12 Depth=3
	v_ashrrev_i32_e32 v33, 31, v32
	v_lshlrev_b64 v[6:7], 2, v[32:33]
	v_mov_b32_e32 v8, s25
	v_add_co_u32_e32 v6, vcc, s24, v6
	v_addc_co_u32_e32 v7, vcc, v8, v7, vcc
	v_lshlrev_b64 v[8:9], 4, v[32:33]
	v_mov_b32_e32 v10, s27
	v_add_co_u32_e32 v8, vcc, s26, v8
	v_mov_b32_e32 v34, 0
	v_pk_mov_b32 v[28:29], 0, 0
	v_addc_co_u32_e32 v9, vcc, v10, v9, vcc
	s_mov_b64 s[86:87], 0
	v_mov_b32_e32 v18, v34
	v_pk_mov_b32 v[30:31], v[28:29], v[28:29] op_sel:[0,1]
                                        ; implicit-def: $sgpr88_sgpr89
	s_branch .LBB55_16
.LBB55_14:                              ;   in Loop: Header=BB55_16 Depth=4
	s_or_b64 exec, exec, s[52:53]
	v_cmp_le_i32_e32 vcc, v10, v11
	v_addc_co_u32_e32 v18, vcc, 0, v18, vcc
	v_cmp_ge_i32_e32 vcc, v10, v11
	v_addc_co_u32_e32 v34, vcc, 0, v34, vcc
	v_cmp_ge_i32_e32 vcc, v18, v51
	s_andn2_b64 s[52:53], s[88:89], exec
	s_and_b64 s[54:55], vcc, exec
	s_or_b64 s[88:89], s[52:53], s[54:55]
.LBB55_15:                              ;   in Loop: Header=BB55_16 Depth=4
	s_or_b64 exec, exec, s[90:91]
	s_and_b64 s[52:53], exec, s[88:89]
	s_or_b64 s[86:87], s[52:53], s[86:87]
	s_andn2_b64 exec, exec, s[86:87]
	s_cbranch_execz .LBB55_19
.LBB55_16:                              ;   Parent Loop BB55_3 Depth=1
                                        ;     Parent Loop BB55_7 Depth=2
                                        ;       Parent Loop BB55_12 Depth=3
                                        ; =>      This Inner Loop Header: Depth=4
	v_cmp_lt_i32_e32 vcc, v34, v55
	s_or_b64 s[88:89], s[88:89], exec
	s_and_saveexec_b64 s[90:91], vcc
	s_cbranch_execz .LBB55_15
; %bb.17:                               ;   in Loop: Header=BB55_16 Depth=4
	v_lshlrev_b64 v[10:11], 2, v[18:19]
	v_add_co_u32_e32 v10, vcc, v25, v10
	v_addc_co_u32_e32 v11, vcc, v52, v11, vcc
	v_mov_b32_e32 v35, v19
	global_load_dword v12, v[10:11], off
	v_lshlrev_b64 v[10:11], 2, v[34:35]
	v_add_co_u32_e32 v10, vcc, v6, v10
	v_addc_co_u32_e32 v11, vcc, v7, v11, vcc
	global_load_dword v11, v[10:11], off
	s_waitcnt vmcnt(1)
	v_subrev_u32_e32 v10, s29, v12
	s_waitcnt vmcnt(0)
	v_subrev_u32_e32 v11, s30, v11
	v_cmp_eq_u32_e32 vcc, v10, v11
	s_and_saveexec_b64 s[52:53], vcc
	s_cbranch_execz .LBB55_14
; %bb.18:                               ;   in Loop: Header=BB55_16 Depth=4
	v_lshlrev_b64 v[12:13], 4, v[18:19]
	v_add_co_u32_e32 v12, vcc, v53, v12
	v_addc_co_u32_e32 v13, vcc, v54, v13, vcc
	v_lshlrev_b64 v[16:17], 4, v[34:35]
	v_add_co_u32_e32 v16, vcc, v8, v16
	v_addc_co_u32_e32 v17, vcc, v9, v17, vcc
	global_load_dwordx4 v[12:15], v[12:13], off
	s_nop 0
	global_load_dwordx4 v[36:39], v[16:17], off
	s_waitcnt vmcnt(0)
	v_fmac_f64_e32 v[28:29], v[12:13], v[36:37]
	v_fmac_f64_e32 v[30:31], v[14:15], v[36:37]
	v_fma_f64 v[28:29], -v[14:15], v[38:39], v[28:29]
	v_fmac_f64_e32 v[30:31], v[12:13], v[38:39]
	s_branch .LBB55_14
.LBB55_19:                              ;   in Loop: Header=BB55_12 Depth=3
	s_or_b64 exec, exec, s[86:87]
.LBB55_20:                              ;   in Loop: Header=BB55_12 Depth=3
	s_or_b64 exec, exec, s[16:17]
	v_lshlrev_b64 v[6:7], 4, v[22:23]
	v_mov_b32_e32 v8, s51
	v_add_co_u32_e32 v6, vcc, s50, v6
	v_addc_co_u32_e32 v7, vcc, v8, v7, vcc
	global_load_dwordx4 v[6:9], v[6:7], off
	v_cmp_le_i32_e64 s[16:17], v20, v26
	v_cmp_gt_i32_e32 vcc, v20, v26
	s_waitcnt vmcnt(0)
	v_add_f64 v[10:11], v[6:7], -v[28:29]
	v_add_f64 v[12:13], v[8:9], -v[30:31]
	s_and_saveexec_b64 s[86:87], vcc
	s_cbranch_execz .LBB55_30
; %bb.21:                               ;   in Loop: Header=BB55_12 Depth=3
	v_lshlrev_b64 v[14:15], 4, v[26:27]
	v_mov_b32_e32 v16, s57
	v_add_co_u32_e32 v14, vcc, s56, v14
	v_addc_co_u32_e32 v15, vcc, v16, v15, vcc
	global_load_dwordx4 v[14:17], v[14:15], off
                                        ; implicit-def: $vgpr40_vgpr41
	s_waitcnt vmcnt(0)
	v_xor_b32_e32 v23, 0x80000000, v15
	v_cmp_gt_f64_e32 vcc, 0, v[14:15]
	v_xor_b32_e32 v33, 0x80000000, v17
	v_cndmask_b32_e32 v37, v15, v23, vcc
	v_cmp_gt_f64_e32 vcc, 0, v[16:17]
	v_mov_b32_e32 v36, v14
	v_cndmask_b32_e32 v39, v17, v33, vcc
	v_mov_b32_e32 v38, v16
	v_cmp_ngt_f64_e32 vcc, v[36:37], v[38:39]
	s_and_saveexec_b64 s[52:53], vcc
	s_xor_b64 s[64:65], exec, s[52:53]
	s_cbranch_execz .LBB55_25
; %bb.22:                               ;   in Loop: Header=BB55_12 Depth=3
	v_cmp_neq_f64_e32 vcc, 0, v[16:17]
	v_pk_mov_b32 v[40:41], 0, 0
	s_and_saveexec_b64 s[52:53], vcc
	s_cbranch_execz .LBB55_24
; %bb.23:                               ;   in Loop: Header=BB55_12 Depth=3
	v_div_scale_f64 v[40:41], s[54:55], v[38:39], v[38:39], v[36:37]
	v_rcp_f64_e32 v[56:57], v[40:41]
	v_div_scale_f64 v[58:59], vcc, v[36:37], v[38:39], v[36:37]
	v_fma_f64 v[60:61], -v[40:41], v[56:57], 1.0
	v_fmac_f64_e32 v[56:57], v[56:57], v[60:61]
	v_fma_f64 v[60:61], -v[40:41], v[56:57], 1.0
	v_fmac_f64_e32 v[56:57], v[56:57], v[60:61]
	v_mul_f64 v[60:61], v[58:59], v[56:57]
	v_fma_f64 v[40:41], -v[40:41], v[60:61], v[58:59]
	v_div_fmas_f64 v[40:41], v[40:41], v[56:57], v[60:61]
	v_div_fixup_f64 v[36:37], v[40:41], v[38:39], v[36:37]
	v_fma_f64 v[36:37], v[36:37], v[36:37], 1.0
	v_cmp_gt_f64_e32 vcc, s[78:79], v[36:37]
	v_cndmask_b32_e64 v23, 0, 1, vcc
	v_lshlrev_b32_e32 v23, 8, v23
	v_ldexp_f64 v[36:37], v[36:37], v23
	v_rsq_f64_e32 v[40:41], v[36:37]
	v_cndmask_b32_e32 v23, 0, v50, vcc
	v_cmp_class_f64_e32 vcc, v[36:37], v49
	v_mul_f64 v[56:57], v[36:37], v[40:41]
	v_mul_f64 v[40:41], v[40:41], 0.5
	v_fma_f64 v[58:59], -v[40:41], v[56:57], 0.5
	v_fmac_f64_e32 v[56:57], v[56:57], v[58:59]
	v_fma_f64 v[60:61], -v[56:57], v[56:57], v[36:37]
	v_fmac_f64_e32 v[40:41], v[40:41], v[58:59]
	v_fmac_f64_e32 v[56:57], v[60:61], v[40:41]
	v_fma_f64 v[58:59], -v[56:57], v[56:57], v[36:37]
	v_fmac_f64_e32 v[56:57], v[58:59], v[40:41]
	v_ldexp_f64 v[40:41], v[56:57], v23
	v_cndmask_b32_e32 v37, v41, v37, vcc
	v_cndmask_b32_e32 v36, v40, v36, vcc
	v_mul_f64 v[40:41], v[38:39], v[36:37]
.LBB55_24:                              ;   in Loop: Header=BB55_12 Depth=3
	s_or_b64 exec, exec, s[52:53]
                                        ; implicit-def: $vgpr36_vgpr37
                                        ; implicit-def: $vgpr38_vgpr39
.LBB55_25:                              ;   in Loop: Header=BB55_12 Depth=3
	s_andn2_saveexec_b64 s[52:53], s[64:65]
	s_cbranch_execz .LBB55_27
; %bb.26:                               ;   in Loop: Header=BB55_12 Depth=3
	v_div_scale_f64 v[40:41], s[54:55], v[36:37], v[36:37], v[38:39]
	v_rcp_f64_e32 v[56:57], v[40:41]
	v_div_scale_f64 v[58:59], vcc, v[38:39], v[36:37], v[38:39]
	v_fma_f64 v[60:61], -v[40:41], v[56:57], 1.0
	v_fmac_f64_e32 v[56:57], v[56:57], v[60:61]
	v_fma_f64 v[60:61], -v[40:41], v[56:57], 1.0
	v_fmac_f64_e32 v[56:57], v[56:57], v[60:61]
	v_mul_f64 v[60:61], v[58:59], v[56:57]
	v_fma_f64 v[40:41], -v[40:41], v[60:61], v[58:59]
	v_div_fmas_f64 v[40:41], v[40:41], v[56:57], v[60:61]
	v_div_fixup_f64 v[38:39], v[40:41], v[36:37], v[38:39]
	v_fma_f64 v[38:39], v[38:39], v[38:39], 1.0
	v_cmp_gt_f64_e32 vcc, s[78:79], v[38:39]
	v_cndmask_b32_e64 v23, 0, 1, vcc
	v_lshlrev_b32_e32 v23, 8, v23
	v_ldexp_f64 v[38:39], v[38:39], v23
	v_rsq_f64_e32 v[40:41], v[38:39]
	v_cndmask_b32_e32 v23, 0, v50, vcc
	v_cmp_class_f64_e32 vcc, v[38:39], v49
	v_mul_f64 v[56:57], v[38:39], v[40:41]
	v_mul_f64 v[40:41], v[40:41], 0.5
	v_fma_f64 v[58:59], -v[40:41], v[56:57], 0.5
	v_fmac_f64_e32 v[56:57], v[56:57], v[58:59]
	v_fma_f64 v[60:61], -v[56:57], v[56:57], v[38:39]
	v_fmac_f64_e32 v[40:41], v[40:41], v[58:59]
	v_fmac_f64_e32 v[56:57], v[60:61], v[40:41]
	v_fma_f64 v[58:59], -v[56:57], v[56:57], v[38:39]
	v_fmac_f64_e32 v[56:57], v[58:59], v[40:41]
	v_ldexp_f64 v[40:41], v[56:57], v23
	v_cndmask_b32_e32 v39, v41, v39, vcc
	v_cndmask_b32_e32 v38, v40, v38, vcc
	v_mul_f64 v[40:41], v[36:37], v[38:39]
.LBB55_27:                              ;   in Loop: Header=BB55_12 Depth=3
	s_or_b64 exec, exec, s[52:53]
	v_pk_mov_b32 v[38:39], 0, 0
	v_cmp_lt_f64_e32 vcc, 0, v[40:41]
	v_pk_mov_b32 v[36:37], v[38:39], v[38:39] op_sel:[0,1]
	s_and_saveexec_b64 s[52:53], vcc
	s_cbranch_execz .LBB55_29
; %bb.28:                               ;   in Loop: Header=BB55_12 Depth=3
	v_mul_f64 v[36:37], v[16:17], v[16:17]
	v_fmac_f64_e32 v[36:37], v[14:15], v[14:15]
	v_div_scale_f64 v[38:39], s[54:55], v[36:37], v[36:37], 1.0
	v_rcp_f64_e32 v[40:41], v[38:39]
	v_div_scale_f64 v[56:57], vcc, 1.0, v[36:37], 1.0
	v_fma_f64 v[58:59], -v[38:39], v[40:41], 1.0
	v_fmac_f64_e32 v[40:41], v[40:41], v[58:59]
	v_fma_f64 v[58:59], -v[38:39], v[40:41], 1.0
	v_fmac_f64_e32 v[40:41], v[40:41], v[58:59]
	v_mul_f64 v[58:59], v[56:57], v[40:41]
	v_fma_f64 v[38:39], -v[38:39], v[58:59], v[56:57]
	v_div_fmas_f64 v[38:39], v[38:39], v[40:41], v[58:59]
	v_div_fixup_f64 v[38:39], v[38:39], v[36:37], 1.0
	v_mul_f64 v[36:37], v[12:13], v[16:17]
	v_fmac_f64_e32 v[36:37], v[10:11], v[14:15]
	v_mul_f64 v[10:11], v[16:17], -v[10:11]
	v_fmac_f64_e32 v[10:11], v[12:13], v[14:15]
	v_mul_f64 v[36:37], v[36:37], v[38:39]
	v_mul_f64 v[38:39], v[10:11], v[38:39]
.LBB55_29:                              ;   in Loop: Header=BB55_12 Depth=3
	s_or_b64 exec, exec, s[52:53]
	v_pk_mov_b32 v[12:13], v[38:39], v[38:39] op_sel:[0,1]
	v_pk_mov_b32 v[10:11], v[36:37], v[36:37] op_sel:[0,1]
.LBB55_30:                              ;   in Loop: Header=BB55_12 Depth=3
	s_or_b64 exec, exec, s[86:87]
	v_xor_b32_e32 v14, 0x80000000, v11
	v_cmp_gt_f64_e32 vcc, 0, v[10:11]
	v_cndmask_b32_e32 v15, v11, v14, vcc
	v_cndmask_b32_e32 v14, v10, v10, vcc
	v_xor_b32_e32 v16, 0x80000000, v13
	v_cmp_gt_f64_e32 vcc, 0, v[12:13]
	v_cndmask_b32_e32 v17, v13, v16, vcc
	v_cndmask_b32_e32 v16, v12, v12, vcc
	v_cmp_ngt_f64_e32 vcc, v[14:15], v[16:17]
                                        ; implicit-def: $vgpr36_vgpr37
	s_and_saveexec_b64 s[52:53], vcc
	s_xor_b64 s[64:65], exec, s[52:53]
	s_cbranch_execnz .LBB55_34
; %bb.31:                               ;   in Loop: Header=BB55_12 Depth=3
	s_andn2_saveexec_b64 s[52:53], s[64:65]
	s_cbranch_execnz .LBB55_37
.LBB55_32:                              ;   in Loop: Header=BB55_12 Depth=3
	s_or_b64 exec, exec, s[52:53]
	v_cmp_class_f64_e64 s[86:87], v[36:37], s68
	s_and_saveexec_b64 s[88:89], s[86:87]
	s_cbranch_execnz .LBB55_38
.LBB55_33:                              ;   in Loop: Header=BB55_12 Depth=3
	s_or_b64 exec, exec, s[88:89]
	s_and_b64 s[52:53], s[86:87], s[18:19]
	s_and_saveexec_b64 s[16:17], s[52:53]
	s_cbranch_execz .LBB55_11
	s_branch .LBB55_79
.LBB55_34:                              ;   in Loop: Header=BB55_12 Depth=3
	v_cmp_neq_f64_e32 vcc, 0, v[12:13]
	v_pk_mov_b32 v[36:37], 0, 0
	s_and_saveexec_b64 s[52:53], vcc
	s_cbranch_execz .LBB55_36
; %bb.35:                               ;   in Loop: Header=BB55_12 Depth=3
	v_div_scale_f64 v[36:37], s[54:55], v[16:17], v[16:17], v[14:15]
	v_rcp_f64_e32 v[38:39], v[36:37]
	v_div_scale_f64 v[40:41], vcc, v[14:15], v[16:17], v[14:15]
	v_fma_f64 v[56:57], -v[36:37], v[38:39], 1.0
	v_fmac_f64_e32 v[38:39], v[38:39], v[56:57]
	v_fma_f64 v[56:57], -v[36:37], v[38:39], 1.0
	v_fmac_f64_e32 v[38:39], v[38:39], v[56:57]
	v_mul_f64 v[56:57], v[40:41], v[38:39]
	v_fma_f64 v[36:37], -v[36:37], v[56:57], v[40:41]
	v_div_fmas_f64 v[36:37], v[36:37], v[38:39], v[56:57]
	v_div_fixup_f64 v[14:15], v[36:37], v[16:17], v[14:15]
	v_fma_f64 v[14:15], v[14:15], v[14:15], 1.0
	v_cmp_gt_f64_e32 vcc, s[78:79], v[14:15]
	v_cndmask_b32_e64 v23, 0, 1, vcc
	v_lshlrev_b32_e32 v23, 8, v23
	v_ldexp_f64 v[14:15], v[14:15], v23
	v_rsq_f64_e32 v[36:37], v[14:15]
	v_cndmask_b32_e32 v23, 0, v50, vcc
	v_cmp_class_f64_e32 vcc, v[14:15], v49
	v_mul_f64 v[38:39], v[14:15], v[36:37]
	v_mul_f64 v[36:37], v[36:37], 0.5
	v_fma_f64 v[40:41], -v[36:37], v[38:39], 0.5
	v_fmac_f64_e32 v[38:39], v[38:39], v[40:41]
	v_fma_f64 v[56:57], -v[38:39], v[38:39], v[14:15]
	v_fmac_f64_e32 v[36:37], v[36:37], v[40:41]
	v_fmac_f64_e32 v[38:39], v[56:57], v[36:37]
	v_fma_f64 v[40:41], -v[38:39], v[38:39], v[14:15]
	v_fmac_f64_e32 v[38:39], v[40:41], v[36:37]
	v_ldexp_f64 v[36:37], v[38:39], v23
	v_cndmask_b32_e32 v15, v37, v15, vcc
	v_cndmask_b32_e32 v14, v36, v14, vcc
	v_mul_f64 v[36:37], v[16:17], v[14:15]
.LBB55_36:                              ;   in Loop: Header=BB55_12 Depth=3
	s_or_b64 exec, exec, s[52:53]
                                        ; implicit-def: $vgpr14_vgpr15
                                        ; implicit-def: $vgpr16_vgpr17
	s_andn2_saveexec_b64 s[52:53], s[64:65]
	s_cbranch_execz .LBB55_32
.LBB55_37:                              ;   in Loop: Header=BB55_12 Depth=3
	v_div_scale_f64 v[36:37], s[54:55], v[14:15], v[14:15], v[16:17]
	v_rcp_f64_e32 v[38:39], v[36:37]
	v_div_scale_f64 v[40:41], vcc, v[16:17], v[14:15], v[16:17]
	v_fma_f64 v[56:57], -v[36:37], v[38:39], 1.0
	v_fmac_f64_e32 v[38:39], v[38:39], v[56:57]
	v_fma_f64 v[56:57], -v[36:37], v[38:39], 1.0
	v_fmac_f64_e32 v[38:39], v[38:39], v[56:57]
	v_mul_f64 v[56:57], v[40:41], v[38:39]
	v_fma_f64 v[36:37], -v[36:37], v[56:57], v[40:41]
	v_div_fmas_f64 v[36:37], v[36:37], v[38:39], v[56:57]
	v_div_fixup_f64 v[16:17], v[36:37], v[14:15], v[16:17]
	v_fma_f64 v[16:17], v[16:17], v[16:17], 1.0
	v_cmp_gt_f64_e32 vcc, s[78:79], v[16:17]
	v_cndmask_b32_e64 v23, 0, 1, vcc
	v_lshlrev_b32_e32 v23, 8, v23
	v_ldexp_f64 v[16:17], v[16:17], v23
	v_rsq_f64_e32 v[36:37], v[16:17]
	v_cndmask_b32_e32 v23, 0, v50, vcc
	v_cmp_class_f64_e32 vcc, v[16:17], v49
	v_mul_f64 v[38:39], v[16:17], v[36:37]
	v_mul_f64 v[36:37], v[36:37], 0.5
	v_fma_f64 v[40:41], -v[36:37], v[38:39], 0.5
	v_fmac_f64_e32 v[38:39], v[38:39], v[40:41]
	v_fma_f64 v[56:57], -v[38:39], v[38:39], v[16:17]
	v_fmac_f64_e32 v[36:37], v[36:37], v[40:41]
	v_fmac_f64_e32 v[38:39], v[56:57], v[36:37]
	v_fma_f64 v[40:41], -v[38:39], v[38:39], v[16:17]
	v_fmac_f64_e32 v[38:39], v[40:41], v[36:37]
	v_ldexp_f64 v[36:37], v[38:39], v23
	v_cndmask_b32_e32 v17, v37, v17, vcc
	v_cndmask_b32_e32 v16, v36, v16, vcc
	v_mul_f64 v[36:37], v[14:15], v[16:17]
	s_or_b64 exec, exec, s[52:53]
	v_cmp_class_f64_e64 s[86:87], v[36:37], s68
	s_and_saveexec_b64 s[88:89], s[86:87]
	s_cbranch_execz .LBB55_33
.LBB55_38:                              ;   in Loop: Header=BB55_12 Depth=3
	s_and_saveexec_b64 s[52:53], s[16:17]
	s_xor_b64 s[16:17], exec, s[52:53]
	s_cbranch_execz .LBB55_63
; %bb.39:                               ;   in Loop: Header=BB55_12 Depth=3
	v_cmp_ge_i32_e32 vcc, v20, v26
	s_and_saveexec_b64 s[52:53], vcc
	s_xor_b64 s[90:91], exec, s[52:53]
	s_cbranch_execz .LBB55_47
; %bb.40:                               ;   in Loop: Header=BB55_12 Depth=3
	v_lshlrev_b64 v[14:15], 4, v[26:27]
	v_mov_b32_e32 v17, s59
	v_add_co_u32_e32 v16, vcc, s58, v14
	v_addc_co_u32_e32 v17, vcc, v17, v15, vcc
	s_andn2_b64 vcc, exec, s[34:35]
	global_store_dwordx4 v[16:17], v[10:13], off
	s_cbranch_vccnz .LBB55_46
; %bb.41:                               ;   in Loop: Header=BB55_12 Depth=3
	v_mov_b32_e32 v16, s57
	v_add_co_u32_e32 v14, vcc, s56, v14
	v_addc_co_u32_e32 v15, vcc, v16, v15, vcc
	global_load_dwordx4 v[14:17], v[14:15], off
	s_waitcnt vmcnt(0)
	v_add_f64 v[10:11], v[14:15], -v[10:11]
	v_add_f64 v[16:17], v[16:17], -v[12:13]
	v_xor_b32_e32 v12, 0x80000000, v11
	v_cmp_gt_f64_e32 vcc, 0, v[10:11]
	v_xor_b32_e32 v13, 0x80000000, v17
	v_cndmask_b32_e32 v11, v11, v12, vcc
	v_cndmask_b32_e32 v10, v10, v10, vcc
	v_cmp_gt_f64_e32 vcc, 0, v[16:17]
	v_cndmask_b32_e32 v13, v17, v13, vcc
	v_cndmask_b32_e32 v12, v16, v16, vcc
	v_cmp_ngt_f64_e32 vcc, v[10:11], v[12:13]
                                        ; implicit-def: $vgpr14_vgpr15
	s_and_saveexec_b64 s[52:53], vcc
	s_xor_b64 s[64:65], exec, s[52:53]
	s_cbranch_execnz .LBB55_107
; %bb.42:                               ;   in Loop: Header=BB55_12 Depth=3
	s_andn2_saveexec_b64 s[52:53], s[64:65]
	s_cbranch_execnz .LBB55_110
.LBB55_43:                              ;   in Loop: Header=BB55_12 Depth=3
	s_or_b64 exec, exec, s[52:53]
	v_cmp_class_f64_e64 s[54:55], v[14:15], s68
	s_and_saveexec_b64 s[52:53], s[54:55]
.LBB55_44:                              ;   in Loop: Header=BB55_12 Depth=3
	v_cmp_lt_f64_e32 vcc, v[4:5], v[14:15]
	v_cndmask_b32_e32 v5, v5, v15, vcc
	v_cndmask_b32_e32 v4, v4, v14, vcc
.LBB55_45:                              ;   in Loop: Header=BB55_12 Depth=3
	s_or_b64 exec, exec, s[52:53]
.LBB55_46:                              ;   in Loop: Header=BB55_12 Depth=3
                                        ; implicit-def: $vgpr10_vgpr11
.LBB55_47:                              ;   in Loop: Header=BB55_12 Depth=3
	s_andn2_saveexec_b64 s[90:91], s[90:91]
	s_cbranch_execz .LBB55_62
; %bb.48:                               ;   in Loop: Header=BB55_12 Depth=3
	v_cmp_lt_i32_e32 vcc, v34, v55
	s_and_saveexec_b64 s[92:93], vcc
	s_cbranch_execz .LBB55_61
; %bb.49:                               ;   in Loop: Header=BB55_12 Depth=3
	s_mov_b64 s[94:95], 0
	v_mov_b32_e32 v16, v34
                                        ; implicit-def: $sgpr64_sgpr65
                                        ; implicit-def: $sgpr52_sgpr53
                                        ; implicit-def: $sgpr70_sgpr71
	s_branch .LBB55_51
.LBB55_50:                              ;   in Loop: Header=BB55_51 Depth=4
	s_or_b64 exec, exec, s[54:55]
	s_and_b64 s[54:55], exec, s[52:53]
	s_or_b64 s[94:95], s[54:55], s[94:95]
	s_andn2_b64 s[54:55], s[64:65], exec
	s_and_b64 s[64:65], s[70:71], exec
	s_or_b64 s[64:65], s[54:55], s[64:65]
	s_andn2_b64 exec, exec, s[94:95]
	s_cbranch_execz .LBB55_53
.LBB55_51:                              ;   Parent Loop BB55_3 Depth=1
                                        ;     Parent Loop BB55_7 Depth=2
                                        ;       Parent Loop BB55_12 Depth=3
                                        ; =>      This Inner Loop Header: Depth=4
	v_add_u32_e32 v14, v32, v16
	v_ashrrev_i32_e32 v15, 31, v14
	v_lshlrev_b64 v[36:37], 2, v[14:15]
	v_mov_b32_e32 v17, s25
	v_add_co_u32_e32 v36, vcc, s24, v36
	v_addc_co_u32_e32 v37, vcc, v17, v37, vcc
	global_load_dword v17, v[36:37], off
	s_or_b64 s[70:71], s[70:71], exec
	s_or_b64 s[52:53], s[52:53], exec
	s_waitcnt vmcnt(0)
	v_subrev_u32_e32 v17, s30, v17
	v_cmp_ne_u32_e32 vcc, v17, v20
	s_and_saveexec_b64 s[54:55], vcc
	s_cbranch_execz .LBB55_50
; %bb.52:                               ;   in Loop: Header=BB55_51 Depth=4
	v_add_u32_e32 v16, 1, v16
	v_cmp_ge_i32_e32 vcc, v16, v55
	s_andn2_b64 s[52:53], s[52:53], exec
	s_and_b64 vcc, vcc, exec
	s_andn2_b64 s[70:71], s[70:71], exec
	s_or_b64 s[52:53], s[52:53], vcc
	s_branch .LBB55_50
.LBB55_53:                              ;   in Loop: Header=BB55_12 Depth=3
	s_or_b64 exec, exec, s[94:95]
	s_and_saveexec_b64 s[52:53], s[64:65]
	s_xor_b64 s[94:95], exec, s[52:53]
	s_cbranch_execz .LBB55_60
; %bb.54:                               ;   in Loop: Header=BB55_12 Depth=3
	v_lshlrev_b64 v[14:15], 4, v[14:15]
	v_mov_b32_e32 v17, s75
	v_add_co_u32_e32 v16, vcc, s74, v14
	v_addc_co_u32_e32 v17, vcc, v17, v15, vcc
	s_andn2_b64 vcc, exec, s[34:35]
	global_store_dwordx4 v[16:17], v[10:13], off
	s_cbranch_vccnz .LBB55_60
; %bb.55:                               ;   in Loop: Header=BB55_12 Depth=3
	v_mov_b32_e32 v16, s27
	v_add_co_u32_e32 v14, vcc, s26, v14
	v_addc_co_u32_e32 v15, vcc, v16, v15, vcc
	global_load_dwordx4 v[14:17], v[14:15], off
	s_waitcnt vmcnt(0)
	v_add_f64 v[10:11], v[14:15], -v[10:11]
	v_add_f64 v[16:17], v[16:17], -v[12:13]
	v_xor_b32_e32 v12, 0x80000000, v11
	v_cmp_gt_f64_e32 vcc, 0, v[10:11]
	v_xor_b32_e32 v13, 0x80000000, v17
	v_cndmask_b32_e32 v11, v11, v12, vcc
	v_cndmask_b32_e32 v10, v10, v10, vcc
	v_cmp_gt_f64_e32 vcc, 0, v[16:17]
	v_cndmask_b32_e32 v13, v17, v13, vcc
	v_cndmask_b32_e32 v12, v16, v16, vcc
	v_cmp_ngt_f64_e32 vcc, v[10:11], v[12:13]
                                        ; implicit-def: $vgpr14_vgpr15
	s_and_saveexec_b64 s[52:53], vcc
	s_xor_b64 s[64:65], exec, s[52:53]
	s_cbranch_execnz .LBB55_115
; %bb.56:                               ;   in Loop: Header=BB55_12 Depth=3
	s_andn2_saveexec_b64 s[52:53], s[64:65]
	s_cbranch_execnz .LBB55_118
.LBB55_57:                              ;   in Loop: Header=BB55_12 Depth=3
	s_or_b64 exec, exec, s[52:53]
	v_cmp_class_f64_e64 s[54:55], v[14:15], s68
	s_and_saveexec_b64 s[52:53], s[54:55]
.LBB55_58:                              ;   in Loop: Header=BB55_12 Depth=3
	v_cmp_lt_f64_e32 vcc, v[4:5], v[14:15]
	v_cndmask_b32_e32 v5, v5, v15, vcc
	v_cndmask_b32_e32 v4, v4, v14, vcc
.LBB55_59:                              ;   in Loop: Header=BB55_12 Depth=3
	s_or_b64 exec, exec, s[52:53]
.LBB55_60:                              ;   in Loop: Header=BB55_12 Depth=3
	s_or_b64 exec, exec, s[94:95]
.LBB55_61:                              ;   in Loop: Header=BB55_12 Depth=3
	s_or_b64 exec, exec, s[92:93]
.LBB55_62:                              ;   in Loop: Header=BB55_12 Depth=3
	s_or_b64 exec, exec, s[90:91]
                                        ; implicit-def: $vgpr10_vgpr11
.LBB55_63:                              ;   in Loop: Header=BB55_12 Depth=3
	s_andn2_saveexec_b64 s[16:17], s[16:17]
	s_cbranch_execz .LBB55_78
; %bb.64:                               ;   in Loop: Header=BB55_12 Depth=3
	v_cmp_lt_i32_e32 vcc, v18, v51
	s_and_saveexec_b64 s[90:91], vcc
	s_cbranch_execz .LBB55_77
; %bb.65:                               ;   in Loop: Header=BB55_12 Depth=3
	s_mov_b64 s[92:93], 0
	v_mov_b32_e32 v16, v18
                                        ; implicit-def: $sgpr64_sgpr65
                                        ; implicit-def: $sgpr52_sgpr53
                                        ; implicit-def: $sgpr70_sgpr71
	s_branch .LBB55_67
.LBB55_66:                              ;   in Loop: Header=BB55_67 Depth=4
	s_or_b64 exec, exec, s[54:55]
	s_and_b64 s[54:55], exec, s[52:53]
	s_or_b64 s[92:93], s[54:55], s[92:93]
	s_andn2_b64 s[54:55], s[64:65], exec
	s_and_b64 s[64:65], s[70:71], exec
	s_or_b64 s[64:65], s[54:55], s[64:65]
	s_andn2_b64 exec, exec, s[92:93]
	s_cbranch_execz .LBB55_69
.LBB55_67:                              ;   Parent Loop BB55_3 Depth=1
                                        ;     Parent Loop BB55_7 Depth=2
                                        ;       Parent Loop BB55_12 Depth=3
                                        ; =>      This Inner Loop Header: Depth=4
	v_add_u32_e32 v14, v24, v16
	v_ashrrev_i32_e32 v15, 31, v14
	v_lshlrev_b64 v[36:37], 2, v[14:15]
	v_mov_b32_e32 v17, s41
	v_add_co_u32_e32 v36, vcc, s40, v36
	v_addc_co_u32_e32 v37, vcc, v17, v37, vcc
	global_load_dword v17, v[36:37], off
	s_or_b64 s[70:71], s[70:71], exec
	s_or_b64 s[52:53], s[52:53], exec
	s_waitcnt vmcnt(0)
	v_subrev_u32_e32 v17, s29, v17
	v_cmp_ne_u32_e32 vcc, v17, v26
	s_and_saveexec_b64 s[54:55], vcc
	s_cbranch_execz .LBB55_66
; %bb.68:                               ;   in Loop: Header=BB55_67 Depth=4
	v_add_u32_e32 v16, 1, v16
	v_cmp_ge_i32_e32 vcc, v16, v51
	s_andn2_b64 s[52:53], s[52:53], exec
	s_and_b64 s[94:95], vcc, exec
	s_andn2_b64 s[70:71], s[70:71], exec
	s_or_b64 s[52:53], s[52:53], s[94:95]
	s_branch .LBB55_66
.LBB55_69:                              ;   in Loop: Header=BB55_12 Depth=3
	s_or_b64 exec, exec, s[92:93]
	s_and_saveexec_b64 s[52:53], s[64:65]
	s_xor_b64 s[92:93], exec, s[52:53]
	s_cbranch_execz .LBB55_76
; %bb.70:                               ;   in Loop: Header=BB55_12 Depth=3
	v_lshlrev_b64 v[14:15], 4, v[14:15]
	v_mov_b32_e32 v17, s73
	v_add_co_u32_e32 v16, vcc, s72, v14
	v_addc_co_u32_e32 v17, vcc, v17, v15, vcc
	s_andn2_b64 vcc, exec, s[34:35]
	global_store_dwordx4 v[16:17], v[10:13], off
	s_cbranch_vccnz .LBB55_76
; %bb.71:                               ;   in Loop: Header=BB55_12 Depth=3
	v_mov_b32_e32 v16, s43
	v_add_co_u32_e32 v14, vcc, s42, v14
	v_addc_co_u32_e32 v15, vcc, v16, v15, vcc
	global_load_dwordx4 v[14:17], v[14:15], off
	s_waitcnt vmcnt(0)
	v_add_f64 v[10:11], v[14:15], -v[10:11]
	v_add_f64 v[16:17], v[16:17], -v[12:13]
	v_xor_b32_e32 v12, 0x80000000, v11
	v_cmp_gt_f64_e32 vcc, 0, v[10:11]
	v_xor_b32_e32 v13, 0x80000000, v17
	v_cndmask_b32_e32 v11, v11, v12, vcc
	v_cndmask_b32_e32 v10, v10, v10, vcc
	v_cmp_gt_f64_e32 vcc, 0, v[16:17]
	v_cndmask_b32_e32 v13, v17, v13, vcc
	v_cndmask_b32_e32 v12, v16, v16, vcc
	v_cmp_ngt_f64_e32 vcc, v[10:11], v[12:13]
                                        ; implicit-def: $vgpr14_vgpr15
	s_and_saveexec_b64 s[52:53], vcc
	s_xor_b64 s[64:65], exec, s[52:53]
	s_cbranch_execnz .LBB55_111
; %bb.72:                               ;   in Loop: Header=BB55_12 Depth=3
	s_andn2_saveexec_b64 s[52:53], s[64:65]
	s_cbranch_execnz .LBB55_114
.LBB55_73:                              ;   in Loop: Header=BB55_12 Depth=3
	s_or_b64 exec, exec, s[52:53]
	v_cmp_class_f64_e64 s[54:55], v[14:15], s68
	s_and_saveexec_b64 s[52:53], s[54:55]
.LBB55_74:                              ;   in Loop: Header=BB55_12 Depth=3
	v_cmp_lt_f64_e32 vcc, v[4:5], v[14:15]
	v_cndmask_b32_e32 v5, v5, v15, vcc
	v_cndmask_b32_e32 v4, v4, v14, vcc
.LBB55_75:                              ;   in Loop: Header=BB55_12 Depth=3
	s_or_b64 exec, exec, s[52:53]
.LBB55_76:                              ;   in Loop: Header=BB55_12 Depth=3
	s_or_b64 exec, exec, s[92:93]
.LBB55_77:                              ;   in Loop: Header=BB55_12 Depth=3
	s_or_b64 exec, exec, s[90:91]
.LBB55_78:                              ;   in Loop: Header=BB55_12 Depth=3
	s_or_b64 exec, exec, s[16:17]
	s_or_b64 exec, exec, s[88:89]
	s_and_b64 s[52:53], s[86:87], s[18:19]
	s_and_saveexec_b64 s[16:17], s[52:53]
	s_cbranch_execz .LBB55_11
.LBB55_79:                              ;   in Loop: Header=BB55_12 Depth=3
	v_cmp_ge_i32_e32 vcc, v34, v55
	s_and_saveexec_b64 s[52:53], vcc
	s_xor_b64 s[86:87], exec, s[52:53]
	s_cbranch_execnz .LBB55_86
; %bb.80:                               ;   in Loop: Header=BB55_12 Depth=3
	s_andn2_saveexec_b64 s[86:87], s[86:87]
	s_cbranch_execnz .LBB55_100
.LBB55_81:                              ;   in Loop: Header=BB55_12 Depth=3
	s_or_b64 exec, exec, s[86:87]
	v_cmp_eq_u32_e32 vcc, v20, v26
	s_and_saveexec_b64 s[52:53], vcc
	s_cbranch_execz .LBB55_83
.LBB55_82:                              ;   in Loop: Header=BB55_12 Depth=3
	v_lshlrev_b64 v[10:11], 4, v[26:27]
	v_mov_b32_e32 v12, s57
	v_add_co_u32_e32 v10, vcc, s56, v10
	v_addc_co_u32_e32 v11, vcc, v12, v11, vcc
	global_load_dwordx4 v[10:13], v[10:11], off
	s_waitcnt vmcnt(0)
	v_add_f64 v[28:29], v[28:29], v[10:11]
	v_add_f64 v[30:31], v[30:31], v[12:13]
.LBB55_83:                              ;   in Loop: Header=BB55_12 Depth=3
	s_or_b64 exec, exec, s[52:53]
	v_add_f64 v[6:7], v[6:7], -v[28:29]
	v_add_f64 v[12:13], v[8:9], -v[30:31]
	v_xor_b32_e32 v8, 0x80000000, v7
	v_cmp_gt_f64_e32 vcc, 0, v[6:7]
	v_cndmask_b32_e32 v7, v7, v8, vcc
	v_cndmask_b32_e32 v6, v6, v6, vcc
	v_xor_b32_e32 v8, 0x80000000, v13
	v_cmp_gt_f64_e32 vcc, 0, v[12:13]
	v_cndmask_b32_e32 v9, v13, v8, vcc
	v_cndmask_b32_e32 v8, v12, v12, vcc
	v_cmp_ngt_f64_e32 vcc, v[6:7], v[8:9]
                                        ; implicit-def: $vgpr10_vgpr11
	s_and_saveexec_b64 s[52:53], vcc
	s_xor_b64 s[64:65], exec, s[52:53]
	s_cbranch_execnz .LBB55_91
; %bb.84:                               ;   in Loop: Header=BB55_12 Depth=3
	s_andn2_saveexec_b64 s[52:53], s[64:65]
	s_cbranch_execnz .LBB55_94
.LBB55_85:                              ;   in Loop: Header=BB55_12 Depth=3
	s_or_b64 exec, exec, s[52:53]
	v_cmp_class_f64_e64 s[54:55], v[10:11], s68
	s_and_saveexec_b64 s[52:53], s[54:55]
	s_cbranch_execz .LBB55_10
	s_branch .LBB55_95
.LBB55_86:                              ;   in Loop: Header=BB55_12 Depth=3
	v_cmp_lt_i32_e32 vcc, v18, v51
	s_and_saveexec_b64 s[88:89], vcc
	s_cbranch_execz .LBB55_99
; %bb.87:                               ;   in Loop: Header=BB55_12 Depth=3
	s_mov_b64 s[92:93], 0
                                        ; implicit-def: $sgpr90_sgpr91
                                        ; implicit-def: $sgpr94_sgpr95
                                        ; implicit-def: $sgpr64_sgpr65
	s_branch .LBB55_89
.LBB55_88:                              ;   in Loop: Header=BB55_89 Depth=4
	s_or_b64 exec, exec, s[52:53]
	s_and_b64 s[52:53], exec, s[94:95]
	s_or_b64 s[92:93], s[52:53], s[92:93]
	s_andn2_b64 s[52:53], s[90:91], exec
	s_and_b64 s[54:55], s[64:65], exec
	s_or_b64 s[90:91], s[52:53], s[54:55]
	s_andn2_b64 exec, exec, s[92:93]
	s_cbranch_execz .LBB55_96
.LBB55_89:                              ;   Parent Loop BB55_3 Depth=1
                                        ;     Parent Loop BB55_7 Depth=2
                                        ;       Parent Loop BB55_12 Depth=3
                                        ; =>      This Inner Loop Header: Depth=4
	v_add_u32_e32 v10, v24, v18
	v_ashrrev_i32_e32 v11, 31, v10
	v_lshlrev_b64 v[12:13], 2, v[10:11]
	v_mov_b32_e32 v14, s41
	v_add_co_u32_e32 v12, vcc, s40, v12
	v_addc_co_u32_e32 v13, vcc, v14, v13, vcc
	global_load_dword v12, v[12:13], off
	s_or_b64 s[64:65], s[64:65], exec
	s_or_b64 s[94:95], s[94:95], exec
	s_waitcnt vmcnt(0)
	v_subrev_u32_e32 v12, s29, v12
	v_cmp_ne_u32_e32 vcc, v12, v26
	s_and_saveexec_b64 s[52:53], vcc
	s_cbranch_execz .LBB55_88
; %bb.90:                               ;   in Loop: Header=BB55_89 Depth=4
	v_add_u32_e32 v18, 1, v18
	v_cmp_ge_i32_e32 vcc, v18, v51
	s_andn2_b64 s[54:55], s[94:95], exec
	s_and_b64 s[70:71], vcc, exec
	s_andn2_b64 s[64:65], s[64:65], exec
	s_or_b64 s[94:95], s[54:55], s[70:71]
	s_branch .LBB55_88
.LBB55_91:                              ;   in Loop: Header=BB55_12 Depth=3
	v_cmp_neq_f64_e32 vcc, 0, v[12:13]
	v_pk_mov_b32 v[10:11], 0, 0
	s_and_saveexec_b64 s[52:53], vcc
	s_cbranch_execz .LBB55_93
; %bb.92:                               ;   in Loop: Header=BB55_12 Depth=3
	v_div_scale_f64 v[10:11], s[54:55], v[8:9], v[8:9], v[6:7]
	v_rcp_f64_e32 v[12:13], v[10:11]
	v_div_scale_f64 v[14:15], vcc, v[6:7], v[8:9], v[6:7]
	v_fma_f64 v[16:17], -v[10:11], v[12:13], 1.0
	v_fmac_f64_e32 v[12:13], v[12:13], v[16:17]
	v_fma_f64 v[16:17], -v[10:11], v[12:13], 1.0
	v_fmac_f64_e32 v[12:13], v[12:13], v[16:17]
	v_mul_f64 v[16:17], v[14:15], v[12:13]
	v_fma_f64 v[10:11], -v[10:11], v[16:17], v[14:15]
	v_div_fmas_f64 v[10:11], v[10:11], v[12:13], v[16:17]
	v_div_fixup_f64 v[6:7], v[10:11], v[8:9], v[6:7]
	v_fma_f64 v[6:7], v[6:7], v[6:7], 1.0
	v_cmp_gt_f64_e32 vcc, s[78:79], v[6:7]
	v_cndmask_b32_e64 v10, 0, 1, vcc
	v_lshlrev_b32_e32 v10, 8, v10
	v_ldexp_f64 v[6:7], v[6:7], v10
	v_rsq_f64_e32 v[10:11], v[6:7]
	v_mul_f64 v[12:13], v[6:7], v[10:11]
	v_mul_f64 v[10:11], v[10:11], 0.5
	v_fma_f64 v[14:15], -v[10:11], v[12:13], 0.5
	v_fmac_f64_e32 v[12:13], v[12:13], v[14:15]
	v_fma_f64 v[16:17], -v[12:13], v[12:13], v[6:7]
	v_fmac_f64_e32 v[10:11], v[10:11], v[14:15]
	v_fmac_f64_e32 v[12:13], v[16:17], v[10:11]
	v_fma_f64 v[14:15], -v[12:13], v[12:13], v[6:7]
	v_fmac_f64_e32 v[12:13], v[14:15], v[10:11]
	v_cndmask_b32_e32 v10, 0, v50, vcc
	v_ldexp_f64 v[10:11], v[12:13], v10
	v_cmp_class_f64_e32 vcc, v[6:7], v49
	v_cndmask_b32_e32 v7, v11, v7, vcc
	v_cndmask_b32_e32 v6, v10, v6, vcc
	v_mul_f64 v[10:11], v[8:9], v[6:7]
.LBB55_93:                              ;   in Loop: Header=BB55_12 Depth=3
	s_or_b64 exec, exec, s[52:53]
                                        ; implicit-def: $vgpr6_vgpr7
                                        ; implicit-def: $vgpr8_vgpr9
	s_andn2_saveexec_b64 s[52:53], s[64:65]
	s_cbranch_execz .LBB55_85
.LBB55_94:                              ;   in Loop: Header=BB55_12 Depth=3
	v_div_scale_f64 v[10:11], s[54:55], v[6:7], v[6:7], v[8:9]
	v_rcp_f64_e32 v[12:13], v[10:11]
	v_div_scale_f64 v[14:15], vcc, v[8:9], v[6:7], v[8:9]
	v_fma_f64 v[16:17], -v[10:11], v[12:13], 1.0
	v_fmac_f64_e32 v[12:13], v[12:13], v[16:17]
	v_fma_f64 v[16:17], -v[10:11], v[12:13], 1.0
	v_fmac_f64_e32 v[12:13], v[12:13], v[16:17]
	v_mul_f64 v[16:17], v[14:15], v[12:13]
	v_fma_f64 v[10:11], -v[10:11], v[16:17], v[14:15]
	v_div_fmas_f64 v[10:11], v[10:11], v[12:13], v[16:17]
	v_div_fixup_f64 v[8:9], v[10:11], v[6:7], v[8:9]
	v_fma_f64 v[8:9], v[8:9], v[8:9], 1.0
	v_cmp_gt_f64_e32 vcc, s[78:79], v[8:9]
	v_cndmask_b32_e64 v10, 0, 1, vcc
	v_lshlrev_b32_e32 v10, 8, v10
	v_ldexp_f64 v[8:9], v[8:9], v10
	v_rsq_f64_e32 v[10:11], v[8:9]
	v_mul_f64 v[12:13], v[8:9], v[10:11]
	v_mul_f64 v[10:11], v[10:11], 0.5
	v_fma_f64 v[14:15], -v[10:11], v[12:13], 0.5
	v_fmac_f64_e32 v[12:13], v[12:13], v[14:15]
	v_fma_f64 v[16:17], -v[12:13], v[12:13], v[8:9]
	v_fmac_f64_e32 v[10:11], v[10:11], v[14:15]
	v_fmac_f64_e32 v[12:13], v[16:17], v[10:11]
	v_fma_f64 v[14:15], -v[12:13], v[12:13], v[8:9]
	v_fmac_f64_e32 v[12:13], v[14:15], v[10:11]
	v_cndmask_b32_e32 v10, 0, v50, vcc
	v_ldexp_f64 v[10:11], v[12:13], v10
	v_cmp_class_f64_e32 vcc, v[8:9], v49
	v_cndmask_b32_e32 v9, v11, v9, vcc
	v_cndmask_b32_e32 v8, v10, v8, vcc
	v_mul_f64 v[10:11], v[6:7], v[8:9]
	s_or_b64 exec, exec, s[52:53]
	v_cmp_class_f64_e64 s[54:55], v[10:11], s68
	s_and_saveexec_b64 s[52:53], s[54:55]
	s_cbranch_execz .LBB55_10
.LBB55_95:                              ;   in Loop: Header=BB55_12 Depth=3
	v_cmp_lt_f64_e32 vcc, v[2:3], v[10:11]
	v_cndmask_b32_e32 v3, v3, v11, vcc
	v_cndmask_b32_e32 v2, v2, v10, vcc
	s_branch .LBB55_10
.LBB55_96:                              ;   in Loop: Header=BB55_12 Depth=3
	s_or_b64 exec, exec, s[92:93]
	s_and_saveexec_b64 s[52:53], s[90:91]
	s_xor_b64 s[52:53], exec, s[52:53]
	s_cbranch_execz .LBB55_98
; %bb.97:                               ;   in Loop: Header=BB55_12 Depth=3
	v_lshlrev_b64 v[10:11], 4, v[10:11]
	v_mov_b32_e32 v12, s43
	v_add_co_u32_e32 v14, vcc, s42, v10
	v_addc_co_u32_e32 v15, vcc, v12, v11, vcc
	v_lshlrev_b64 v[10:11], 4, v[26:27]
	v_mov_b32_e32 v12, s57
	v_add_co_u32_e32 v10, vcc, s56, v10
	v_addc_co_u32_e32 v11, vcc, v12, v11, vcc
	global_load_dwordx4 v[10:13], v[10:11], off
	s_nop 0
	global_load_dwordx4 v[14:17], v[14:15], off
	s_waitcnt vmcnt(0)
	v_mul_f64 v[32:33], v[12:13], -v[16:17]
	v_mul_f64 v[12:13], v[12:13], v[14:15]
	v_fmac_f64_e32 v[32:33], v[14:15], v[10:11]
	v_fmac_f64_e32 v[12:13], v[16:17], v[10:11]
	v_add_f64 v[28:29], v[28:29], v[32:33]
	v_add_f64 v[30:31], v[30:31], v[12:13]
.LBB55_98:                              ;   in Loop: Header=BB55_12 Depth=3
	s_or_b64 exec, exec, s[52:53]
.LBB55_99:                              ;   in Loop: Header=BB55_12 Depth=3
	s_or_b64 exec, exec, s[88:89]
                                        ; implicit-def: $vgpr34
                                        ; implicit-def: $vgpr32
                                        ; implicit-def: $vgpr55
	s_andn2_saveexec_b64 s[86:87], s[86:87]
	s_cbranch_execz .LBB55_81
.LBB55_100:                             ;   in Loop: Header=BB55_12 Depth=3
	s_mov_b64 s[90:91], 0
                                        ; implicit-def: $sgpr88_sgpr89
                                        ; implicit-def: $sgpr92_sgpr93
                                        ; implicit-def: $sgpr64_sgpr65
	s_branch .LBB55_102
.LBB55_101:                             ;   in Loop: Header=BB55_102 Depth=4
	s_or_b64 exec, exec, s[52:53]
	s_and_b64 s[52:53], exec, s[92:93]
	s_or_b64 s[90:91], s[52:53], s[90:91]
	s_andn2_b64 s[52:53], s[88:89], exec
	s_and_b64 s[54:55], s[64:65], exec
	s_or_b64 s[88:89], s[52:53], s[54:55]
	s_andn2_b64 exec, exec, s[90:91]
	s_cbranch_execz .LBB55_104
.LBB55_102:                             ;   Parent Loop BB55_3 Depth=1
                                        ;     Parent Loop BB55_7 Depth=2
                                        ;       Parent Loop BB55_12 Depth=3
                                        ; =>      This Inner Loop Header: Depth=4
	v_add_u32_e32 v10, v32, v34
	v_ashrrev_i32_e32 v11, 31, v10
	v_lshlrev_b64 v[12:13], 2, v[10:11]
	v_mov_b32_e32 v14, s25
	v_add_co_u32_e32 v12, vcc, s24, v12
	v_addc_co_u32_e32 v13, vcc, v14, v13, vcc
	global_load_dword v12, v[12:13], off
	s_or_b64 s[64:65], s[64:65], exec
	s_or_b64 s[92:93], s[92:93], exec
	s_waitcnt vmcnt(0)
	v_subrev_u32_e32 v12, s30, v12
	v_cmp_ne_u32_e32 vcc, v12, v20
	s_and_saveexec_b64 s[52:53], vcc
	s_cbranch_execz .LBB55_101
; %bb.103:                              ;   in Loop: Header=BB55_102 Depth=4
	v_add_u32_e32 v34, 1, v34
	v_cmp_ge_i32_e32 vcc, v34, v55
	s_andn2_b64 s[54:55], s[92:93], exec
	s_and_b64 s[70:71], vcc, exec
	s_andn2_b64 s[64:65], s[64:65], exec
	s_or_b64 s[92:93], s[54:55], s[70:71]
	s_branch .LBB55_101
.LBB55_104:                             ;   in Loop: Header=BB55_12 Depth=3
	s_or_b64 exec, exec, s[90:91]
	s_and_saveexec_b64 s[52:53], s[88:89]
	s_xor_b64 s[52:53], exec, s[52:53]
	s_cbranch_execz .LBB55_106
; %bb.105:                              ;   in Loop: Header=BB55_12 Depth=3
	v_lshlrev_b64 v[10:11], 4, v[10:11]
	v_mov_b32_e32 v12, s27
	v_add_co_u32_e32 v10, vcc, s26, v10
	v_addc_co_u32_e32 v11, vcc, v12, v11, vcc
	global_load_dwordx4 v[10:13], v[10:11], off
	s_waitcnt vmcnt(0)
	v_add_f64 v[28:29], v[28:29], v[10:11]
	v_add_f64 v[30:31], v[30:31], v[12:13]
.LBB55_106:                             ;   in Loop: Header=BB55_12 Depth=3
	s_or_b64 exec, exec, s[52:53]
	s_or_b64 exec, exec, s[86:87]
	v_cmp_eq_u32_e32 vcc, v20, v26
	s_and_saveexec_b64 s[52:53], vcc
	s_cbranch_execnz .LBB55_82
	s_branch .LBB55_83
.LBB55_107:                             ;   in Loop: Header=BB55_12 Depth=3
	v_cmp_neq_f64_e32 vcc, 0, v[16:17]
	v_pk_mov_b32 v[14:15], 0, 0
	s_and_saveexec_b64 s[52:53], vcc
	s_cbranch_execz .LBB55_109
; %bb.108:                              ;   in Loop: Header=BB55_12 Depth=3
	v_div_scale_f64 v[14:15], s[54:55], v[12:13], v[12:13], v[10:11]
	v_rcp_f64_e32 v[16:17], v[14:15]
	v_div_scale_f64 v[36:37], vcc, v[10:11], v[12:13], v[10:11]
	v_fma_f64 v[38:39], -v[14:15], v[16:17], 1.0
	v_fmac_f64_e32 v[16:17], v[16:17], v[38:39]
	v_fma_f64 v[38:39], -v[14:15], v[16:17], 1.0
	v_fmac_f64_e32 v[16:17], v[16:17], v[38:39]
	v_mul_f64 v[38:39], v[36:37], v[16:17]
	v_fma_f64 v[14:15], -v[14:15], v[38:39], v[36:37]
	v_div_fmas_f64 v[14:15], v[14:15], v[16:17], v[38:39]
	v_div_fixup_f64 v[10:11], v[14:15], v[12:13], v[10:11]
	v_fma_f64 v[10:11], v[10:11], v[10:11], 1.0
	v_cmp_gt_f64_e32 vcc, s[78:79], v[10:11]
	v_cndmask_b32_e64 v14, 0, 1, vcc
	v_lshlrev_b32_e32 v14, 8, v14
	v_ldexp_f64 v[10:11], v[10:11], v14
	v_rsq_f64_e32 v[14:15], v[10:11]
	v_mul_f64 v[16:17], v[10:11], v[14:15]
	v_mul_f64 v[14:15], v[14:15], 0.5
	v_fma_f64 v[36:37], -v[14:15], v[16:17], 0.5
	v_fmac_f64_e32 v[16:17], v[16:17], v[36:37]
	v_fmac_f64_e32 v[14:15], v[14:15], v[36:37]
	v_fma_f64 v[36:37], -v[16:17], v[16:17], v[10:11]
	v_fmac_f64_e32 v[16:17], v[36:37], v[14:15]
	v_fma_f64 v[36:37], -v[16:17], v[16:17], v[10:11]
	v_fmac_f64_e32 v[16:17], v[36:37], v[14:15]
	v_cndmask_b32_e32 v14, 0, v50, vcc
	v_ldexp_f64 v[14:15], v[16:17], v14
	v_cmp_class_f64_e32 vcc, v[10:11], v49
	v_cndmask_b32_e32 v11, v15, v11, vcc
	v_cndmask_b32_e32 v10, v14, v10, vcc
	v_mul_f64 v[14:15], v[12:13], v[10:11]
.LBB55_109:                             ;   in Loop: Header=BB55_12 Depth=3
	s_or_b64 exec, exec, s[52:53]
                                        ; implicit-def: $vgpr10_vgpr11
                                        ; implicit-def: $vgpr12_vgpr13
	s_andn2_saveexec_b64 s[52:53], s[64:65]
	s_cbranch_execz .LBB55_43
.LBB55_110:                             ;   in Loop: Header=BB55_12 Depth=3
	v_div_scale_f64 v[14:15], s[54:55], v[10:11], v[10:11], v[12:13]
	v_rcp_f64_e32 v[16:17], v[14:15]
	v_div_scale_f64 v[36:37], vcc, v[12:13], v[10:11], v[12:13]
	v_fma_f64 v[38:39], -v[14:15], v[16:17], 1.0
	v_fmac_f64_e32 v[16:17], v[16:17], v[38:39]
	v_fma_f64 v[38:39], -v[14:15], v[16:17], 1.0
	v_fmac_f64_e32 v[16:17], v[16:17], v[38:39]
	v_mul_f64 v[38:39], v[36:37], v[16:17]
	v_fma_f64 v[14:15], -v[14:15], v[38:39], v[36:37]
	v_div_fmas_f64 v[14:15], v[14:15], v[16:17], v[38:39]
	v_div_fixup_f64 v[12:13], v[14:15], v[10:11], v[12:13]
	v_fma_f64 v[12:13], v[12:13], v[12:13], 1.0
	v_cmp_gt_f64_e32 vcc, s[78:79], v[12:13]
	v_cndmask_b32_e64 v14, 0, 1, vcc
	v_lshlrev_b32_e32 v14, 8, v14
	v_ldexp_f64 v[12:13], v[12:13], v14
	v_rsq_f64_e32 v[14:15], v[12:13]
	v_mul_f64 v[16:17], v[12:13], v[14:15]
	v_mul_f64 v[14:15], v[14:15], 0.5
	v_fma_f64 v[36:37], -v[14:15], v[16:17], 0.5
	v_fmac_f64_e32 v[16:17], v[16:17], v[36:37]
	v_fma_f64 v[38:39], -v[16:17], v[16:17], v[12:13]
	v_fmac_f64_e32 v[14:15], v[14:15], v[36:37]
	v_fmac_f64_e32 v[16:17], v[38:39], v[14:15]
	v_fma_f64 v[36:37], -v[16:17], v[16:17], v[12:13]
	v_fmac_f64_e32 v[16:17], v[36:37], v[14:15]
	v_cndmask_b32_e32 v14, 0, v50, vcc
	v_ldexp_f64 v[14:15], v[16:17], v14
	v_cmp_class_f64_e32 vcc, v[12:13], v49
	v_cndmask_b32_e32 v13, v15, v13, vcc
	v_cndmask_b32_e32 v12, v14, v12, vcc
	v_mul_f64 v[14:15], v[10:11], v[12:13]
	s_or_b64 exec, exec, s[52:53]
	v_cmp_class_f64_e64 s[54:55], v[14:15], s68
	s_and_saveexec_b64 s[52:53], s[54:55]
	s_cbranch_execnz .LBB55_44
	s_branch .LBB55_45
.LBB55_111:                             ;   in Loop: Header=BB55_12 Depth=3
	v_cmp_neq_f64_e32 vcc, 0, v[16:17]
	v_pk_mov_b32 v[14:15], 0, 0
	s_and_saveexec_b64 s[52:53], vcc
	s_cbranch_execz .LBB55_113
; %bb.112:                              ;   in Loop: Header=BB55_12 Depth=3
	v_div_scale_f64 v[14:15], s[54:55], v[12:13], v[12:13], v[10:11]
	v_rcp_f64_e32 v[16:17], v[14:15]
	v_div_scale_f64 v[36:37], vcc, v[10:11], v[12:13], v[10:11]
	v_fma_f64 v[38:39], -v[14:15], v[16:17], 1.0
	v_fmac_f64_e32 v[16:17], v[16:17], v[38:39]
	v_fma_f64 v[38:39], -v[14:15], v[16:17], 1.0
	v_fmac_f64_e32 v[16:17], v[16:17], v[38:39]
	v_mul_f64 v[38:39], v[36:37], v[16:17]
	v_fma_f64 v[14:15], -v[14:15], v[38:39], v[36:37]
	v_div_fmas_f64 v[14:15], v[14:15], v[16:17], v[38:39]
	v_div_fixup_f64 v[10:11], v[14:15], v[12:13], v[10:11]
	v_fma_f64 v[10:11], v[10:11], v[10:11], 1.0
	v_cmp_gt_f64_e32 vcc, s[78:79], v[10:11]
	v_cndmask_b32_e64 v14, 0, 1, vcc
	v_lshlrev_b32_e32 v14, 8, v14
	v_ldexp_f64 v[10:11], v[10:11], v14
	v_rsq_f64_e32 v[14:15], v[10:11]
	v_mul_f64 v[16:17], v[10:11], v[14:15]
	v_mul_f64 v[14:15], v[14:15], 0.5
	v_fma_f64 v[36:37], -v[14:15], v[16:17], 0.5
	v_fmac_f64_e32 v[16:17], v[16:17], v[36:37]
	v_fmac_f64_e32 v[14:15], v[14:15], v[36:37]
	v_fma_f64 v[36:37], -v[16:17], v[16:17], v[10:11]
	v_fmac_f64_e32 v[16:17], v[36:37], v[14:15]
	v_fma_f64 v[36:37], -v[16:17], v[16:17], v[10:11]
	v_fmac_f64_e32 v[16:17], v[36:37], v[14:15]
	v_cndmask_b32_e32 v14, 0, v50, vcc
	v_ldexp_f64 v[14:15], v[16:17], v14
	v_cmp_class_f64_e32 vcc, v[10:11], v49
	v_cndmask_b32_e32 v11, v15, v11, vcc
	v_cndmask_b32_e32 v10, v14, v10, vcc
	v_mul_f64 v[14:15], v[12:13], v[10:11]
.LBB55_113:                             ;   in Loop: Header=BB55_12 Depth=3
	s_or_b64 exec, exec, s[52:53]
                                        ; implicit-def: $vgpr10_vgpr11
                                        ; implicit-def: $vgpr12_vgpr13
	s_andn2_saveexec_b64 s[52:53], s[64:65]
	s_cbranch_execz .LBB55_73
.LBB55_114:                             ;   in Loop: Header=BB55_12 Depth=3
	v_div_scale_f64 v[14:15], s[54:55], v[10:11], v[10:11], v[12:13]
	v_rcp_f64_e32 v[16:17], v[14:15]
	v_div_scale_f64 v[36:37], vcc, v[12:13], v[10:11], v[12:13]
	v_fma_f64 v[38:39], -v[14:15], v[16:17], 1.0
	v_fmac_f64_e32 v[16:17], v[16:17], v[38:39]
	v_fma_f64 v[38:39], -v[14:15], v[16:17], 1.0
	v_fmac_f64_e32 v[16:17], v[16:17], v[38:39]
	v_mul_f64 v[38:39], v[36:37], v[16:17]
	v_fma_f64 v[14:15], -v[14:15], v[38:39], v[36:37]
	v_div_fmas_f64 v[14:15], v[14:15], v[16:17], v[38:39]
	v_div_fixup_f64 v[12:13], v[14:15], v[10:11], v[12:13]
	v_fma_f64 v[12:13], v[12:13], v[12:13], 1.0
	v_cmp_gt_f64_e32 vcc, s[78:79], v[12:13]
	v_cndmask_b32_e64 v14, 0, 1, vcc
	v_lshlrev_b32_e32 v14, 8, v14
	v_ldexp_f64 v[12:13], v[12:13], v14
	v_rsq_f64_e32 v[14:15], v[12:13]
	v_mul_f64 v[16:17], v[12:13], v[14:15]
	v_mul_f64 v[14:15], v[14:15], 0.5
	v_fma_f64 v[36:37], -v[14:15], v[16:17], 0.5
	v_fmac_f64_e32 v[16:17], v[16:17], v[36:37]
	v_fmac_f64_e32 v[14:15], v[14:15], v[36:37]
	v_fma_f64 v[36:37], -v[16:17], v[16:17], v[12:13]
	v_fmac_f64_e32 v[16:17], v[36:37], v[14:15]
	v_fma_f64 v[36:37], -v[16:17], v[16:17], v[12:13]
	v_fmac_f64_e32 v[16:17], v[36:37], v[14:15]
	v_cndmask_b32_e32 v14, 0, v50, vcc
	v_ldexp_f64 v[14:15], v[16:17], v14
	v_cmp_class_f64_e32 vcc, v[12:13], v49
	v_cndmask_b32_e32 v13, v15, v13, vcc
	v_cndmask_b32_e32 v12, v14, v12, vcc
	v_mul_f64 v[14:15], v[10:11], v[12:13]
	s_or_b64 exec, exec, s[52:53]
	v_cmp_class_f64_e64 s[54:55], v[14:15], s68
	s_and_saveexec_b64 s[52:53], s[54:55]
	s_cbranch_execnz .LBB55_74
	s_branch .LBB55_75
.LBB55_115:                             ;   in Loop: Header=BB55_12 Depth=3
	v_cmp_neq_f64_e32 vcc, 0, v[16:17]
	v_pk_mov_b32 v[14:15], 0, 0
	s_and_saveexec_b64 s[52:53], vcc
	s_cbranch_execz .LBB55_117
; %bb.116:                              ;   in Loop: Header=BB55_12 Depth=3
	v_div_scale_f64 v[14:15], s[54:55], v[12:13], v[12:13], v[10:11]
	v_rcp_f64_e32 v[16:17], v[14:15]
	v_div_scale_f64 v[36:37], vcc, v[10:11], v[12:13], v[10:11]
	v_fma_f64 v[38:39], -v[14:15], v[16:17], 1.0
	v_fmac_f64_e32 v[16:17], v[16:17], v[38:39]
	v_fma_f64 v[38:39], -v[14:15], v[16:17], 1.0
	v_fmac_f64_e32 v[16:17], v[16:17], v[38:39]
	v_mul_f64 v[38:39], v[36:37], v[16:17]
	v_fma_f64 v[14:15], -v[14:15], v[38:39], v[36:37]
	v_div_fmas_f64 v[14:15], v[14:15], v[16:17], v[38:39]
	v_div_fixup_f64 v[10:11], v[14:15], v[12:13], v[10:11]
	v_fma_f64 v[10:11], v[10:11], v[10:11], 1.0
	v_cmp_gt_f64_e32 vcc, s[78:79], v[10:11]
	v_cndmask_b32_e64 v14, 0, 1, vcc
	v_lshlrev_b32_e32 v14, 8, v14
	v_ldexp_f64 v[10:11], v[10:11], v14
	v_rsq_f64_e32 v[14:15], v[10:11]
	v_mul_f64 v[16:17], v[10:11], v[14:15]
	v_mul_f64 v[14:15], v[14:15], 0.5
	v_fma_f64 v[36:37], -v[14:15], v[16:17], 0.5
	v_fmac_f64_e32 v[16:17], v[16:17], v[36:37]
	v_fmac_f64_e32 v[14:15], v[14:15], v[36:37]
	v_fma_f64 v[36:37], -v[16:17], v[16:17], v[10:11]
	v_fmac_f64_e32 v[16:17], v[36:37], v[14:15]
	v_fma_f64 v[36:37], -v[16:17], v[16:17], v[10:11]
	v_fmac_f64_e32 v[16:17], v[36:37], v[14:15]
	v_cndmask_b32_e32 v14, 0, v50, vcc
	v_ldexp_f64 v[14:15], v[16:17], v14
	v_cmp_class_f64_e32 vcc, v[10:11], v49
	v_cndmask_b32_e32 v11, v15, v11, vcc
	v_cndmask_b32_e32 v10, v14, v10, vcc
	v_mul_f64 v[14:15], v[12:13], v[10:11]
.LBB55_117:                             ;   in Loop: Header=BB55_12 Depth=3
	s_or_b64 exec, exec, s[52:53]
                                        ; implicit-def: $vgpr10_vgpr11
                                        ; implicit-def: $vgpr12_vgpr13
	s_andn2_saveexec_b64 s[52:53], s[64:65]
	s_cbranch_execz .LBB55_57
.LBB55_118:                             ;   in Loop: Header=BB55_12 Depth=3
	v_div_scale_f64 v[14:15], s[54:55], v[10:11], v[10:11], v[12:13]
	v_rcp_f64_e32 v[16:17], v[14:15]
	v_div_scale_f64 v[36:37], vcc, v[12:13], v[10:11], v[12:13]
	v_fma_f64 v[38:39], -v[14:15], v[16:17], 1.0
	v_fmac_f64_e32 v[16:17], v[16:17], v[38:39]
	v_fma_f64 v[38:39], -v[14:15], v[16:17], 1.0
	v_fmac_f64_e32 v[16:17], v[16:17], v[38:39]
	v_mul_f64 v[38:39], v[36:37], v[16:17]
	v_fma_f64 v[14:15], -v[14:15], v[38:39], v[36:37]
	v_div_fmas_f64 v[14:15], v[14:15], v[16:17], v[38:39]
	v_div_fixup_f64 v[12:13], v[14:15], v[10:11], v[12:13]
	v_fma_f64 v[12:13], v[12:13], v[12:13], 1.0
	v_cmp_gt_f64_e32 vcc, s[78:79], v[12:13]
	v_cndmask_b32_e64 v14, 0, 1, vcc
	v_lshlrev_b32_e32 v14, 8, v14
	v_ldexp_f64 v[12:13], v[12:13], v14
	v_rsq_f64_e32 v[14:15], v[12:13]
	v_mul_f64 v[16:17], v[12:13], v[14:15]
	v_mul_f64 v[14:15], v[14:15], 0.5
	v_fma_f64 v[36:37], -v[14:15], v[16:17], 0.5
	v_fmac_f64_e32 v[16:17], v[16:17], v[36:37]
	v_fmac_f64_e32 v[14:15], v[14:15], v[36:37]
	v_fma_f64 v[36:37], -v[16:17], v[16:17], v[12:13]
	v_fmac_f64_e32 v[16:17], v[36:37], v[14:15]
	v_fma_f64 v[36:37], -v[16:17], v[16:17], v[12:13]
	v_fmac_f64_e32 v[16:17], v[36:37], v[14:15]
	v_cndmask_b32_e32 v14, 0, v50, vcc
	v_ldexp_f64 v[14:15], v[16:17], v14
	v_cmp_class_f64_e32 vcc, v[12:13], v49
	v_cndmask_b32_e32 v13, v15, v13, vcc
	v_cndmask_b32_e32 v12, v14, v12, vcc
	v_mul_f64 v[14:15], v[10:11], v[12:13]
	s_or_b64 exec, exec, s[52:53]
	v_cmp_class_f64_e64 s[54:55], v[14:15], s68
	s_and_saveexec_b64 s[52:53], s[54:55]
	s_cbranch_execnz .LBB55_58
	s_branch .LBB55_59
.LBB55_119:                             ;   in Loop: Header=BB55_3 Depth=1
	s_and_b64 vcc, exec, s[34:35]
	s_cbranch_vccnz .LBB55_122
; %bb.120:                              ;   in Loop: Header=BB55_3 Depth=1
	s_andn2_b64 vcc, exec, s[18:19]
	s_cbranch_vccz .LBB55_133
.LBB55_121:                             ;   in Loop: Header=BB55_3 Depth=1
	s_and_saveexec_b64 s[14:15], s[0:1]
	s_cbranch_execnz .LBB55_144
	s_branch .LBB55_155
.LBB55_122:                             ;   in Loop: Header=BB55_3 Depth=1
	v_mov_b32_dpp v6, v4 row_shr:1 row_mask:0xf bank_mask:0xf
	v_mov_b32_dpp v7, v5 row_shr:1 row_mask:0xf bank_mask:0xf
	v_cmp_lt_f64_e32 vcc, v[4:5], v[6:7]
	v_cndmask_b32_e32 v5, v5, v7, vcc
	v_cndmask_b32_e32 v4, v4, v6, vcc
	s_nop 0
	v_mov_b32_dpp v7, v5 row_shr:2 row_mask:0xf bank_mask:0xf
	v_mov_b32_dpp v6, v4 row_shr:2 row_mask:0xf bank_mask:0xf
	v_cmp_lt_f64_e32 vcc, v[4:5], v[6:7]
	v_cndmask_b32_e32 v5, v5, v7, vcc
	v_cndmask_b32_e32 v4, v4, v6, vcc
	s_nop 0
	;; [unrolled: 6-line block ×4, first 2 shown]
	v_mov_b32_dpp v7, v5 row_bcast:15 row_mask:0xa bank_mask:0xf
	v_mov_b32_dpp v6, v4 row_bcast:15 row_mask:0xa bank_mask:0xf
	v_cmp_lt_f64_e32 vcc, v[4:5], v[6:7]
	v_cndmask_b32_e32 v5, v5, v7, vcc
	v_cndmask_b32_e32 v4, v4, v6, vcc
	s_nop 0
	v_mov_b32_dpp v7, v5 row_bcast:31 row_mask:0xc bank_mask:0xf
	v_mov_b32_dpp v6, v4 row_bcast:31 row_mask:0xc bank_mask:0xf
	s_and_saveexec_b64 s[14:15], s[2:3]
	s_cbranch_execz .LBB55_124
; %bb.123:                              ;   in Loop: Header=BB55_3 Depth=1
	v_cmp_lt_f64_e32 vcc, v[4:5], v[6:7]
	v_cndmask_b32_e32 v5, v5, v7, vcc
	v_cndmask_b32_e32 v4, v4, v6, vcc
	ds_write_b64 v46, v[4:5]
.LBB55_124:                             ;   in Loop: Header=BB55_3 Depth=1
	s_or_b64 exec, exec, s[14:15]
	s_waitcnt lgkmcnt(0)
	s_barrier
	s_and_saveexec_b64 s[14:15], s[4:5]
	s_cbranch_execz .LBB55_126
; %bb.125:                              ;   in Loop: Header=BB55_3 Depth=1
	ds_read2_b64 v[4:7], v44 offset1:8
	s_waitcnt lgkmcnt(0)
	v_cmp_lt_f64_e32 vcc, v[4:5], v[6:7]
	v_cndmask_b32_e32 v5, v5, v7, vcc
	v_cndmask_b32_e32 v4, v4, v6, vcc
	ds_write_b64 v44, v[4:5]
.LBB55_126:                             ;   in Loop: Header=BB55_3 Depth=1
	s_or_b64 exec, exec, s[14:15]
	s_waitcnt lgkmcnt(0)
	s_barrier
	s_and_saveexec_b64 s[14:15], s[6:7]
	s_cbranch_execz .LBB55_128
; %bb.127:                              ;   in Loop: Header=BB55_3 Depth=1
	ds_read2_b64 v[4:7], v44 offset1:4
	s_waitcnt lgkmcnt(0)
	v_cmp_lt_f64_e32 vcc, v[4:5], v[6:7]
	v_cndmask_b32_e32 v5, v5, v7, vcc
	v_cndmask_b32_e32 v4, v4, v6, vcc
	ds_write_b64 v44, v[4:5]
.LBB55_128:                             ;   in Loop: Header=BB55_3 Depth=1
	;; [unrolled: 13-line block ×3, first 2 shown]
	s_or_b64 exec, exec, s[14:15]
	s_waitcnt lgkmcnt(0)
	s_barrier
	s_and_saveexec_b64 s[14:15], s[10:11]
	s_cbranch_execz .LBB55_132
; %bb.131:                              ;   in Loop: Header=BB55_3 Depth=1
	ds_read_b128 v[4:7], v19
	s_waitcnt lgkmcnt(0)
	v_cmp_lt_f64_e32 vcc, v[4:5], v[6:7]
	v_cndmask_b32_e32 v5, v5, v7, vcc
	v_cndmask_b32_e32 v4, v4, v6, vcc
	ds_write_b64 v19, v[4:5]
.LBB55_132:                             ;   in Loop: Header=BB55_3 Depth=1
	s_or_b64 exec, exec, s[14:15]
	v_readlane_b32 s14, v62, 10
	v_readlane_b32 s15, v62, 11
	s_waitcnt lgkmcnt(0)
	s_barrier
	ds_read_b64 v[4:5], v19
	s_load_dwordx2 s[14:15], s[14:15], 0x0
	s_waitcnt lgkmcnt(0)
	v_div_scale_f64 v[6:7], s[16:17], s[14:15], s[14:15], v[4:5]
	v_rcp_f64_e32 v[8:9], v[6:7]
	v_div_scale_f64 v[10:11], vcc, v[4:5], s[14:15], v[4:5]
	v_fma_f64 v[12:13], -v[6:7], v[8:9], 1.0
	v_fmac_f64_e32 v[8:9], v[8:9], v[12:13]
	v_fma_f64 v[12:13], -v[6:7], v[8:9], 1.0
	v_fmac_f64_e32 v[8:9], v[8:9], v[12:13]
	v_mul_f64 v[12:13], v[10:11], v[8:9]
	v_fma_f64 v[6:7], -v[6:7], v[12:13], v[10:11]
	v_div_fmas_f64 v[6:7], v[6:7], v[8:9], v[12:13]
	v_div_fixup_f64 v[4:5], v[6:7], s[14:15], v[4:5]
	s_andn2_b64 vcc, exec, s[18:19]
	s_cbranch_vccnz .LBB55_121
.LBB55_133:                             ;   in Loop: Header=BB55_3 Depth=1
	v_mov_b32_dpp v6, v2 row_shr:1 row_mask:0xf bank_mask:0xf
	v_mov_b32_dpp v7, v3 row_shr:1 row_mask:0xf bank_mask:0xf
	v_cmp_lt_f64_e32 vcc, v[2:3], v[6:7]
	v_cndmask_b32_e32 v3, v3, v7, vcc
	v_cndmask_b32_e32 v2, v2, v6, vcc
	s_nop 0
	v_mov_b32_dpp v7, v3 row_shr:2 row_mask:0xf bank_mask:0xf
	v_mov_b32_dpp v6, v2 row_shr:2 row_mask:0xf bank_mask:0xf
	v_cmp_lt_f64_e32 vcc, v[2:3], v[6:7]
	v_cndmask_b32_e32 v3, v3, v7, vcc
	v_cndmask_b32_e32 v2, v2, v6, vcc
	s_nop 0
	;; [unrolled: 6-line block ×4, first 2 shown]
	v_mov_b32_dpp v7, v3 row_bcast:15 row_mask:0xa bank_mask:0xf
	v_mov_b32_dpp v6, v2 row_bcast:15 row_mask:0xa bank_mask:0xf
	v_cmp_lt_f64_e32 vcc, v[2:3], v[6:7]
	v_cndmask_b32_e32 v3, v3, v7, vcc
	v_cndmask_b32_e32 v2, v2, v6, vcc
	s_nop 0
	v_mov_b32_dpp v7, v3 row_bcast:31 row_mask:0xc bank_mask:0xf
	v_mov_b32_dpp v6, v2 row_bcast:31 row_mask:0xc bank_mask:0xf
	s_and_saveexec_b64 s[14:15], s[2:3]
	s_cbranch_execz .LBB55_135
; %bb.134:                              ;   in Loop: Header=BB55_3 Depth=1
	v_cmp_lt_f64_e32 vcc, v[2:3], v[6:7]
	v_cndmask_b32_e32 v3, v3, v7, vcc
	v_cndmask_b32_e32 v2, v2, v6, vcc
	ds_write_b64 v46, v[2:3]
.LBB55_135:                             ;   in Loop: Header=BB55_3 Depth=1
	s_or_b64 exec, exec, s[14:15]
	s_waitcnt lgkmcnt(0)
	s_barrier
	s_and_saveexec_b64 s[14:15], s[4:5]
	s_cbranch_execz .LBB55_137
; %bb.136:                              ;   in Loop: Header=BB55_3 Depth=1
	ds_read2_b64 v[6:9], v44 offset1:8
	s_waitcnt lgkmcnt(0)
	v_cmp_lt_f64_e32 vcc, v[6:7], v[8:9]
	v_cndmask_b32_e32 v3, v7, v9, vcc
	v_cndmask_b32_e32 v2, v6, v8, vcc
	ds_write_b64 v44, v[2:3]
.LBB55_137:                             ;   in Loop: Header=BB55_3 Depth=1
	s_or_b64 exec, exec, s[14:15]
	s_waitcnt lgkmcnt(0)
	s_barrier
	s_and_saveexec_b64 s[14:15], s[6:7]
	s_cbranch_execz .LBB55_139
; %bb.138:                              ;   in Loop: Header=BB55_3 Depth=1
	ds_read2_b64 v[6:9], v44 offset1:4
	s_waitcnt lgkmcnt(0)
	v_cmp_lt_f64_e32 vcc, v[6:7], v[8:9]
	v_cndmask_b32_e32 v3, v7, v9, vcc
	v_cndmask_b32_e32 v2, v6, v8, vcc
	ds_write_b64 v44, v[2:3]
.LBB55_139:                             ;   in Loop: Header=BB55_3 Depth=1
	;; [unrolled: 13-line block ×3, first 2 shown]
	s_or_b64 exec, exec, s[14:15]
	s_waitcnt lgkmcnt(0)
	s_barrier
	s_and_saveexec_b64 s[14:15], s[10:11]
	s_cbranch_execz .LBB55_143
; %bb.142:                              ;   in Loop: Header=BB55_3 Depth=1
	ds_read_b128 v[6:9], v19
	s_waitcnt lgkmcnt(0)
	v_cmp_lt_f64_e32 vcc, v[6:7], v[8:9]
	v_cndmask_b32_e32 v3, v7, v9, vcc
	v_cndmask_b32_e32 v2, v6, v8, vcc
	ds_write_b64 v19, v[2:3]
.LBB55_143:                             ;   in Loop: Header=BB55_3 Depth=1
	s_or_b64 exec, exec, s[14:15]
	v_readlane_b32 s14, v62, 10
	v_readlane_b32 s15, v62, 11
	s_waitcnt lgkmcnt(0)
	s_barrier
	ds_read_b64 v[2:3], v19
	s_load_dwordx2 s[14:15], s[14:15], 0x0
	s_waitcnt lgkmcnt(0)
	v_div_scale_f64 v[6:7], s[16:17], s[14:15], s[14:15], v[2:3]
	v_rcp_f64_e32 v[8:9], v[6:7]
	v_div_scale_f64 v[10:11], vcc, v[2:3], s[14:15], v[2:3]
	v_fma_f64 v[12:13], -v[6:7], v[8:9], 1.0
	v_fmac_f64_e32 v[8:9], v[8:9], v[12:13]
	v_fma_f64 v[12:13], -v[6:7], v[8:9], 1.0
	v_fmac_f64_e32 v[8:9], v[8:9], v[12:13]
	v_mul_f64 v[12:13], v[10:11], v[8:9]
	v_fma_f64 v[6:7], -v[6:7], v[12:13], v[10:11]
	v_div_fmas_f64 v[6:7], v[6:7], v[8:9], v[12:13]
	v_div_fixup_f64 v[2:3], v[6:7], s[14:15], v[2:3]
	s_and_saveexec_b64 s[14:15], s[0:1]
	s_cbranch_execz .LBB55_155
.LBB55_144:                             ;   in Loop: Header=BB55_3 Depth=1
	s_mov_b64 s[16:17], 0
	v_mov_b32_e32 v6, v43
	s_branch .LBB55_146
.LBB55_145:                             ;   in Loop: Header=BB55_146 Depth=2
	s_or_b64 exec, exec, s[80:81]
	v_add_u32_e32 v6, 16, v6
	v_cmp_le_u32_e32 vcc, s31, v6
	s_or_b64 s[16:17], vcc, s[16:17]
	s_andn2_b64 exec, exec, s[16:17]
	s_cbranch_execz .LBB55_155
.LBB55_146:                             ;   Parent Loop BB55_3 Depth=1
                                        ; =>  This Loop Header: Depth=2
                                        ;       Child Loop BB55_149 Depth 3
                                        ;       Child Loop BB55_152 Depth 3
	v_cmp_gt_i32_e32 vcc, s33, v6
	s_and_saveexec_b64 s[80:81], vcc
	s_cbranch_execz .LBB55_145
; %bb.147:                              ;   in Loop: Header=BB55_146 Depth=2
	v_ashrrev_i32_e32 v7, 31, v6
	v_lshlrev_b64 v[8:9], 2, v[6:7]
	v_mov_b32_e32 v11, s37
	v_add_co_u32_e32 v10, vcc, s36, v8
	v_addc_co_u32_e32 v11, vcc, v11, v9, vcc
	global_load_dword v12, v[10:11], off
	v_mov_b32_e32 v11, s39
	v_add_co_u32_e32 v10, vcc, s38, v8
	v_addc_co_u32_e32 v11, vcc, v11, v9, vcc
	global_load_dword v11, v[10:11], off
	s_waitcnt vmcnt(1)
	v_add_u32_e32 v10, v47, v12
	s_waitcnt vmcnt(0)
	v_subrev_u32_e32 v16, s29, v11
	v_cmp_lt_i32_e32 vcc, v10, v16
	s_and_saveexec_b64 s[52:53], vcc
	s_cbranch_execz .LBB55_150
; %bb.148:                              ;   in Loop: Header=BB55_146 Depth=2
	v_ashrrev_i32_e32 v11, 31, v10
	v_lshlrev_b64 v[14:15], 4, v[10:11]
	v_mov_b32_e32 v11, s43
	v_add_co_u32_e32 v12, vcc, s42, v14
	v_addc_co_u32_e32 v13, vcc, v11, v15, vcc
	v_mov_b32_e32 v11, s73
	v_add_co_u32_e32 v14, vcc, s72, v14
	v_addc_co_u32_e32 v15, vcc, v11, v15, vcc
	s_mov_b64 s[54:55], 0
.LBB55_149:                             ;   Parent Loop BB55_3 Depth=1
                                        ;     Parent Loop BB55_146 Depth=2
                                        ; =>    This Inner Loop Header: Depth=3
	global_load_dwordx4 v[20:23], v[14:15], off
	v_add_u32_e32 v10, 64, v10
	v_cmp_ge_i32_e32 vcc, v10, v16
	s_or_b64 s[54:55], vcc, s[54:55]
	s_waitcnt vmcnt(0)
	global_store_dwordx4 v[12:13], v[20:23], off
	v_add_co_u32_e32 v12, vcc, 0x400, v12
	v_addc_co_u32_e32 v13, vcc, 0, v13, vcc
	v_add_co_u32_e32 v14, vcc, 0x400, v14
	v_addc_co_u32_e32 v15, vcc, 0, v15, vcc
	s_andn2_b64 exec, exec, s[54:55]
	s_cbranch_execnz .LBB55_149
.LBB55_150:                             ;   in Loop: Header=BB55_146 Depth=2
	s_or_b64 exec, exec, s[52:53]
	v_mov_b32_e32 v11, s21
	v_add_co_u32_e32 v10, vcc, s20, v8
	v_addc_co_u32_e32 v11, vcc, v11, v9, vcc
	global_load_dword v10, v[10:11], off
	v_mov_b32_e32 v11, s23
	v_add_co_u32_e32 v8, vcc, s22, v8
	v_addc_co_u32_e32 v9, vcc, v11, v9, vcc
	global_load_dword v9, v[8:9], off
	s_waitcnt vmcnt(1)
	v_add_u32_e32 v8, v48, v10
	s_waitcnt vmcnt(0)
	v_subrev_u32_e32 v14, s30, v9
	v_cmp_lt_i32_e32 vcc, v8, v14
	s_and_saveexec_b64 s[52:53], vcc
	s_cbranch_execz .LBB55_153
; %bb.151:                              ;   in Loop: Header=BB55_146 Depth=2
	v_ashrrev_i32_e32 v9, 31, v8
	v_lshlrev_b64 v[12:13], 4, v[8:9]
	v_mov_b32_e32 v9, s27
	v_add_co_u32_e32 v10, vcc, s26, v12
	v_addc_co_u32_e32 v11, vcc, v9, v13, vcc
	v_mov_b32_e32 v9, s75
	v_add_co_u32_e32 v12, vcc, s74, v12
	v_addc_co_u32_e32 v13, vcc, v9, v13, vcc
	s_mov_b64 s[54:55], 0
.LBB55_152:                             ;   Parent Loop BB55_3 Depth=1
                                        ;     Parent Loop BB55_146 Depth=2
                                        ; =>    This Inner Loop Header: Depth=3
	global_load_dwordx4 v[20:23], v[12:13], off
	v_add_u32_e32 v8, 64, v8
	v_cmp_ge_i32_e32 vcc, v8, v14
	s_or_b64 s[54:55], vcc, s[54:55]
	s_waitcnt vmcnt(0)
	global_store_dwordx4 v[10:11], v[20:23], off
	v_add_co_u32_e32 v10, vcc, 0x400, v10
	v_addc_co_u32_e32 v11, vcc, 0, v11, vcc
	v_add_co_u32_e32 v12, vcc, 0x400, v12
	v_addc_co_u32_e32 v13, vcc, 0, v13, vcc
	s_andn2_b64 exec, exec, s[54:55]
	s_cbranch_execnz .LBB55_152
.LBB55_153:                             ;   in Loop: Header=BB55_146 Depth=2
	s_or_b64 exec, exec, s[52:53]
	s_and_b64 exec, exec, s[12:13]
	s_cbranch_execz .LBB55_145
; %bb.154:                              ;   in Loop: Header=BB55_146 Depth=2
	v_lshlrev_b64 v[12:13], 4, v[6:7]
	v_mov_b32_e32 v7, s59
	v_add_co_u32_e32 v8, vcc, s58, v12
	v_addc_co_u32_e32 v9, vcc, v7, v13, vcc
	global_load_dwordx4 v[8:11], v[8:9], off
	v_mov_b32_e32 v7, s57
	v_add_co_u32_e32 v12, vcc, s56, v12
	v_addc_co_u32_e32 v13, vcc, v7, v13, vcc
	s_waitcnt vmcnt(0)
	global_store_dwordx4 v[12:13], v[8:11], off
	s_branch .LBB55_145
.LBB55_155:                             ;   in Loop: Header=BB55_3 Depth=1
	s_or_b64 exec, exec, s[14:15]
	s_mov_b64 s[16:17], -1
	s_mov_b64 s[14:15], -1
	s_and_b64 vcc, exec, s[60:61]
	s_cbranch_vccz .LBB55_165
; %bb.156:                              ;   in Loop: Header=BB55_3 Depth=1
	s_and_b64 vcc, exec, s[76:77]
                                        ; implicit-def: $sgpr52_sgpr53
	s_cbranch_vccz .LBB55_162
; %bb.157:                              ;   in Loop: Header=BB55_3 Depth=1
	v_readlane_b32 s52, v62, 12
	v_readlane_b32 s53, v62, 13
	s_and_b64 vcc, exec, s[52:53]
                                        ; implicit-def: $sgpr52_sgpr53
	s_cbranch_vccz .LBB55_159
; %bb.158:                              ;   in Loop: Header=BB55_3 Depth=1
	v_readlane_b32 s52, v62, 0
	v_readlane_b32 s54, v62, 2
	;; [unrolled: 1-line block ×4, first 2 shown]
	v_cmp_ge_f64_e32 vcc, s[54:55], v[2:3]
	s_mov_b64 s[14:15], 0
	s_and_b64 s[52:53], vcc, exec
.LBB55_159:                             ;   in Loop: Header=BB55_3 Depth=1
	s_andn2_b64 vcc, exec, s[14:15]
	s_cbranch_vccnz .LBB55_161
; %bb.160:                              ;   in Loop: Header=BB55_3 Depth=1
	v_readlane_b32 s80, v62, 0
	v_readlane_b32 s82, v62, 2
	;; [unrolled: 1-line block ×3, first 2 shown]
	v_cmp_ge_f64_e32 vcc, s[82:83], v[4:5]
	s_andn2_b64 s[14:15], s[52:53], exec
	s_and_b64 s[52:53], vcc, exec
	s_or_b64 s[52:53], s[14:15], s[52:53]
	v_readlane_b32 s81, v62, 1
.LBB55_161:                             ;   in Loop: Header=BB55_3 Depth=1
	s_mov_b64 s[14:15], 0
.LBB55_162:                             ;   in Loop: Header=BB55_3 Depth=1
	s_andn2_b64 vcc, exec, s[14:15]
	s_cbranch_vccnz .LBB55_164
; %bb.163:                              ;   in Loop: Header=BB55_3 Depth=1
	v_readlane_b32 s80, v62, 0
	v_readlane_b32 s82, v62, 2
	;; [unrolled: 1-line block ×3, first 2 shown]
	v_cmp_ge_f64_e32 vcc, s[82:83], v[4:5]
	v_cmp_ge_f64_e64 s[14:15], s[82:83], v[2:3]
	s_and_b64 s[14:15], vcc, s[14:15]
	s_andn2_b64 s[52:53], s[52:53], exec
	s_and_b64 s[14:15], s[14:15], exec
	s_or_b64 s[52:53], s[52:53], s[14:15]
	v_readlane_b32 s81, v62, 1
.LBB55_164:                             ;   in Loop: Header=BB55_3 Depth=1
	s_xor_b64 s[14:15], s[52:53], -1
.LBB55_165:                             ;   in Loop: Header=BB55_3 Depth=1
	v_mov_b32_e32 v6, s62
	s_and_saveexec_b64 s[52:53], s[14:15]
	s_cbranch_execz .LBB55_2
; %bb.166:                              ;   in Loop: Header=BB55_3 Depth=1
	s_add_i32 s62, s62, 1
	s_cmp_eq_u32 s62, s63
	s_cselect_b64 s[14:15], -1, 0
	v_mov_b32_e32 v6, s63
	s_orn2_b64 s[16:17], s[14:15], exec
	s_branch .LBB55_2
.LBB55_167:
	s_or_b64 exec, exec, s[66:67]
	v_readlane_b32 s20, v62, 6
	v_readlane_b32 s21, v62, 7
	;; [unrolled: 1-line block ×4, first 2 shown]
.LBB55_168:
	v_readlane_b32 s0, v62, 4
	v_readlane_b32 s1, v62, 5
	s_or_b64 exec, exec, s[0:1]
	s_andn2_b64 vcc, exec, s[60:61]
	s_cbranch_vccnz .LBB55_183
; %bb.169:
	v_mov_b32_dpp v7, v6 row_shr:1 row_mask:0xf bank_mask:0xf
	v_max_i32_e32 v6, v6, v7
	v_cmp_eq_u32_e32 vcc, 63, v42
	s_nop 0
	v_mov_b32_dpp v7, v6 row_shr:2 row_mask:0xf bank_mask:0xf
	v_max_i32_e32 v6, v6, v7
	s_nop 1
	v_mov_b32_dpp v7, v6 row_shr:4 row_mask:0xf bank_mask:0xe
	v_max_i32_e32 v6, v6, v7
	;; [unrolled: 3-line block ×3, first 2 shown]
	s_nop 1
	v_mov_b32_dpp v7, v6 row_bcast:15 row_mask:0xa bank_mask:0xf
	v_max_i32_e32 v6, v6, v7
	s_nop 1
	v_mov_b32_dpp v7, v6 row_bcast:31 row_mask:0xc bank_mask:0xf
	s_and_saveexec_b64 s[0:1], vcc
	s_cbranch_execz .LBB55_171
; %bb.170:
	v_lshlrev_b32_e32 v1, 2, v1
	v_max_i32_e32 v6, v6, v7
	ds_write_b32 v1, v6 offset:128
.LBB55_171:
	s_or_b64 exec, exec, s[0:1]
	v_cmp_gt_u32_e32 vcc, 8, v0
	v_lshlrev_b32_e32 v1, 2, v0
	s_waitcnt lgkmcnt(0)
	s_barrier
	s_and_saveexec_b64 s[0:1], vcc
	s_cbranch_execz .LBB55_173
; %bb.172:
	ds_read2_b32 v[6:7], v1 offset0:32 offset1:40
	s_waitcnt lgkmcnt(0)
	v_max_i32_e32 v6, v6, v7
	ds_write_b32 v1, v6 offset:128
.LBB55_173:
	s_or_b64 exec, exec, s[0:1]
	v_cmp_gt_u32_e32 vcc, 4, v0
	s_waitcnt lgkmcnt(0)
	s_barrier
	s_and_saveexec_b64 s[0:1], vcc
	s_cbranch_execz .LBB55_175
; %bb.174:
	ds_read2_b32 v[6:7], v1 offset0:32 offset1:36
	s_waitcnt lgkmcnt(0)
	v_max_i32_e32 v6, v6, v7
	ds_write_b32 v1, v6 offset:128
.LBB55_175:
	s_or_b64 exec, exec, s[0:1]
	v_cmp_gt_u32_e32 vcc, 2, v0
	s_waitcnt lgkmcnt(0)
	s_barrier
	s_and_saveexec_b64 s[0:1], vcc
	s_cbranch_execz .LBB55_177
; %bb.176:
	ds_read2_b32 v[6:7], v1 offset0:32 offset1:34
	s_waitcnt lgkmcnt(0)
	v_max_i32_e32 v6, v6, v7
	ds_write_b32 v1, v6 offset:128
.LBB55_177:
	s_or_b64 exec, exec, s[0:1]
	v_cmp_eq_u32_e32 vcc, 0, v0
	s_waitcnt lgkmcnt(0)
	s_barrier
	s_and_saveexec_b64 s[0:1], vcc
	s_cbranch_execz .LBB55_179
; %bb.178:
	v_mov_b32_e32 v1, 0
	ds_read_b64 v[6:7], v1 offset:128
	s_waitcnt lgkmcnt(0)
	v_max_i32_e32 v6, v6, v7
	ds_write_b32 v1, v6 offset:128
.LBB55_179:
	s_or_b64 exec, exec, s[0:1]
	s_waitcnt lgkmcnt(0)
	s_barrier
	s_and_saveexec_b64 s[0:1], vcc
	s_cbranch_execz .LBB55_182
; %bb.180:
	v_mbcnt_lo_u32_b32 v1, exec_lo, 0
	v_mbcnt_hi_u32_b32 v1, exec_hi, v1
	v_cmp_eq_u32_e32 vcc, 0, v1
	s_and_b64 exec, exec, vcc
	s_cbranch_execz .LBB55_182
; %bb.181:
	v_mov_b32_e32 v1, 0
	ds_read_b32 v6, v1 offset:128
	v_readlane_b32 s4, v62, 0
	v_readlane_b32 s5, v62, 1
	v_readlane_b32 s6, v62, 2
	v_readlane_b32 s7, v62, 3
	s_waitcnt lgkmcnt(0)
	v_add_u32_e32 v6, 1, v6
	s_nop 0
	global_atomic_smax v1, v6, s[4:5]
.LBB55_182:
	s_or_b64 exec, exec, s[0:1]
.LBB55_183:
	v_cmp_eq_u32_e32 vcc, 0, v0
	s_mov_b32 s0, 0
	s_and_b64 s[2:3], vcc, s[34:35]
	s_and_saveexec_b64 s[4:5], s[2:3]
	s_cbranch_execz .LBB55_188
; %bb.184:
	v_mov_b32_e32 v0, 0
	global_load_dwordx2 v[6:7], v0, s[20:21] glc
	s_brev_b32 s1, 1
	s_mov_b64 s[6:7], 0
                                        ; implicit-def: $sgpr8_sgpr9
                                        ; implicit-def: $sgpr10_sgpr11
	s_waitcnt vmcnt(0)
	v_cmp_eq_u64_e64 s[12:13], s[0:1], v[6:7]
	v_cmp_eq_f64_e64 s[0:1], 0, v[4:5]
	s_branch .LBB55_186
.LBB55_185:                             ;   in Loop: Header=BB55_186 Depth=1
	s_or_b64 exec, exec, s[14:15]
	s_and_b64 s[2:3], exec, s[8:9]
	s_or_b64 s[6:7], s[2:3], s[6:7]
	s_andn2_b64 s[2:3], s[12:13], exec
	s_and_b64 s[12:13], s[10:11], exec
	s_or_b64 s[12:13], s[2:3], s[12:13]
	s_andn2_b64 exec, exec, s[6:7]
	s_cbranch_execz .LBB55_188
.LBB55_186:                             ; =>This Inner Loop Header: Depth=1
	v_cmp_lt_f64_e64 s[2:3], v[6:7], v[4:5]
	s_and_b64 s[14:15], s[0:1], s[12:13]
	s_or_b64 s[2:3], s[2:3], s[14:15]
	s_andn2_b64 s[10:11], s[10:11], exec
	s_or_b64 s[8:9], s[8:9], exec
	s_and_saveexec_b64 s[14:15], s[2:3]
	s_cbranch_execz .LBB55_185
; %bb.187:                              ;   in Loop: Header=BB55_186 Depth=1
	global_atomic_cmpswap_x2 v[8:9], v0, v[4:7], s[20:21] glc
	s_andn2_b64 s[8:9], s[8:9], exec
	s_andn2_b64 s[10:11], s[10:11], exec
                                        ; implicit-def: $sgpr12_sgpr13
	s_waitcnt vmcnt(0)
	v_cmp_eq_u64_e64 s[2:3], v[8:9], v[6:7]
	v_cndmask_b32_e64 v7, v9, v7, s[2:3]
	v_cndmask_b32_e64 v6, v8, v6, s[2:3]
	s_and_b64 s[2:3], s[2:3], exec
	v_cmp_class_f64_e64 s[16:17], v[6:7], 32
	s_or_b64 s[8:9], s[8:9], s[2:3]
	s_and_b64 s[2:3], s[16:17], exec
	s_or_b64 s[10:11], s[10:11], s[2:3]
	v_pk_mov_b32 v[6:7], v[8:9], v[8:9] op_sel:[0,1]
	s_branch .LBB55_185
.LBB55_188:
	s_or_b64 exec, exec, s[4:5]
	s_and_b64 s[0:1], vcc, s[18:19]
	s_and_saveexec_b64 s[2:3], s[0:1]
	s_cbranch_execz .LBB55_193
; %bb.189:
	v_mov_b32_e32 v0, 0
	global_load_dwordx2 v[4:5], v0, s[22:23] glc
	s_mov_b32 s0, 0
	s_brev_b32 s1, 1
	s_mov_b64 s[2:3], 0
	v_cmp_eq_f64_e32 vcc, 0, v[2:3]
                                        ; implicit-def: $sgpr4_sgpr5
                                        ; implicit-def: $sgpr6_sgpr7
	s_waitcnt vmcnt(0)
	v_cmp_eq_u64_e64 s[8:9], s[0:1], v[4:5]
	s_branch .LBB55_191
.LBB55_190:                             ;   in Loop: Header=BB55_191 Depth=1
	s_or_b64 exec, exec, s[10:11]
	s_and_b64 s[0:1], exec, s[4:5]
	s_or_b64 s[2:3], s[0:1], s[2:3]
	s_andn2_b64 s[0:1], s[8:9], exec
	s_and_b64 s[8:9], s[6:7], exec
	s_or_b64 s[8:9], s[0:1], s[8:9]
	s_andn2_b64 exec, exec, s[2:3]
	s_cbranch_execz .LBB55_193
.LBB55_191:                             ; =>This Inner Loop Header: Depth=1
	v_cmp_lt_f64_e64 s[0:1], v[4:5], v[2:3]
	s_and_b64 s[10:11], vcc, s[8:9]
	s_or_b64 s[0:1], s[0:1], s[10:11]
	s_andn2_b64 s[6:7], s[6:7], exec
	s_or_b64 s[4:5], s[4:5], exec
	s_and_saveexec_b64 s[10:11], s[0:1]
	s_cbranch_execz .LBB55_190
; %bb.192:                              ;   in Loop: Header=BB55_191 Depth=1
	global_atomic_cmpswap_x2 v[6:7], v0, v[2:5], s[22:23] glc
	s_andn2_b64 s[4:5], s[4:5], exec
	s_andn2_b64 s[6:7], s[6:7], exec
                                        ; implicit-def: $sgpr8_sgpr9
	s_waitcnt vmcnt(0)
	v_cmp_eq_u64_e64 s[0:1], v[6:7], v[4:5]
	v_cndmask_b32_e64 v5, v7, v5, s[0:1]
	v_cndmask_b32_e64 v4, v6, v4, s[0:1]
	s_and_b64 s[0:1], s[0:1], exec
	v_cmp_class_f64_e64 s[12:13], v[4:5], 32
	s_or_b64 s[4:5], s[4:5], s[0:1]
	s_and_b64 s[0:1], s[12:13], exec
	s_or_b64 s[6:7], s[6:7], s[0:1]
	v_pk_mov_b32 v[4:5], v[6:7], v[6:7] op_sel:[0,1]
	s_branch .LBB55_190
.LBB55_193:
	s_endpgm
	.section	.rodata,"a",@progbits
	.p2align	6, 0x0
	.amdhsa_kernel _ZN9rocsparseL6kernelILi1024ELi64E21rocsparse_complex_numIdEiiEEvbbbT3_PS3_NS_15floating_traitsIT1_E6data_tES3_T2_PKS9_SB_PKS3_PKS6_21rocsparse_index_base_SB_SB_SD_PS6_SH_SG_SB_SB_SD_SH_SH_SG_SH_SH_PS8_SI_PKS8_
		.amdhsa_group_segment_fixed_size 192
		.amdhsa_private_segment_fixed_size 0
		.amdhsa_kernarg_size 208
		.amdhsa_user_sgpr_count 6
		.amdhsa_user_sgpr_private_segment_buffer 1
		.amdhsa_user_sgpr_dispatch_ptr 0
		.amdhsa_user_sgpr_queue_ptr 0
		.amdhsa_user_sgpr_kernarg_segment_ptr 1
		.amdhsa_user_sgpr_dispatch_id 0
		.amdhsa_user_sgpr_flat_scratch_init 0
		.amdhsa_user_sgpr_kernarg_preload_length 0
		.amdhsa_user_sgpr_kernarg_preload_offset 0
		.amdhsa_user_sgpr_private_segment_size 0
		.amdhsa_uses_dynamic_stack 0
		.amdhsa_system_sgpr_private_segment_wavefront_offset 0
		.amdhsa_system_sgpr_workgroup_id_x 1
		.amdhsa_system_sgpr_workgroup_id_y 0
		.amdhsa_system_sgpr_workgroup_id_z 0
		.amdhsa_system_sgpr_workgroup_info 0
		.amdhsa_system_vgpr_workitem_id 0
		.amdhsa_next_free_vgpr 63
		.amdhsa_next_free_sgpr 96
		.amdhsa_accum_offset 64
		.amdhsa_reserve_vcc 1
		.amdhsa_reserve_flat_scratch 0
		.amdhsa_float_round_mode_32 0
		.amdhsa_float_round_mode_16_64 0
		.amdhsa_float_denorm_mode_32 3
		.amdhsa_float_denorm_mode_16_64 3
		.amdhsa_dx10_clamp 1
		.amdhsa_ieee_mode 1
		.amdhsa_fp16_overflow 0
		.amdhsa_tg_split 0
		.amdhsa_exception_fp_ieee_invalid_op 0
		.amdhsa_exception_fp_denorm_src 0
		.amdhsa_exception_fp_ieee_div_zero 0
		.amdhsa_exception_fp_ieee_overflow 0
		.amdhsa_exception_fp_ieee_underflow 0
		.amdhsa_exception_fp_ieee_inexact 0
		.amdhsa_exception_int_div_zero 0
	.end_amdhsa_kernel
	.section	.text._ZN9rocsparseL6kernelILi1024ELi64E21rocsparse_complex_numIdEiiEEvbbbT3_PS3_NS_15floating_traitsIT1_E6data_tES3_T2_PKS9_SB_PKS3_PKS6_21rocsparse_index_base_SB_SB_SD_PS6_SH_SG_SB_SB_SD_SH_SH_SG_SH_SH_PS8_SI_PKS8_,"axG",@progbits,_ZN9rocsparseL6kernelILi1024ELi64E21rocsparse_complex_numIdEiiEEvbbbT3_PS3_NS_15floating_traitsIT1_E6data_tES3_T2_PKS9_SB_PKS3_PKS6_21rocsparse_index_base_SB_SB_SD_PS6_SH_SG_SB_SB_SD_SH_SH_SG_SH_SH_PS8_SI_PKS8_,comdat
.Lfunc_end55:
	.size	_ZN9rocsparseL6kernelILi1024ELi64E21rocsparse_complex_numIdEiiEEvbbbT3_PS3_NS_15floating_traitsIT1_E6data_tES3_T2_PKS9_SB_PKS3_PKS6_21rocsparse_index_base_SB_SB_SD_PS6_SH_SG_SB_SB_SD_SH_SH_SG_SH_SH_PS8_SI_PKS8_, .Lfunc_end55-_ZN9rocsparseL6kernelILi1024ELi64E21rocsparse_complex_numIdEiiEEvbbbT3_PS3_NS_15floating_traitsIT1_E6data_tES3_T2_PKS9_SB_PKS3_PKS6_21rocsparse_index_base_SB_SB_SD_PS6_SH_SG_SB_SB_SD_SH_SH_SG_SH_SH_PS8_SI_PKS8_
                                        ; -- End function
	.section	.AMDGPU.csdata,"",@progbits
; Kernel info:
; codeLenInByte = 8852
; NumSgprs: 100
; NumVgprs: 63
; NumAgprs: 0
; TotalNumVgprs: 63
; ScratchSize: 0
; MemoryBound: 1
; FloatMode: 240
; IeeeMode: 1
; LDSByteSize: 192 bytes/workgroup (compile time only)
; SGPRBlocks: 12
; VGPRBlocks: 7
; NumSGPRsForWavesPerEU: 100
; NumVGPRsForWavesPerEU: 63
; AccumOffset: 64
; Occupancy: 8
; WaveLimiterHint : 1
; COMPUTE_PGM_RSRC2:SCRATCH_EN: 0
; COMPUTE_PGM_RSRC2:USER_SGPR: 6
; COMPUTE_PGM_RSRC2:TRAP_HANDLER: 0
; COMPUTE_PGM_RSRC2:TGID_X_EN: 1
; COMPUTE_PGM_RSRC2:TGID_Y_EN: 0
; COMPUTE_PGM_RSRC2:TGID_Z_EN: 0
; COMPUTE_PGM_RSRC2:TIDIG_COMP_CNT: 0
; COMPUTE_PGM_RSRC3_GFX90A:ACCUM_OFFSET: 15
; COMPUTE_PGM_RSRC3_GFX90A:TG_SPLIT: 0
	.text
	.p2alignl 6, 3212836864
	.fill 256, 4, 3212836864
	.type	__hip_cuid_cb556709814060de,@object ; @__hip_cuid_cb556709814060de
	.section	.bss,"aw",@nobits
	.globl	__hip_cuid_cb556709814060de
__hip_cuid_cb556709814060de:
	.byte	0                               ; 0x0
	.size	__hip_cuid_cb556709814060de, 1

	.ident	"AMD clang version 19.0.0git (https://github.com/RadeonOpenCompute/llvm-project roc-6.4.0 25133 c7fe45cf4b819c5991fe208aaa96edf142730f1d)"
	.section	".note.GNU-stack","",@progbits
	.addrsig
	.addrsig_sym __hip_cuid_cb556709814060de
	.amdgpu_metadata
---
amdhsa.kernels:
  - .agpr_count:     0
    .args:
      - .offset:         0
        .size:           4
        .value_kind:     by_value
      - .offset:         4
        .size:           4
        .value_kind:     by_value
      - .offset:         8
        .size:           4
        .value_kind:     by_value
      - .actual_access:  read_only
        .address_space:  global
        .offset:         16
        .size:           8
        .value_kind:     global_buffer
      - .actual_access:  read_only
        .address_space:  global
        .offset:         24
        .size:           8
        .value_kind:     global_buffer
      - .actual_access:  read_only
        .address_space:  global
        .offset:         32
        .size:           8
        .value_kind:     global_buffer
      - .actual_access:  read_only
        .address_space:  global
        .offset:         40
        .size:           8
        .value_kind:     global_buffer
      - .offset:         48
        .size:           4
        .value_kind:     by_value
      - .actual_access:  read_only
        .address_space:  global
        .offset:         56
        .size:           8
        .value_kind:     global_buffer
      - .actual_access:  read_only
        .address_space:  global
        .offset:         64
        .size:           8
        .value_kind:     global_buffer
      - .actual_access:  read_only
        .address_space:  global
        .offset:         72
        .size:           8
        .value_kind:     global_buffer
      - .address_space:  global
        .offset:         80
        .size:           8
        .value_kind:     global_buffer
      - .address_space:  global
        .offset:         88
        .size:           8
        .value_kind:     global_buffer
      - .offset:         96
        .size:           4
        .value_kind:     by_value
      - .actual_access:  read_only
        .address_space:  global
        .offset:         104
        .size:           8
        .value_kind:     global_buffer
      - .actual_access:  read_only
        .address_space:  global
        .offset:         112
        .size:           8
        .value_kind:     global_buffer
      - .actual_access:  read_only
        .address_space:  global
        .offset:         120
        .size:           8
        .value_kind:     global_buffer
      - .address_space:  global
        .offset:         128
        .size:           8
        .value_kind:     global_buffer
      - .address_space:  global
        .offset:         136
        .size:           8
        .value_kind:     global_buffer
      - .offset:         144
        .size:           4
        .value_kind:     by_value
      - .address_space:  global
        .offset:         152
        .size:           8
        .value_kind:     global_buffer
      - .address_space:  global
        .offset:         160
        .size:           8
        .value_kind:     global_buffer
    .group_segment_fixed_size: 0
    .kernarg_segment_align: 8
    .kernarg_segment_size: 168
    .language:       OpenCL C
    .language_version:
      - 2
      - 0
    .max_flat_workgroup_size: 1024
    .name:           _ZN9rocsparseL14kernel_freerunILi1024ELi1EfiiEEvT3_S1_T2_PKS2_S4_PKS1_PKT1_21rocsparse_index_base_S4_S4_S6_PS7_SB_SA_S4_S4_S6_SB_SB_SA_SB_SB_
    .private_segment_fixed_size: 0
    .sgpr_count:     76
    .sgpr_spill_count: 0
    .symbol:         _ZN9rocsparseL14kernel_freerunILi1024ELi1EfiiEEvT3_S1_T2_PKS2_S4_PKS1_PKT1_21rocsparse_index_base_S4_S4_S6_PS7_SB_SA_S4_S4_S6_SB_SB_SA_SB_SB_.kd
    .uniform_work_group_size: 1
    .uses_dynamic_stack: false
    .vgpr_count:     33
    .vgpr_spill_count: 0
    .wavefront_size: 64
  - .agpr_count:     0
    .args:
      - .offset:         0
        .size:           4
        .value_kind:     by_value
      - .offset:         4
        .size:           4
        .value_kind:     by_value
      - .offset:         8
        .size:           4
        .value_kind:     by_value
      - .actual_access:  read_only
        .address_space:  global
        .offset:         16
        .size:           8
        .value_kind:     global_buffer
      - .actual_access:  read_only
        .address_space:  global
        .offset:         24
        .size:           8
        .value_kind:     global_buffer
      - .actual_access:  read_only
        .address_space:  global
        .offset:         32
        .size:           8
        .value_kind:     global_buffer
      - .actual_access:  read_only
        .address_space:  global
        .offset:         40
        .size:           8
        .value_kind:     global_buffer
      - .offset:         48
        .size:           4
        .value_kind:     by_value
      - .actual_access:  read_only
        .address_space:  global
        .offset:         56
        .size:           8
        .value_kind:     global_buffer
      - .actual_access:  read_only
        .address_space:  global
        .offset:         64
        .size:           8
        .value_kind:     global_buffer
      - .actual_access:  read_only
        .address_space:  global
        .offset:         72
        .size:           8
        .value_kind:     global_buffer
      - .address_space:  global
        .offset:         80
        .size:           8
        .value_kind:     global_buffer
      - .address_space:  global
        .offset:         88
        .size:           8
        .value_kind:     global_buffer
      - .offset:         96
        .size:           4
        .value_kind:     by_value
      - .actual_access:  read_only
        .address_space:  global
        .offset:         104
        .size:           8
        .value_kind:     global_buffer
      - .actual_access:  read_only
        .address_space:  global
        .offset:         112
        .size:           8
        .value_kind:     global_buffer
      - .actual_access:  read_only
        .address_space:  global
        .offset:         120
        .size:           8
        .value_kind:     global_buffer
      - .address_space:  global
        .offset:         128
        .size:           8
        .value_kind:     global_buffer
      - .address_space:  global
        .offset:         136
        .size:           8
        .value_kind:     global_buffer
      - .offset:         144
        .size:           4
        .value_kind:     by_value
      - .address_space:  global
        .offset:         152
        .size:           8
        .value_kind:     global_buffer
      - .address_space:  global
        .offset:         160
        .size:           8
        .value_kind:     global_buffer
    .group_segment_fixed_size: 0
    .kernarg_segment_align: 8
    .kernarg_segment_size: 168
    .language:       OpenCL C
    .language_version:
      - 2
      - 0
    .max_flat_workgroup_size: 1024
    .name:           _ZN9rocsparseL14kernel_freerunILi1024ELi2EfiiEEvT3_S1_T2_PKS2_S4_PKS1_PKT1_21rocsparse_index_base_S4_S4_S6_PS7_SB_SA_S4_S4_S6_SB_SB_SA_SB_SB_
    .private_segment_fixed_size: 0
    .sgpr_count:     80
    .sgpr_spill_count: 0
    .symbol:         _ZN9rocsparseL14kernel_freerunILi1024ELi2EfiiEEvT3_S1_T2_PKS2_S4_PKS1_PKT1_21rocsparse_index_base_S4_S4_S6_PS7_SB_SA_S4_S4_S6_SB_SB_SA_SB_SB_.kd
    .uniform_work_group_size: 1
    .uses_dynamic_stack: false
    .vgpr_count:     56
    .vgpr_spill_count: 0
    .wavefront_size: 64
  - .agpr_count:     0
    .args:
      - .offset:         0
        .size:           4
        .value_kind:     by_value
      - .offset:         4
        .size:           4
        .value_kind:     by_value
      - .offset:         8
        .size:           4
        .value_kind:     by_value
      - .actual_access:  read_only
        .address_space:  global
        .offset:         16
        .size:           8
        .value_kind:     global_buffer
      - .actual_access:  read_only
        .address_space:  global
        .offset:         24
        .size:           8
        .value_kind:     global_buffer
      - .actual_access:  read_only
        .address_space:  global
        .offset:         32
        .size:           8
        .value_kind:     global_buffer
      - .actual_access:  read_only
        .address_space:  global
        .offset:         40
        .size:           8
        .value_kind:     global_buffer
      - .offset:         48
        .size:           4
        .value_kind:     by_value
      - .actual_access:  read_only
        .address_space:  global
        .offset:         56
        .size:           8
        .value_kind:     global_buffer
      - .actual_access:  read_only
        .address_space:  global
        .offset:         64
        .size:           8
        .value_kind:     global_buffer
      - .actual_access:  read_only
        .address_space:  global
        .offset:         72
        .size:           8
        .value_kind:     global_buffer
      - .address_space:  global
        .offset:         80
        .size:           8
        .value_kind:     global_buffer
      - .address_space:  global
        .offset:         88
        .size:           8
        .value_kind:     global_buffer
      - .offset:         96
        .size:           4
        .value_kind:     by_value
      - .actual_access:  read_only
        .address_space:  global
        .offset:         104
        .size:           8
        .value_kind:     global_buffer
      - .actual_access:  read_only
        .address_space:  global
        .offset:         112
        .size:           8
        .value_kind:     global_buffer
      - .actual_access:  read_only
        .address_space:  global
        .offset:         120
        .size:           8
        .value_kind:     global_buffer
      - .address_space:  global
        .offset:         128
        .size:           8
        .value_kind:     global_buffer
      - .address_space:  global
        .offset:         136
        .size:           8
        .value_kind:     global_buffer
      - .offset:         144
        .size:           4
        .value_kind:     by_value
      - .address_space:  global
        .offset:         152
        .size:           8
        .value_kind:     global_buffer
      - .address_space:  global
        .offset:         160
        .size:           8
        .value_kind:     global_buffer
    .group_segment_fixed_size: 0
    .kernarg_segment_align: 8
    .kernarg_segment_size: 168
    .language:       OpenCL C
    .language_version:
      - 2
      - 0
    .max_flat_workgroup_size: 1024
    .name:           _ZN9rocsparseL14kernel_freerunILi1024ELi4EfiiEEvT3_S1_T2_PKS2_S4_PKS1_PKT1_21rocsparse_index_base_S4_S4_S6_PS7_SB_SA_S4_S4_S6_SB_SB_SA_SB_SB_
    .private_segment_fixed_size: 0
    .sgpr_count:     78
    .sgpr_spill_count: 0
    .symbol:         _ZN9rocsparseL14kernel_freerunILi1024ELi4EfiiEEvT3_S1_T2_PKS2_S4_PKS1_PKT1_21rocsparse_index_base_S4_S4_S6_PS7_SB_SA_S4_S4_S6_SB_SB_SA_SB_SB_.kd
    .uniform_work_group_size: 1
    .uses_dynamic_stack: false
    .vgpr_count:     40
    .vgpr_spill_count: 0
    .wavefront_size: 64
  - .agpr_count:     0
    .args:
      - .offset:         0
        .size:           4
        .value_kind:     by_value
      - .offset:         4
        .size:           4
        .value_kind:     by_value
      - .offset:         8
        .size:           4
        .value_kind:     by_value
      - .actual_access:  read_only
        .address_space:  global
        .offset:         16
        .size:           8
        .value_kind:     global_buffer
      - .actual_access:  read_only
        .address_space:  global
        .offset:         24
        .size:           8
        .value_kind:     global_buffer
      - .actual_access:  read_only
        .address_space:  global
        .offset:         32
        .size:           8
        .value_kind:     global_buffer
      - .actual_access:  read_only
        .address_space:  global
        .offset:         40
        .size:           8
        .value_kind:     global_buffer
      - .offset:         48
        .size:           4
        .value_kind:     by_value
      - .actual_access:  read_only
        .address_space:  global
        .offset:         56
        .size:           8
        .value_kind:     global_buffer
      - .actual_access:  read_only
        .address_space:  global
        .offset:         64
        .size:           8
        .value_kind:     global_buffer
      - .actual_access:  read_only
        .address_space:  global
        .offset:         72
        .size:           8
        .value_kind:     global_buffer
      - .address_space:  global
        .offset:         80
        .size:           8
        .value_kind:     global_buffer
      - .address_space:  global
        .offset:         88
        .size:           8
        .value_kind:     global_buffer
      - .offset:         96
        .size:           4
        .value_kind:     by_value
      - .actual_access:  read_only
        .address_space:  global
        .offset:         104
        .size:           8
        .value_kind:     global_buffer
      - .actual_access:  read_only
        .address_space:  global
        .offset:         112
        .size:           8
        .value_kind:     global_buffer
      - .actual_access:  read_only
        .address_space:  global
        .offset:         120
        .size:           8
        .value_kind:     global_buffer
      - .address_space:  global
        .offset:         128
        .size:           8
        .value_kind:     global_buffer
      - .address_space:  global
        .offset:         136
        .size:           8
        .value_kind:     global_buffer
      - .offset:         144
        .size:           4
        .value_kind:     by_value
      - .address_space:  global
        .offset:         152
        .size:           8
        .value_kind:     global_buffer
      - .address_space:  global
        .offset:         160
        .size:           8
        .value_kind:     global_buffer
    .group_segment_fixed_size: 0
    .kernarg_segment_align: 8
    .kernarg_segment_size: 168
    .language:       OpenCL C
    .language_version:
      - 2
      - 0
    .max_flat_workgroup_size: 1024
    .name:           _ZN9rocsparseL14kernel_freerunILi1024ELi8EfiiEEvT3_S1_T2_PKS2_S4_PKS1_PKT1_21rocsparse_index_base_S4_S4_S6_PS7_SB_SA_S4_S4_S6_SB_SB_SA_SB_SB_
    .private_segment_fixed_size: 0
    .sgpr_count:     78
    .sgpr_spill_count: 0
    .symbol:         _ZN9rocsparseL14kernel_freerunILi1024ELi8EfiiEEvT3_S1_T2_PKS2_S4_PKS1_PKT1_21rocsparse_index_base_S4_S4_S6_PS7_SB_SA_S4_S4_S6_SB_SB_SA_SB_SB_.kd
    .uniform_work_group_size: 1
    .uses_dynamic_stack: false
    .vgpr_count:     40
    .vgpr_spill_count: 0
    .wavefront_size: 64
  - .agpr_count:     0
    .args:
      - .offset:         0
        .size:           4
        .value_kind:     by_value
      - .offset:         4
        .size:           4
        .value_kind:     by_value
      - .offset:         8
        .size:           4
        .value_kind:     by_value
      - .actual_access:  read_only
        .address_space:  global
        .offset:         16
        .size:           8
        .value_kind:     global_buffer
      - .actual_access:  read_only
        .address_space:  global
        .offset:         24
        .size:           8
        .value_kind:     global_buffer
      - .actual_access:  read_only
        .address_space:  global
        .offset:         32
        .size:           8
        .value_kind:     global_buffer
      - .actual_access:  read_only
        .address_space:  global
        .offset:         40
        .size:           8
        .value_kind:     global_buffer
      - .offset:         48
        .size:           4
        .value_kind:     by_value
      - .actual_access:  read_only
        .address_space:  global
        .offset:         56
        .size:           8
        .value_kind:     global_buffer
      - .actual_access:  read_only
        .address_space:  global
        .offset:         64
        .size:           8
        .value_kind:     global_buffer
      - .actual_access:  read_only
        .address_space:  global
        .offset:         72
        .size:           8
        .value_kind:     global_buffer
      - .address_space:  global
        .offset:         80
        .size:           8
        .value_kind:     global_buffer
      - .address_space:  global
        .offset:         88
        .size:           8
        .value_kind:     global_buffer
      - .offset:         96
        .size:           4
        .value_kind:     by_value
      - .actual_access:  read_only
        .address_space:  global
        .offset:         104
        .size:           8
        .value_kind:     global_buffer
      - .actual_access:  read_only
        .address_space:  global
        .offset:         112
        .size:           8
        .value_kind:     global_buffer
      - .actual_access:  read_only
        .address_space:  global
        .offset:         120
        .size:           8
        .value_kind:     global_buffer
      - .address_space:  global
        .offset:         128
        .size:           8
        .value_kind:     global_buffer
      - .address_space:  global
        .offset:         136
        .size:           8
        .value_kind:     global_buffer
      - .offset:         144
        .size:           4
        .value_kind:     by_value
      - .address_space:  global
        .offset:         152
        .size:           8
        .value_kind:     global_buffer
      - .address_space:  global
        .offset:         160
        .size:           8
        .value_kind:     global_buffer
    .group_segment_fixed_size: 0
    .kernarg_segment_align: 8
    .kernarg_segment_size: 168
    .language:       OpenCL C
    .language_version:
      - 2
      - 0
    .max_flat_workgroup_size: 1024
    .name:           _ZN9rocsparseL14kernel_freerunILi1024ELi16EfiiEEvT3_S1_T2_PKS2_S4_PKS1_PKT1_21rocsparse_index_base_S4_S4_S6_PS7_SB_SA_S4_S4_S6_SB_SB_SA_SB_SB_
    .private_segment_fixed_size: 0
    .sgpr_count:     78
    .sgpr_spill_count: 0
    .symbol:         _ZN9rocsparseL14kernel_freerunILi1024ELi16EfiiEEvT3_S1_T2_PKS2_S4_PKS1_PKT1_21rocsparse_index_base_S4_S4_S6_PS7_SB_SA_S4_S4_S6_SB_SB_SA_SB_SB_.kd
    .uniform_work_group_size: 1
    .uses_dynamic_stack: false
    .vgpr_count:     40
    .vgpr_spill_count: 0
    .wavefront_size: 64
  - .agpr_count:     0
    .args:
      - .offset:         0
        .size:           4
        .value_kind:     by_value
      - .offset:         4
        .size:           4
        .value_kind:     by_value
      - .offset:         8
        .size:           4
        .value_kind:     by_value
      - .actual_access:  read_only
        .address_space:  global
        .offset:         16
        .size:           8
        .value_kind:     global_buffer
      - .actual_access:  read_only
        .address_space:  global
        .offset:         24
        .size:           8
        .value_kind:     global_buffer
      - .actual_access:  read_only
        .address_space:  global
        .offset:         32
        .size:           8
        .value_kind:     global_buffer
      - .actual_access:  read_only
        .address_space:  global
        .offset:         40
        .size:           8
        .value_kind:     global_buffer
      - .offset:         48
        .size:           4
        .value_kind:     by_value
      - .actual_access:  read_only
        .address_space:  global
        .offset:         56
        .size:           8
        .value_kind:     global_buffer
      - .actual_access:  read_only
        .address_space:  global
        .offset:         64
        .size:           8
        .value_kind:     global_buffer
      - .actual_access:  read_only
        .address_space:  global
        .offset:         72
        .size:           8
        .value_kind:     global_buffer
      - .address_space:  global
        .offset:         80
        .size:           8
        .value_kind:     global_buffer
      - .address_space:  global
        .offset:         88
        .size:           8
        .value_kind:     global_buffer
      - .offset:         96
        .size:           4
        .value_kind:     by_value
      - .actual_access:  read_only
        .address_space:  global
        .offset:         104
        .size:           8
        .value_kind:     global_buffer
      - .actual_access:  read_only
        .address_space:  global
        .offset:         112
        .size:           8
        .value_kind:     global_buffer
      - .actual_access:  read_only
        .address_space:  global
        .offset:         120
        .size:           8
        .value_kind:     global_buffer
      - .address_space:  global
        .offset:         128
        .size:           8
        .value_kind:     global_buffer
      - .address_space:  global
        .offset:         136
        .size:           8
        .value_kind:     global_buffer
      - .offset:         144
        .size:           4
        .value_kind:     by_value
      - .address_space:  global
        .offset:         152
        .size:           8
        .value_kind:     global_buffer
      - .address_space:  global
        .offset:         160
        .size:           8
        .value_kind:     global_buffer
    .group_segment_fixed_size: 0
    .kernarg_segment_align: 8
    .kernarg_segment_size: 168
    .language:       OpenCL C
    .language_version:
      - 2
      - 0
    .max_flat_workgroup_size: 1024
    .name:           _ZN9rocsparseL14kernel_freerunILi1024ELi32EfiiEEvT3_S1_T2_PKS2_S4_PKS1_PKT1_21rocsparse_index_base_S4_S4_S6_PS7_SB_SA_S4_S4_S6_SB_SB_SA_SB_SB_
    .private_segment_fixed_size: 0
    .sgpr_count:     78
    .sgpr_spill_count: 0
    .symbol:         _ZN9rocsparseL14kernel_freerunILi1024ELi32EfiiEEvT3_S1_T2_PKS2_S4_PKS1_PKT1_21rocsparse_index_base_S4_S4_S6_PS7_SB_SA_S4_S4_S6_SB_SB_SA_SB_SB_.kd
    .uniform_work_group_size: 1
    .uses_dynamic_stack: false
    .vgpr_count:     40
    .vgpr_spill_count: 0
    .wavefront_size: 64
  - .agpr_count:     0
    .args:
      - .offset:         0
        .size:           4
        .value_kind:     by_value
      - .offset:         4
        .size:           4
        .value_kind:     by_value
      - .offset:         8
        .size:           4
        .value_kind:     by_value
      - .actual_access:  read_only
        .address_space:  global
        .offset:         16
        .size:           8
        .value_kind:     global_buffer
      - .actual_access:  read_only
        .address_space:  global
        .offset:         24
        .size:           8
        .value_kind:     global_buffer
      - .actual_access:  read_only
        .address_space:  global
        .offset:         32
        .size:           8
        .value_kind:     global_buffer
      - .actual_access:  read_only
        .address_space:  global
        .offset:         40
        .size:           8
        .value_kind:     global_buffer
      - .offset:         48
        .size:           4
        .value_kind:     by_value
      - .actual_access:  read_only
        .address_space:  global
        .offset:         56
        .size:           8
        .value_kind:     global_buffer
      - .actual_access:  read_only
        .address_space:  global
        .offset:         64
        .size:           8
        .value_kind:     global_buffer
      - .actual_access:  read_only
        .address_space:  global
        .offset:         72
        .size:           8
        .value_kind:     global_buffer
      - .address_space:  global
        .offset:         80
        .size:           8
        .value_kind:     global_buffer
      - .address_space:  global
        .offset:         88
        .size:           8
        .value_kind:     global_buffer
      - .offset:         96
        .size:           4
        .value_kind:     by_value
      - .actual_access:  read_only
        .address_space:  global
        .offset:         104
        .size:           8
        .value_kind:     global_buffer
      - .actual_access:  read_only
        .address_space:  global
        .offset:         112
        .size:           8
        .value_kind:     global_buffer
      - .actual_access:  read_only
        .address_space:  global
        .offset:         120
        .size:           8
        .value_kind:     global_buffer
      - .address_space:  global
        .offset:         128
        .size:           8
        .value_kind:     global_buffer
      - .address_space:  global
        .offset:         136
        .size:           8
        .value_kind:     global_buffer
      - .offset:         144
        .size:           4
        .value_kind:     by_value
      - .address_space:  global
        .offset:         152
        .size:           8
        .value_kind:     global_buffer
      - .address_space:  global
        .offset:         160
        .size:           8
        .value_kind:     global_buffer
    .group_segment_fixed_size: 0
    .kernarg_segment_align: 8
    .kernarg_segment_size: 168
    .language:       OpenCL C
    .language_version:
      - 2
      - 0
    .max_flat_workgroup_size: 1024
    .name:           _ZN9rocsparseL14kernel_freerunILi1024ELi64EfiiEEvT3_S1_T2_PKS2_S4_PKS1_PKT1_21rocsparse_index_base_S4_S4_S6_PS7_SB_SA_S4_S4_S6_SB_SB_SA_SB_SB_
    .private_segment_fixed_size: 0
    .sgpr_count:     78
    .sgpr_spill_count: 0
    .symbol:         _ZN9rocsparseL14kernel_freerunILi1024ELi64EfiiEEvT3_S1_T2_PKS2_S4_PKS1_PKT1_21rocsparse_index_base_S4_S4_S6_PS7_SB_SA_S4_S4_S6_SB_SB_SA_SB_SB_.kd
    .uniform_work_group_size: 1
    .uses_dynamic_stack: false
    .vgpr_count:     40
    .vgpr_spill_count: 0
    .wavefront_size: 64
  - .agpr_count:     0
    .args:
      - .offset:         0
        .size:           1
        .value_kind:     by_value
      - .offset:         1
        .size:           1
        .value_kind:     by_value
      - .offset:         2
        .size:           1
        .value_kind:     by_value
      - .offset:         4
        .size:           4
        .value_kind:     by_value
      - .address_space:  global
        .offset:         8
        .size:           8
        .value_kind:     global_buffer
      - .offset:         16
        .size:           4
        .value_kind:     by_value
      - .offset:         20
        .size:           4
        .value_kind:     by_value
      - .offset:         24
        .size:           4
        .value_kind:     by_value
      - .actual_access:  read_only
        .address_space:  global
        .offset:         32
        .size:           8
        .value_kind:     global_buffer
      - .actual_access:  read_only
        .address_space:  global
        .offset:         40
        .size:           8
        .value_kind:     global_buffer
      - .actual_access:  read_only
        .address_space:  global
        .offset:         48
        .size:           8
        .value_kind:     global_buffer
      - .actual_access:  read_only
        .address_space:  global
        .offset:         56
        .size:           8
        .value_kind:     global_buffer
      - .offset:         64
        .size:           4
        .value_kind:     by_value
      - .actual_access:  read_only
        .address_space:  global
        .offset:         72
        .size:           8
        .value_kind:     global_buffer
      - .actual_access:  read_only
        .address_space:  global
        .offset:         80
        .size:           8
        .value_kind:     global_buffer
      - .actual_access:  read_only
        .address_space:  global
        .offset:         88
        .size:           8
        .value_kind:     global_buffer
      - .address_space:  global
        .offset:         96
        .size:           8
        .value_kind:     global_buffer
      - .address_space:  global
        .offset:         104
        .size:           8
        .value_kind:     global_buffer
      - .offset:         112
        .size:           4
        .value_kind:     by_value
      - .actual_access:  read_only
        .address_space:  global
        .offset:         120
        .size:           8
        .value_kind:     global_buffer
      - .actual_access:  read_only
        .address_space:  global
        .offset:         128
        .size:           8
        .value_kind:     global_buffer
      - .actual_access:  read_only
        .address_space:  global
        .offset:         136
        .size:           8
        .value_kind:     global_buffer
      - .address_space:  global
        .offset:         144
        .size:           8
        .value_kind:     global_buffer
      - .address_space:  global
        .offset:         152
        .size:           8
        .value_kind:     global_buffer
      - .offset:         160
        .size:           4
        .value_kind:     by_value
      - .address_space:  global
        .offset:         168
        .size:           8
        .value_kind:     global_buffer
      - .address_space:  global
        .offset:         176
        .size:           8
        .value_kind:     global_buffer
      - .address_space:  global
        .offset:         184
        .size:           8
        .value_kind:     global_buffer
      - .address_space:  global
        .offset:         192
        .size:           8
        .value_kind:     global_buffer
      - .actual_access:  read_only
        .address_space:  global
        .offset:         200
        .size:           8
        .value_kind:     global_buffer
    .group_segment_fixed_size: 8192
    .kernarg_segment_align: 8
    .kernarg_segment_size: 208
    .language:       OpenCL C
    .language_version:
      - 2
      - 0
    .max_flat_workgroup_size: 1024
    .name:           _ZN9rocsparseL6kernelILi1024ELi1EfiiEEvbbbT3_PS1_NS_15floating_traitsIT1_E6data_tES1_T2_PKS7_S9_PKS1_PKS4_21rocsparse_index_base_S9_S9_SB_PS4_SF_SE_S9_S9_SB_SF_SF_SE_SF_SF_PS6_SG_PKS6_
    .private_segment_fixed_size: 0
    .sgpr_count:     100
    .sgpr_spill_count: 14
    .symbol:         _ZN9rocsparseL6kernelILi1024ELi1EfiiEEvbbbT3_PS1_NS_15floating_traitsIT1_E6data_tES1_T2_PKS7_S9_PKS1_PKS4_21rocsparse_index_base_S9_S9_SB_PS4_SF_SE_S9_S9_SB_SF_SF_SE_SF_SF_PS6_SG_PKS6_.kd
    .uniform_work_group_size: 1
    .uses_dynamic_stack: false
    .vgpr_count:     39
    .vgpr_spill_count: 0
    .wavefront_size: 64
  - .agpr_count:     0
    .args:
      - .offset:         0
        .size:           1
        .value_kind:     by_value
      - .offset:         1
        .size:           1
        .value_kind:     by_value
      - .offset:         2
        .size:           1
        .value_kind:     by_value
      - .offset:         4
        .size:           4
        .value_kind:     by_value
      - .address_space:  global
        .offset:         8
        .size:           8
        .value_kind:     global_buffer
      - .offset:         16
        .size:           4
        .value_kind:     by_value
      - .offset:         20
        .size:           4
        .value_kind:     by_value
      - .offset:         24
        .size:           4
        .value_kind:     by_value
      - .actual_access:  read_only
        .address_space:  global
        .offset:         32
        .size:           8
        .value_kind:     global_buffer
      - .actual_access:  read_only
        .address_space:  global
        .offset:         40
        .size:           8
        .value_kind:     global_buffer
      - .actual_access:  read_only
        .address_space:  global
        .offset:         48
        .size:           8
        .value_kind:     global_buffer
      - .actual_access:  read_only
        .address_space:  global
        .offset:         56
        .size:           8
        .value_kind:     global_buffer
      - .offset:         64
        .size:           4
        .value_kind:     by_value
      - .actual_access:  read_only
        .address_space:  global
        .offset:         72
        .size:           8
        .value_kind:     global_buffer
      - .actual_access:  read_only
        .address_space:  global
        .offset:         80
        .size:           8
        .value_kind:     global_buffer
      - .actual_access:  read_only
        .address_space:  global
        .offset:         88
        .size:           8
        .value_kind:     global_buffer
      - .address_space:  global
        .offset:         96
        .size:           8
        .value_kind:     global_buffer
      - .address_space:  global
        .offset:         104
        .size:           8
        .value_kind:     global_buffer
      - .offset:         112
        .size:           4
        .value_kind:     by_value
      - .actual_access:  read_only
        .address_space:  global
        .offset:         120
        .size:           8
        .value_kind:     global_buffer
      - .actual_access:  read_only
        .address_space:  global
        .offset:         128
        .size:           8
        .value_kind:     global_buffer
      - .actual_access:  read_only
        .address_space:  global
        .offset:         136
        .size:           8
        .value_kind:     global_buffer
      - .address_space:  global
        .offset:         144
        .size:           8
        .value_kind:     global_buffer
      - .address_space:  global
        .offset:         152
        .size:           8
        .value_kind:     global_buffer
      - .offset:         160
        .size:           4
        .value_kind:     by_value
      - .address_space:  global
        .offset:         168
        .size:           8
        .value_kind:     global_buffer
      - .address_space:  global
        .offset:         176
        .size:           8
        .value_kind:     global_buffer
      - .address_space:  global
        .offset:         184
        .size:           8
        .value_kind:     global_buffer
      - .address_space:  global
        .offset:         192
        .size:           8
        .value_kind:     global_buffer
      - .actual_access:  read_only
        .address_space:  global
        .offset:         200
        .size:           8
        .value_kind:     global_buffer
    .group_segment_fixed_size: 4096
    .kernarg_segment_align: 8
    .kernarg_segment_size: 208
    .language:       OpenCL C
    .language_version:
      - 2
      - 0
    .max_flat_workgroup_size: 1024
    .name:           _ZN9rocsparseL6kernelILi1024ELi2EfiiEEvbbbT3_PS1_NS_15floating_traitsIT1_E6data_tES1_T2_PKS7_S9_PKS1_PKS4_21rocsparse_index_base_S9_S9_SB_PS4_SF_SE_S9_S9_SB_SF_SF_SE_SF_SF_PS6_SG_PKS6_
    .private_segment_fixed_size: 0
    .sgpr_count:     100
    .sgpr_spill_count: 18
    .symbol:         _ZN9rocsparseL6kernelILi1024ELi2EfiiEEvbbbT3_PS1_NS_15floating_traitsIT1_E6data_tES1_T2_PKS7_S9_PKS1_PKS4_21rocsparse_index_base_S9_S9_SB_PS4_SF_SE_S9_S9_SB_SF_SF_SE_SF_SF_PS6_SG_PKS6_.kd
    .uniform_work_group_size: 1
    .uses_dynamic_stack: false
    .vgpr_count:     49
    .vgpr_spill_count: 0
    .wavefront_size: 64
  - .agpr_count:     0
    .args:
      - .offset:         0
        .size:           1
        .value_kind:     by_value
      - .offset:         1
        .size:           1
        .value_kind:     by_value
      - .offset:         2
        .size:           1
        .value_kind:     by_value
      - .offset:         4
        .size:           4
        .value_kind:     by_value
      - .address_space:  global
        .offset:         8
        .size:           8
        .value_kind:     global_buffer
      - .offset:         16
        .size:           4
        .value_kind:     by_value
      - .offset:         20
        .size:           4
        .value_kind:     by_value
      - .offset:         24
        .size:           4
        .value_kind:     by_value
      - .actual_access:  read_only
        .address_space:  global
        .offset:         32
        .size:           8
        .value_kind:     global_buffer
      - .actual_access:  read_only
        .address_space:  global
        .offset:         40
        .size:           8
        .value_kind:     global_buffer
      - .actual_access:  read_only
        .address_space:  global
        .offset:         48
        .size:           8
        .value_kind:     global_buffer
      - .actual_access:  read_only
        .address_space:  global
        .offset:         56
        .size:           8
        .value_kind:     global_buffer
      - .offset:         64
        .size:           4
        .value_kind:     by_value
      - .actual_access:  read_only
        .address_space:  global
        .offset:         72
        .size:           8
        .value_kind:     global_buffer
      - .actual_access:  read_only
        .address_space:  global
        .offset:         80
        .size:           8
        .value_kind:     global_buffer
      - .actual_access:  read_only
        .address_space:  global
        .offset:         88
        .size:           8
        .value_kind:     global_buffer
      - .address_space:  global
        .offset:         96
        .size:           8
        .value_kind:     global_buffer
      - .address_space:  global
        .offset:         104
        .size:           8
        .value_kind:     global_buffer
      - .offset:         112
        .size:           4
        .value_kind:     by_value
      - .actual_access:  read_only
        .address_space:  global
        .offset:         120
        .size:           8
        .value_kind:     global_buffer
      - .actual_access:  read_only
        .address_space:  global
        .offset:         128
        .size:           8
        .value_kind:     global_buffer
      - .actual_access:  read_only
        .address_space:  global
        .offset:         136
        .size:           8
        .value_kind:     global_buffer
      - .address_space:  global
        .offset:         144
        .size:           8
        .value_kind:     global_buffer
      - .address_space:  global
        .offset:         152
        .size:           8
        .value_kind:     global_buffer
      - .offset:         160
        .size:           4
        .value_kind:     by_value
      - .address_space:  global
        .offset:         168
        .size:           8
        .value_kind:     global_buffer
      - .address_space:  global
        .offset:         176
        .size:           8
        .value_kind:     global_buffer
      - .address_space:  global
        .offset:         184
        .size:           8
        .value_kind:     global_buffer
      - .address_space:  global
        .offset:         192
        .size:           8
        .value_kind:     global_buffer
      - .actual_access:  read_only
        .address_space:  global
        .offset:         200
        .size:           8
        .value_kind:     global_buffer
    .group_segment_fixed_size: 2048
    .kernarg_segment_align: 8
    .kernarg_segment_size: 208
    .language:       OpenCL C
    .language_version:
      - 2
      - 0
    .max_flat_workgroup_size: 1024
    .name:           _ZN9rocsparseL6kernelILi1024ELi4EfiiEEvbbbT3_PS1_NS_15floating_traitsIT1_E6data_tES1_T2_PKS7_S9_PKS1_PKS4_21rocsparse_index_base_S9_S9_SB_PS4_SF_SE_S9_S9_SB_SF_SF_SE_SF_SF_PS6_SG_PKS6_
    .private_segment_fixed_size: 0
    .sgpr_count:     100
    .sgpr_spill_count: 16
    .symbol:         _ZN9rocsparseL6kernelILi1024ELi4EfiiEEvbbbT3_PS1_NS_15floating_traitsIT1_E6data_tES1_T2_PKS7_S9_PKS1_PKS4_21rocsparse_index_base_S9_S9_SB_PS4_SF_SE_S9_S9_SB_SF_SF_SE_SF_SF_PS6_SG_PKS6_.kd
    .uniform_work_group_size: 1
    .uses_dynamic_stack: false
    .vgpr_count:     49
    .vgpr_spill_count: 0
    .wavefront_size: 64
  - .agpr_count:     0
    .args:
      - .offset:         0
        .size:           1
        .value_kind:     by_value
      - .offset:         1
        .size:           1
        .value_kind:     by_value
      - .offset:         2
        .size:           1
        .value_kind:     by_value
      - .offset:         4
        .size:           4
        .value_kind:     by_value
      - .address_space:  global
        .offset:         8
        .size:           8
        .value_kind:     global_buffer
      - .offset:         16
        .size:           4
        .value_kind:     by_value
      - .offset:         20
        .size:           4
        .value_kind:     by_value
      - .offset:         24
        .size:           4
        .value_kind:     by_value
      - .actual_access:  read_only
        .address_space:  global
        .offset:         32
        .size:           8
        .value_kind:     global_buffer
      - .actual_access:  read_only
        .address_space:  global
        .offset:         40
        .size:           8
        .value_kind:     global_buffer
      - .actual_access:  read_only
        .address_space:  global
        .offset:         48
        .size:           8
        .value_kind:     global_buffer
      - .actual_access:  read_only
        .address_space:  global
        .offset:         56
        .size:           8
        .value_kind:     global_buffer
      - .offset:         64
        .size:           4
        .value_kind:     by_value
      - .actual_access:  read_only
        .address_space:  global
        .offset:         72
        .size:           8
        .value_kind:     global_buffer
      - .actual_access:  read_only
        .address_space:  global
        .offset:         80
        .size:           8
        .value_kind:     global_buffer
      - .actual_access:  read_only
        .address_space:  global
        .offset:         88
        .size:           8
        .value_kind:     global_buffer
      - .address_space:  global
        .offset:         96
        .size:           8
        .value_kind:     global_buffer
      - .address_space:  global
        .offset:         104
        .size:           8
        .value_kind:     global_buffer
      - .offset:         112
        .size:           4
        .value_kind:     by_value
      - .actual_access:  read_only
        .address_space:  global
        .offset:         120
        .size:           8
        .value_kind:     global_buffer
      - .actual_access:  read_only
        .address_space:  global
        .offset:         128
        .size:           8
        .value_kind:     global_buffer
      - .actual_access:  read_only
        .address_space:  global
        .offset:         136
        .size:           8
        .value_kind:     global_buffer
      - .address_space:  global
        .offset:         144
        .size:           8
        .value_kind:     global_buffer
      - .address_space:  global
        .offset:         152
        .size:           8
        .value_kind:     global_buffer
      - .offset:         160
        .size:           4
        .value_kind:     by_value
      - .address_space:  global
        .offset:         168
        .size:           8
        .value_kind:     global_buffer
      - .address_space:  global
        .offset:         176
        .size:           8
        .value_kind:     global_buffer
      - .address_space:  global
        .offset:         184
        .size:           8
        .value_kind:     global_buffer
      - .address_space:  global
        .offset:         192
        .size:           8
        .value_kind:     global_buffer
      - .actual_access:  read_only
        .address_space:  global
        .offset:         200
        .size:           8
        .value_kind:     global_buffer
    .group_segment_fixed_size: 1024
    .kernarg_segment_align: 8
    .kernarg_segment_size: 208
    .language:       OpenCL C
    .language_version:
      - 2
      - 0
    .max_flat_workgroup_size: 1024
    .name:           _ZN9rocsparseL6kernelILi1024ELi8EfiiEEvbbbT3_PS1_NS_15floating_traitsIT1_E6data_tES1_T2_PKS7_S9_PKS1_PKS4_21rocsparse_index_base_S9_S9_SB_PS4_SF_SE_S9_S9_SB_SF_SF_SE_SF_SF_PS6_SG_PKS6_
    .private_segment_fixed_size: 0
    .sgpr_count:     100
    .sgpr_spill_count: 14
    .symbol:         _ZN9rocsparseL6kernelILi1024ELi8EfiiEEvbbbT3_PS1_NS_15floating_traitsIT1_E6data_tES1_T2_PKS7_S9_PKS1_PKS4_21rocsparse_index_base_S9_S9_SB_PS4_SF_SE_S9_S9_SB_SF_SF_SE_SF_SF_PS6_SG_PKS6_.kd
    .uniform_work_group_size: 1
    .uses_dynamic_stack: false
    .vgpr_count:     49
    .vgpr_spill_count: 0
    .wavefront_size: 64
  - .agpr_count:     0
    .args:
      - .offset:         0
        .size:           1
        .value_kind:     by_value
      - .offset:         1
        .size:           1
        .value_kind:     by_value
      - .offset:         2
        .size:           1
        .value_kind:     by_value
      - .offset:         4
        .size:           4
        .value_kind:     by_value
      - .address_space:  global
        .offset:         8
        .size:           8
        .value_kind:     global_buffer
      - .offset:         16
        .size:           4
        .value_kind:     by_value
      - .offset:         20
        .size:           4
        .value_kind:     by_value
      - .offset:         24
        .size:           4
        .value_kind:     by_value
      - .actual_access:  read_only
        .address_space:  global
        .offset:         32
        .size:           8
        .value_kind:     global_buffer
      - .actual_access:  read_only
        .address_space:  global
        .offset:         40
        .size:           8
        .value_kind:     global_buffer
      - .actual_access:  read_only
        .address_space:  global
        .offset:         48
        .size:           8
        .value_kind:     global_buffer
      - .actual_access:  read_only
        .address_space:  global
        .offset:         56
        .size:           8
        .value_kind:     global_buffer
      - .offset:         64
        .size:           4
        .value_kind:     by_value
      - .actual_access:  read_only
        .address_space:  global
        .offset:         72
        .size:           8
        .value_kind:     global_buffer
      - .actual_access:  read_only
        .address_space:  global
        .offset:         80
        .size:           8
        .value_kind:     global_buffer
      - .actual_access:  read_only
        .address_space:  global
        .offset:         88
        .size:           8
        .value_kind:     global_buffer
      - .address_space:  global
        .offset:         96
        .size:           8
        .value_kind:     global_buffer
      - .address_space:  global
        .offset:         104
        .size:           8
        .value_kind:     global_buffer
      - .offset:         112
        .size:           4
        .value_kind:     by_value
      - .actual_access:  read_only
        .address_space:  global
        .offset:         120
        .size:           8
        .value_kind:     global_buffer
      - .actual_access:  read_only
        .address_space:  global
        .offset:         128
        .size:           8
        .value_kind:     global_buffer
      - .actual_access:  read_only
        .address_space:  global
        .offset:         136
        .size:           8
        .value_kind:     global_buffer
      - .address_space:  global
        .offset:         144
        .size:           8
        .value_kind:     global_buffer
      - .address_space:  global
        .offset:         152
        .size:           8
        .value_kind:     global_buffer
      - .offset:         160
        .size:           4
        .value_kind:     by_value
      - .address_space:  global
        .offset:         168
        .size:           8
        .value_kind:     global_buffer
      - .address_space:  global
        .offset:         176
        .size:           8
        .value_kind:     global_buffer
      - .address_space:  global
        .offset:         184
        .size:           8
        .value_kind:     global_buffer
      - .address_space:  global
        .offset:         192
        .size:           8
        .value_kind:     global_buffer
      - .actual_access:  read_only
        .address_space:  global
        .offset:         200
        .size:           8
        .value_kind:     global_buffer
    .group_segment_fixed_size: 512
    .kernarg_segment_align: 8
    .kernarg_segment_size: 208
    .language:       OpenCL C
    .language_version:
      - 2
      - 0
    .max_flat_workgroup_size: 1024
    .name:           _ZN9rocsparseL6kernelILi1024ELi16EfiiEEvbbbT3_PS1_NS_15floating_traitsIT1_E6data_tES1_T2_PKS7_S9_PKS1_PKS4_21rocsparse_index_base_S9_S9_SB_PS4_SF_SE_S9_S9_SB_SF_SF_SE_SF_SF_PS6_SG_PKS6_
    .private_segment_fixed_size: 0
    .sgpr_count:     100
    .sgpr_spill_count: 12
    .symbol:         _ZN9rocsparseL6kernelILi1024ELi16EfiiEEvbbbT3_PS1_NS_15floating_traitsIT1_E6data_tES1_T2_PKS7_S9_PKS1_PKS4_21rocsparse_index_base_S9_S9_SB_PS4_SF_SE_S9_S9_SB_SF_SF_SE_SF_SF_PS6_SG_PKS6_.kd
    .uniform_work_group_size: 1
    .uses_dynamic_stack: false
    .vgpr_count:     49
    .vgpr_spill_count: 0
    .wavefront_size: 64
  - .agpr_count:     0
    .args:
      - .offset:         0
        .size:           1
        .value_kind:     by_value
      - .offset:         1
        .size:           1
        .value_kind:     by_value
      - .offset:         2
        .size:           1
        .value_kind:     by_value
      - .offset:         4
        .size:           4
        .value_kind:     by_value
      - .address_space:  global
        .offset:         8
        .size:           8
        .value_kind:     global_buffer
      - .offset:         16
        .size:           4
        .value_kind:     by_value
      - .offset:         20
        .size:           4
        .value_kind:     by_value
      - .offset:         24
        .size:           4
        .value_kind:     by_value
      - .actual_access:  read_only
        .address_space:  global
        .offset:         32
        .size:           8
        .value_kind:     global_buffer
      - .actual_access:  read_only
        .address_space:  global
        .offset:         40
        .size:           8
        .value_kind:     global_buffer
      - .actual_access:  read_only
        .address_space:  global
        .offset:         48
        .size:           8
        .value_kind:     global_buffer
      - .actual_access:  read_only
        .address_space:  global
        .offset:         56
        .size:           8
        .value_kind:     global_buffer
      - .offset:         64
        .size:           4
        .value_kind:     by_value
      - .actual_access:  read_only
        .address_space:  global
        .offset:         72
        .size:           8
        .value_kind:     global_buffer
      - .actual_access:  read_only
        .address_space:  global
        .offset:         80
        .size:           8
        .value_kind:     global_buffer
      - .actual_access:  read_only
        .address_space:  global
        .offset:         88
        .size:           8
        .value_kind:     global_buffer
      - .address_space:  global
        .offset:         96
        .size:           8
        .value_kind:     global_buffer
      - .address_space:  global
        .offset:         104
        .size:           8
        .value_kind:     global_buffer
      - .offset:         112
        .size:           4
        .value_kind:     by_value
      - .actual_access:  read_only
        .address_space:  global
        .offset:         120
        .size:           8
        .value_kind:     global_buffer
      - .actual_access:  read_only
        .address_space:  global
        .offset:         128
        .size:           8
        .value_kind:     global_buffer
      - .actual_access:  read_only
        .address_space:  global
        .offset:         136
        .size:           8
        .value_kind:     global_buffer
      - .address_space:  global
        .offset:         144
        .size:           8
        .value_kind:     global_buffer
      - .address_space:  global
        .offset:         152
        .size:           8
        .value_kind:     global_buffer
      - .offset:         160
        .size:           4
        .value_kind:     by_value
      - .address_space:  global
        .offset:         168
        .size:           8
        .value_kind:     global_buffer
      - .address_space:  global
        .offset:         176
        .size:           8
        .value_kind:     global_buffer
      - .address_space:  global
        .offset:         184
        .size:           8
        .value_kind:     global_buffer
      - .address_space:  global
        .offset:         192
        .size:           8
        .value_kind:     global_buffer
      - .actual_access:  read_only
        .address_space:  global
        .offset:         200
        .size:           8
        .value_kind:     global_buffer
    .group_segment_fixed_size: 256
    .kernarg_segment_align: 8
    .kernarg_segment_size: 208
    .language:       OpenCL C
    .language_version:
      - 2
      - 0
    .max_flat_workgroup_size: 1024
    .name:           _ZN9rocsparseL6kernelILi1024ELi32EfiiEEvbbbT3_PS1_NS_15floating_traitsIT1_E6data_tES1_T2_PKS7_S9_PKS1_PKS4_21rocsparse_index_base_S9_S9_SB_PS4_SF_SE_S9_S9_SB_SF_SF_SE_SF_SF_PS6_SG_PKS6_
    .private_segment_fixed_size: 0
    .sgpr_count:     100
    .sgpr_spill_count: 6
    .symbol:         _ZN9rocsparseL6kernelILi1024ELi32EfiiEEvbbbT3_PS1_NS_15floating_traitsIT1_E6data_tES1_T2_PKS7_S9_PKS1_PKS4_21rocsparse_index_base_S9_S9_SB_PS4_SF_SE_S9_S9_SB_SF_SF_SE_SF_SF_PS6_SG_PKS6_.kd
    .uniform_work_group_size: 1
    .uses_dynamic_stack: false
    .vgpr_count:     49
    .vgpr_spill_count: 0
    .wavefront_size: 64
  - .agpr_count:     0
    .args:
      - .offset:         0
        .size:           1
        .value_kind:     by_value
      - .offset:         1
        .size:           1
        .value_kind:     by_value
      - .offset:         2
        .size:           1
        .value_kind:     by_value
      - .offset:         4
        .size:           4
        .value_kind:     by_value
      - .address_space:  global
        .offset:         8
        .size:           8
        .value_kind:     global_buffer
      - .offset:         16
        .size:           4
        .value_kind:     by_value
      - .offset:         20
        .size:           4
        .value_kind:     by_value
      - .offset:         24
        .size:           4
        .value_kind:     by_value
      - .actual_access:  read_only
        .address_space:  global
        .offset:         32
        .size:           8
        .value_kind:     global_buffer
      - .actual_access:  read_only
        .address_space:  global
        .offset:         40
        .size:           8
        .value_kind:     global_buffer
      - .actual_access:  read_only
        .address_space:  global
        .offset:         48
        .size:           8
        .value_kind:     global_buffer
      - .actual_access:  read_only
        .address_space:  global
        .offset:         56
        .size:           8
        .value_kind:     global_buffer
      - .offset:         64
        .size:           4
        .value_kind:     by_value
      - .actual_access:  read_only
        .address_space:  global
        .offset:         72
        .size:           8
        .value_kind:     global_buffer
      - .actual_access:  read_only
        .address_space:  global
        .offset:         80
        .size:           8
        .value_kind:     global_buffer
      - .actual_access:  read_only
        .address_space:  global
        .offset:         88
        .size:           8
        .value_kind:     global_buffer
      - .address_space:  global
        .offset:         96
        .size:           8
        .value_kind:     global_buffer
      - .address_space:  global
        .offset:         104
        .size:           8
        .value_kind:     global_buffer
      - .offset:         112
        .size:           4
        .value_kind:     by_value
      - .actual_access:  read_only
        .address_space:  global
        .offset:         120
        .size:           8
        .value_kind:     global_buffer
      - .actual_access:  read_only
        .address_space:  global
        .offset:         128
        .size:           8
        .value_kind:     global_buffer
      - .actual_access:  read_only
        .address_space:  global
        .offset:         136
        .size:           8
        .value_kind:     global_buffer
      - .address_space:  global
        .offset:         144
        .size:           8
        .value_kind:     global_buffer
      - .address_space:  global
        .offset:         152
        .size:           8
        .value_kind:     global_buffer
      - .offset:         160
        .size:           4
        .value_kind:     by_value
      - .address_space:  global
        .offset:         168
        .size:           8
        .value_kind:     global_buffer
      - .address_space:  global
        .offset:         176
        .size:           8
        .value_kind:     global_buffer
      - .address_space:  global
        .offset:         184
        .size:           8
        .value_kind:     global_buffer
      - .address_space:  global
        .offset:         192
        .size:           8
        .value_kind:     global_buffer
      - .actual_access:  read_only
        .address_space:  global
        .offset:         200
        .size:           8
        .value_kind:     global_buffer
    .group_segment_fixed_size: 128
    .kernarg_segment_align: 8
    .kernarg_segment_size: 208
    .language:       OpenCL C
    .language_version:
      - 2
      - 0
    .max_flat_workgroup_size: 1024
    .name:           _ZN9rocsparseL6kernelILi1024ELi64EfiiEEvbbbT3_PS1_NS_15floating_traitsIT1_E6data_tES1_T2_PKS7_S9_PKS1_PKS4_21rocsparse_index_base_S9_S9_SB_PS4_SF_SE_S9_S9_SB_SF_SF_SE_SF_SF_PS6_SG_PKS6_
    .private_segment_fixed_size: 0
    .sgpr_count:     100
    .sgpr_spill_count: 6
    .symbol:         _ZN9rocsparseL6kernelILi1024ELi64EfiiEEvbbbT3_PS1_NS_15floating_traitsIT1_E6data_tES1_T2_PKS7_S9_PKS1_PKS4_21rocsparse_index_base_S9_S9_SB_PS4_SF_SE_S9_S9_SB_SF_SF_SE_SF_SF_PS6_SG_PKS6_.kd
    .uniform_work_group_size: 1
    .uses_dynamic_stack: false
    .vgpr_count:     49
    .vgpr_spill_count: 0
    .wavefront_size: 64
  - .agpr_count:     0
    .args:
      - .offset:         0
        .size:           4
        .value_kind:     by_value
      - .offset:         4
        .size:           4
        .value_kind:     by_value
      - .offset:         8
        .size:           4
        .value_kind:     by_value
      - .actual_access:  read_only
        .address_space:  global
        .offset:         16
        .size:           8
        .value_kind:     global_buffer
      - .actual_access:  read_only
        .address_space:  global
        .offset:         24
        .size:           8
        .value_kind:     global_buffer
      - .actual_access:  read_only
        .address_space:  global
        .offset:         32
        .size:           8
        .value_kind:     global_buffer
      - .actual_access:  read_only
        .address_space:  global
        .offset:         40
        .size:           8
        .value_kind:     global_buffer
      - .offset:         48
        .size:           4
        .value_kind:     by_value
      - .actual_access:  read_only
        .address_space:  global
        .offset:         56
        .size:           8
        .value_kind:     global_buffer
      - .actual_access:  read_only
        .address_space:  global
        .offset:         64
        .size:           8
        .value_kind:     global_buffer
      - .actual_access:  read_only
        .address_space:  global
        .offset:         72
        .size:           8
        .value_kind:     global_buffer
      - .address_space:  global
        .offset:         80
        .size:           8
        .value_kind:     global_buffer
      - .address_space:  global
        .offset:         88
        .size:           8
        .value_kind:     global_buffer
      - .offset:         96
        .size:           4
        .value_kind:     by_value
      - .actual_access:  read_only
        .address_space:  global
        .offset:         104
        .size:           8
        .value_kind:     global_buffer
      - .actual_access:  read_only
        .address_space:  global
        .offset:         112
        .size:           8
        .value_kind:     global_buffer
      - .actual_access:  read_only
        .address_space:  global
        .offset:         120
        .size:           8
        .value_kind:     global_buffer
      - .address_space:  global
        .offset:         128
        .size:           8
        .value_kind:     global_buffer
      - .address_space:  global
        .offset:         136
        .size:           8
        .value_kind:     global_buffer
      - .offset:         144
        .size:           4
        .value_kind:     by_value
      - .address_space:  global
        .offset:         152
        .size:           8
        .value_kind:     global_buffer
      - .address_space:  global
        .offset:         160
        .size:           8
        .value_kind:     global_buffer
    .group_segment_fixed_size: 0
    .kernarg_segment_align: 8
    .kernarg_segment_size: 168
    .language:       OpenCL C
    .language_version:
      - 2
      - 0
    .max_flat_workgroup_size: 1024
    .name:           _ZN9rocsparseL14kernel_freerunILi1024ELi1EdiiEEvT3_S1_T2_PKS2_S4_PKS1_PKT1_21rocsparse_index_base_S4_S4_S6_PS7_SB_SA_S4_S4_S6_SB_SB_SA_SB_SB_
    .private_segment_fixed_size: 0
    .sgpr_count:     74
    .sgpr_spill_count: 0
    .symbol:         _ZN9rocsparseL14kernel_freerunILi1024ELi1EdiiEEvT3_S1_T2_PKS2_S4_PKS1_PKT1_21rocsparse_index_base_S4_S4_S6_PS7_SB_SA_S4_S4_S6_SB_SB_SA_SB_SB_.kd
    .uniform_work_group_size: 1
    .uses_dynamic_stack: false
    .vgpr_count:     32
    .vgpr_spill_count: 0
    .wavefront_size: 64
  - .agpr_count:     0
    .args:
      - .offset:         0
        .size:           4
        .value_kind:     by_value
      - .offset:         4
        .size:           4
        .value_kind:     by_value
      - .offset:         8
        .size:           4
        .value_kind:     by_value
      - .actual_access:  read_only
        .address_space:  global
        .offset:         16
        .size:           8
        .value_kind:     global_buffer
      - .actual_access:  read_only
        .address_space:  global
        .offset:         24
        .size:           8
        .value_kind:     global_buffer
      - .actual_access:  read_only
        .address_space:  global
        .offset:         32
        .size:           8
        .value_kind:     global_buffer
      - .actual_access:  read_only
        .address_space:  global
        .offset:         40
        .size:           8
        .value_kind:     global_buffer
      - .offset:         48
        .size:           4
        .value_kind:     by_value
      - .actual_access:  read_only
        .address_space:  global
        .offset:         56
        .size:           8
        .value_kind:     global_buffer
      - .actual_access:  read_only
        .address_space:  global
        .offset:         64
        .size:           8
        .value_kind:     global_buffer
      - .actual_access:  read_only
        .address_space:  global
        .offset:         72
        .size:           8
        .value_kind:     global_buffer
      - .address_space:  global
        .offset:         80
        .size:           8
        .value_kind:     global_buffer
      - .address_space:  global
        .offset:         88
        .size:           8
        .value_kind:     global_buffer
      - .offset:         96
        .size:           4
        .value_kind:     by_value
      - .actual_access:  read_only
        .address_space:  global
        .offset:         104
        .size:           8
        .value_kind:     global_buffer
      - .actual_access:  read_only
        .address_space:  global
        .offset:         112
        .size:           8
        .value_kind:     global_buffer
      - .actual_access:  read_only
        .address_space:  global
        .offset:         120
        .size:           8
        .value_kind:     global_buffer
      - .address_space:  global
        .offset:         128
        .size:           8
        .value_kind:     global_buffer
      - .address_space:  global
        .offset:         136
        .size:           8
        .value_kind:     global_buffer
      - .offset:         144
        .size:           4
        .value_kind:     by_value
      - .address_space:  global
        .offset:         152
        .size:           8
        .value_kind:     global_buffer
      - .address_space:  global
        .offset:         160
        .size:           8
        .value_kind:     global_buffer
    .group_segment_fixed_size: 0
    .kernarg_segment_align: 8
    .kernarg_segment_size: 168
    .language:       OpenCL C
    .language_version:
      - 2
      - 0
    .max_flat_workgroup_size: 1024
    .name:           _ZN9rocsparseL14kernel_freerunILi1024ELi2EdiiEEvT3_S1_T2_PKS2_S4_PKS1_PKT1_21rocsparse_index_base_S4_S4_S6_PS7_SB_SA_S4_S4_S6_SB_SB_SA_SB_SB_
    .private_segment_fixed_size: 0
    .sgpr_count:     80
    .sgpr_spill_count: 0
    .symbol:         _ZN9rocsparseL14kernel_freerunILi1024ELi2EdiiEEvT3_S1_T2_PKS2_S4_PKS1_PKT1_21rocsparse_index_base_S4_S4_S6_PS7_SB_SA_S4_S4_S6_SB_SB_SA_SB_SB_.kd
    .uniform_work_group_size: 1
    .uses_dynamic_stack: false
    .vgpr_count:     52
    .vgpr_spill_count: 0
    .wavefront_size: 64
  - .agpr_count:     0
    .args:
      - .offset:         0
        .size:           4
        .value_kind:     by_value
      - .offset:         4
        .size:           4
        .value_kind:     by_value
      - .offset:         8
        .size:           4
        .value_kind:     by_value
      - .actual_access:  read_only
        .address_space:  global
        .offset:         16
        .size:           8
        .value_kind:     global_buffer
      - .actual_access:  read_only
        .address_space:  global
        .offset:         24
        .size:           8
        .value_kind:     global_buffer
      - .actual_access:  read_only
        .address_space:  global
        .offset:         32
        .size:           8
        .value_kind:     global_buffer
      - .actual_access:  read_only
        .address_space:  global
        .offset:         40
        .size:           8
        .value_kind:     global_buffer
      - .offset:         48
        .size:           4
        .value_kind:     by_value
      - .actual_access:  read_only
        .address_space:  global
        .offset:         56
        .size:           8
        .value_kind:     global_buffer
      - .actual_access:  read_only
        .address_space:  global
        .offset:         64
        .size:           8
        .value_kind:     global_buffer
      - .actual_access:  read_only
        .address_space:  global
        .offset:         72
        .size:           8
        .value_kind:     global_buffer
      - .address_space:  global
        .offset:         80
        .size:           8
        .value_kind:     global_buffer
      - .address_space:  global
        .offset:         88
        .size:           8
        .value_kind:     global_buffer
      - .offset:         96
        .size:           4
        .value_kind:     by_value
      - .actual_access:  read_only
        .address_space:  global
        .offset:         104
        .size:           8
        .value_kind:     global_buffer
      - .actual_access:  read_only
        .address_space:  global
        .offset:         112
        .size:           8
        .value_kind:     global_buffer
      - .actual_access:  read_only
        .address_space:  global
        .offset:         120
        .size:           8
        .value_kind:     global_buffer
      - .address_space:  global
        .offset:         128
        .size:           8
        .value_kind:     global_buffer
      - .address_space:  global
        .offset:         136
        .size:           8
        .value_kind:     global_buffer
      - .offset:         144
        .size:           4
        .value_kind:     by_value
      - .address_space:  global
        .offset:         152
        .size:           8
        .value_kind:     global_buffer
      - .address_space:  global
        .offset:         160
        .size:           8
        .value_kind:     global_buffer
    .group_segment_fixed_size: 0
    .kernarg_segment_align: 8
    .kernarg_segment_size: 168
    .language:       OpenCL C
    .language_version:
      - 2
      - 0
    .max_flat_workgroup_size: 1024
    .name:           _ZN9rocsparseL14kernel_freerunILi1024ELi4EdiiEEvT3_S1_T2_PKS2_S4_PKS1_PKT1_21rocsparse_index_base_S4_S4_S6_PS7_SB_SA_S4_S4_S6_SB_SB_SA_SB_SB_
    .private_segment_fixed_size: 0
    .sgpr_count:     78
    .sgpr_spill_count: 0
    .symbol:         _ZN9rocsparseL14kernel_freerunILi1024ELi4EdiiEEvT3_S1_T2_PKS2_S4_PKS1_PKT1_21rocsparse_index_base_S4_S4_S6_PS7_SB_SA_S4_S4_S6_SB_SB_SA_SB_SB_.kd
    .uniform_work_group_size: 1
    .uses_dynamic_stack: false
    .vgpr_count:     36
    .vgpr_spill_count: 0
    .wavefront_size: 64
  - .agpr_count:     0
    .args:
      - .offset:         0
        .size:           4
        .value_kind:     by_value
      - .offset:         4
        .size:           4
        .value_kind:     by_value
      - .offset:         8
        .size:           4
        .value_kind:     by_value
      - .actual_access:  read_only
        .address_space:  global
        .offset:         16
        .size:           8
        .value_kind:     global_buffer
      - .actual_access:  read_only
        .address_space:  global
        .offset:         24
        .size:           8
        .value_kind:     global_buffer
      - .actual_access:  read_only
        .address_space:  global
        .offset:         32
        .size:           8
        .value_kind:     global_buffer
      - .actual_access:  read_only
        .address_space:  global
        .offset:         40
        .size:           8
        .value_kind:     global_buffer
      - .offset:         48
        .size:           4
        .value_kind:     by_value
      - .actual_access:  read_only
        .address_space:  global
        .offset:         56
        .size:           8
        .value_kind:     global_buffer
      - .actual_access:  read_only
        .address_space:  global
        .offset:         64
        .size:           8
        .value_kind:     global_buffer
      - .actual_access:  read_only
        .address_space:  global
        .offset:         72
        .size:           8
        .value_kind:     global_buffer
      - .address_space:  global
        .offset:         80
        .size:           8
        .value_kind:     global_buffer
      - .address_space:  global
        .offset:         88
        .size:           8
        .value_kind:     global_buffer
      - .offset:         96
        .size:           4
        .value_kind:     by_value
      - .actual_access:  read_only
        .address_space:  global
        .offset:         104
        .size:           8
        .value_kind:     global_buffer
      - .actual_access:  read_only
        .address_space:  global
        .offset:         112
        .size:           8
        .value_kind:     global_buffer
      - .actual_access:  read_only
        .address_space:  global
        .offset:         120
        .size:           8
        .value_kind:     global_buffer
      - .address_space:  global
        .offset:         128
        .size:           8
        .value_kind:     global_buffer
      - .address_space:  global
        .offset:         136
        .size:           8
        .value_kind:     global_buffer
      - .offset:         144
        .size:           4
        .value_kind:     by_value
      - .address_space:  global
        .offset:         152
        .size:           8
        .value_kind:     global_buffer
      - .address_space:  global
        .offset:         160
        .size:           8
        .value_kind:     global_buffer
    .group_segment_fixed_size: 0
    .kernarg_segment_align: 8
    .kernarg_segment_size: 168
    .language:       OpenCL C
    .language_version:
      - 2
      - 0
    .max_flat_workgroup_size: 1024
    .name:           _ZN9rocsparseL14kernel_freerunILi1024ELi8EdiiEEvT3_S1_T2_PKS2_S4_PKS1_PKT1_21rocsparse_index_base_S4_S4_S6_PS7_SB_SA_S4_S4_S6_SB_SB_SA_SB_SB_
    .private_segment_fixed_size: 0
    .sgpr_count:     78
    .sgpr_spill_count: 0
    .symbol:         _ZN9rocsparseL14kernel_freerunILi1024ELi8EdiiEEvT3_S1_T2_PKS2_S4_PKS1_PKT1_21rocsparse_index_base_S4_S4_S6_PS7_SB_SA_S4_S4_S6_SB_SB_SA_SB_SB_.kd
    .uniform_work_group_size: 1
    .uses_dynamic_stack: false
    .vgpr_count:     36
    .vgpr_spill_count: 0
    .wavefront_size: 64
  - .agpr_count:     0
    .args:
      - .offset:         0
        .size:           4
        .value_kind:     by_value
      - .offset:         4
        .size:           4
        .value_kind:     by_value
      - .offset:         8
        .size:           4
        .value_kind:     by_value
      - .actual_access:  read_only
        .address_space:  global
        .offset:         16
        .size:           8
        .value_kind:     global_buffer
      - .actual_access:  read_only
        .address_space:  global
        .offset:         24
        .size:           8
        .value_kind:     global_buffer
      - .actual_access:  read_only
        .address_space:  global
        .offset:         32
        .size:           8
        .value_kind:     global_buffer
      - .actual_access:  read_only
        .address_space:  global
        .offset:         40
        .size:           8
        .value_kind:     global_buffer
      - .offset:         48
        .size:           4
        .value_kind:     by_value
      - .actual_access:  read_only
        .address_space:  global
        .offset:         56
        .size:           8
        .value_kind:     global_buffer
      - .actual_access:  read_only
        .address_space:  global
        .offset:         64
        .size:           8
        .value_kind:     global_buffer
      - .actual_access:  read_only
        .address_space:  global
        .offset:         72
        .size:           8
        .value_kind:     global_buffer
      - .address_space:  global
        .offset:         80
        .size:           8
        .value_kind:     global_buffer
      - .address_space:  global
        .offset:         88
        .size:           8
        .value_kind:     global_buffer
      - .offset:         96
        .size:           4
        .value_kind:     by_value
      - .actual_access:  read_only
        .address_space:  global
        .offset:         104
        .size:           8
        .value_kind:     global_buffer
      - .actual_access:  read_only
        .address_space:  global
        .offset:         112
        .size:           8
        .value_kind:     global_buffer
      - .actual_access:  read_only
        .address_space:  global
        .offset:         120
        .size:           8
        .value_kind:     global_buffer
      - .address_space:  global
        .offset:         128
        .size:           8
        .value_kind:     global_buffer
      - .address_space:  global
        .offset:         136
        .size:           8
        .value_kind:     global_buffer
      - .offset:         144
        .size:           4
        .value_kind:     by_value
      - .address_space:  global
        .offset:         152
        .size:           8
        .value_kind:     global_buffer
      - .address_space:  global
        .offset:         160
        .size:           8
        .value_kind:     global_buffer
    .group_segment_fixed_size: 0
    .kernarg_segment_align: 8
    .kernarg_segment_size: 168
    .language:       OpenCL C
    .language_version:
      - 2
      - 0
    .max_flat_workgroup_size: 1024
    .name:           _ZN9rocsparseL14kernel_freerunILi1024ELi16EdiiEEvT3_S1_T2_PKS2_S4_PKS1_PKT1_21rocsparse_index_base_S4_S4_S6_PS7_SB_SA_S4_S4_S6_SB_SB_SA_SB_SB_
    .private_segment_fixed_size: 0
    .sgpr_count:     78
    .sgpr_spill_count: 0
    .symbol:         _ZN9rocsparseL14kernel_freerunILi1024ELi16EdiiEEvT3_S1_T2_PKS2_S4_PKS1_PKT1_21rocsparse_index_base_S4_S4_S6_PS7_SB_SA_S4_S4_S6_SB_SB_SA_SB_SB_.kd
    .uniform_work_group_size: 1
    .uses_dynamic_stack: false
    .vgpr_count:     36
    .vgpr_spill_count: 0
    .wavefront_size: 64
  - .agpr_count:     0
    .args:
      - .offset:         0
        .size:           4
        .value_kind:     by_value
      - .offset:         4
        .size:           4
        .value_kind:     by_value
      - .offset:         8
        .size:           4
        .value_kind:     by_value
      - .actual_access:  read_only
        .address_space:  global
        .offset:         16
        .size:           8
        .value_kind:     global_buffer
      - .actual_access:  read_only
        .address_space:  global
        .offset:         24
        .size:           8
        .value_kind:     global_buffer
      - .actual_access:  read_only
        .address_space:  global
        .offset:         32
        .size:           8
        .value_kind:     global_buffer
      - .actual_access:  read_only
        .address_space:  global
        .offset:         40
        .size:           8
        .value_kind:     global_buffer
      - .offset:         48
        .size:           4
        .value_kind:     by_value
      - .actual_access:  read_only
        .address_space:  global
        .offset:         56
        .size:           8
        .value_kind:     global_buffer
      - .actual_access:  read_only
        .address_space:  global
        .offset:         64
        .size:           8
        .value_kind:     global_buffer
      - .actual_access:  read_only
        .address_space:  global
        .offset:         72
        .size:           8
        .value_kind:     global_buffer
      - .address_space:  global
        .offset:         80
        .size:           8
        .value_kind:     global_buffer
      - .address_space:  global
        .offset:         88
        .size:           8
        .value_kind:     global_buffer
      - .offset:         96
        .size:           4
        .value_kind:     by_value
      - .actual_access:  read_only
        .address_space:  global
        .offset:         104
        .size:           8
        .value_kind:     global_buffer
      - .actual_access:  read_only
        .address_space:  global
        .offset:         112
        .size:           8
        .value_kind:     global_buffer
      - .actual_access:  read_only
        .address_space:  global
        .offset:         120
        .size:           8
        .value_kind:     global_buffer
      - .address_space:  global
        .offset:         128
        .size:           8
        .value_kind:     global_buffer
      - .address_space:  global
        .offset:         136
        .size:           8
        .value_kind:     global_buffer
      - .offset:         144
        .size:           4
        .value_kind:     by_value
      - .address_space:  global
        .offset:         152
        .size:           8
        .value_kind:     global_buffer
      - .address_space:  global
        .offset:         160
        .size:           8
        .value_kind:     global_buffer
    .group_segment_fixed_size: 0
    .kernarg_segment_align: 8
    .kernarg_segment_size: 168
    .language:       OpenCL C
    .language_version:
      - 2
      - 0
    .max_flat_workgroup_size: 1024
    .name:           _ZN9rocsparseL14kernel_freerunILi1024ELi32EdiiEEvT3_S1_T2_PKS2_S4_PKS1_PKT1_21rocsparse_index_base_S4_S4_S6_PS7_SB_SA_S4_S4_S6_SB_SB_SA_SB_SB_
    .private_segment_fixed_size: 0
    .sgpr_count:     78
    .sgpr_spill_count: 0
    .symbol:         _ZN9rocsparseL14kernel_freerunILi1024ELi32EdiiEEvT3_S1_T2_PKS2_S4_PKS1_PKT1_21rocsparse_index_base_S4_S4_S6_PS7_SB_SA_S4_S4_S6_SB_SB_SA_SB_SB_.kd
    .uniform_work_group_size: 1
    .uses_dynamic_stack: false
    .vgpr_count:     36
    .vgpr_spill_count: 0
    .wavefront_size: 64
  - .agpr_count:     0
    .args:
      - .offset:         0
        .size:           4
        .value_kind:     by_value
      - .offset:         4
        .size:           4
        .value_kind:     by_value
      - .offset:         8
        .size:           4
        .value_kind:     by_value
      - .actual_access:  read_only
        .address_space:  global
        .offset:         16
        .size:           8
        .value_kind:     global_buffer
      - .actual_access:  read_only
        .address_space:  global
        .offset:         24
        .size:           8
        .value_kind:     global_buffer
      - .actual_access:  read_only
        .address_space:  global
        .offset:         32
        .size:           8
        .value_kind:     global_buffer
      - .actual_access:  read_only
        .address_space:  global
        .offset:         40
        .size:           8
        .value_kind:     global_buffer
      - .offset:         48
        .size:           4
        .value_kind:     by_value
      - .actual_access:  read_only
        .address_space:  global
        .offset:         56
        .size:           8
        .value_kind:     global_buffer
      - .actual_access:  read_only
        .address_space:  global
        .offset:         64
        .size:           8
        .value_kind:     global_buffer
      - .actual_access:  read_only
        .address_space:  global
        .offset:         72
        .size:           8
        .value_kind:     global_buffer
      - .address_space:  global
        .offset:         80
        .size:           8
        .value_kind:     global_buffer
      - .address_space:  global
        .offset:         88
        .size:           8
        .value_kind:     global_buffer
      - .offset:         96
        .size:           4
        .value_kind:     by_value
      - .actual_access:  read_only
        .address_space:  global
        .offset:         104
        .size:           8
        .value_kind:     global_buffer
      - .actual_access:  read_only
        .address_space:  global
        .offset:         112
        .size:           8
        .value_kind:     global_buffer
      - .actual_access:  read_only
        .address_space:  global
        .offset:         120
        .size:           8
        .value_kind:     global_buffer
      - .address_space:  global
        .offset:         128
        .size:           8
        .value_kind:     global_buffer
      - .address_space:  global
        .offset:         136
        .size:           8
        .value_kind:     global_buffer
      - .offset:         144
        .size:           4
        .value_kind:     by_value
      - .address_space:  global
        .offset:         152
        .size:           8
        .value_kind:     global_buffer
      - .address_space:  global
        .offset:         160
        .size:           8
        .value_kind:     global_buffer
    .group_segment_fixed_size: 0
    .kernarg_segment_align: 8
    .kernarg_segment_size: 168
    .language:       OpenCL C
    .language_version:
      - 2
      - 0
    .max_flat_workgroup_size: 1024
    .name:           _ZN9rocsparseL14kernel_freerunILi1024ELi64EdiiEEvT3_S1_T2_PKS2_S4_PKS1_PKT1_21rocsparse_index_base_S4_S4_S6_PS7_SB_SA_S4_S4_S6_SB_SB_SA_SB_SB_
    .private_segment_fixed_size: 0
    .sgpr_count:     78
    .sgpr_spill_count: 0
    .symbol:         _ZN9rocsparseL14kernel_freerunILi1024ELi64EdiiEEvT3_S1_T2_PKS2_S4_PKS1_PKT1_21rocsparse_index_base_S4_S4_S6_PS7_SB_SA_S4_S4_S6_SB_SB_SA_SB_SB_.kd
    .uniform_work_group_size: 1
    .uses_dynamic_stack: false
    .vgpr_count:     36
    .vgpr_spill_count: 0
    .wavefront_size: 64
  - .agpr_count:     0
    .args:
      - .offset:         0
        .size:           1
        .value_kind:     by_value
      - .offset:         1
        .size:           1
        .value_kind:     by_value
      - .offset:         2
        .size:           1
        .value_kind:     by_value
      - .offset:         4
        .size:           4
        .value_kind:     by_value
      - .address_space:  global
        .offset:         8
        .size:           8
        .value_kind:     global_buffer
      - .offset:         16
        .size:           8
        .value_kind:     by_value
      - .offset:         24
        .size:           4
        .value_kind:     by_value
      - .offset:         28
        .size:           4
        .value_kind:     by_value
      - .actual_access:  read_only
        .address_space:  global
        .offset:         32
        .size:           8
        .value_kind:     global_buffer
      - .actual_access:  read_only
        .address_space:  global
        .offset:         40
        .size:           8
        .value_kind:     global_buffer
      - .actual_access:  read_only
        .address_space:  global
        .offset:         48
        .size:           8
        .value_kind:     global_buffer
      - .actual_access:  read_only
        .address_space:  global
        .offset:         56
        .size:           8
        .value_kind:     global_buffer
      - .offset:         64
        .size:           4
        .value_kind:     by_value
      - .actual_access:  read_only
        .address_space:  global
        .offset:         72
        .size:           8
        .value_kind:     global_buffer
      - .actual_access:  read_only
        .address_space:  global
        .offset:         80
        .size:           8
        .value_kind:     global_buffer
      - .actual_access:  read_only
        .address_space:  global
        .offset:         88
        .size:           8
        .value_kind:     global_buffer
      - .address_space:  global
        .offset:         96
        .size:           8
        .value_kind:     global_buffer
      - .address_space:  global
        .offset:         104
        .size:           8
        .value_kind:     global_buffer
      - .offset:         112
        .size:           4
        .value_kind:     by_value
      - .actual_access:  read_only
        .address_space:  global
        .offset:         120
        .size:           8
        .value_kind:     global_buffer
      - .actual_access:  read_only
        .address_space:  global
        .offset:         128
        .size:           8
        .value_kind:     global_buffer
      - .actual_access:  read_only
        .address_space:  global
        .offset:         136
        .size:           8
        .value_kind:     global_buffer
      - .address_space:  global
        .offset:         144
        .size:           8
        .value_kind:     global_buffer
      - .address_space:  global
        .offset:         152
        .size:           8
        .value_kind:     global_buffer
      - .offset:         160
        .size:           4
        .value_kind:     by_value
      - .address_space:  global
        .offset:         168
        .size:           8
        .value_kind:     global_buffer
      - .address_space:  global
        .offset:         176
        .size:           8
        .value_kind:     global_buffer
      - .address_space:  global
        .offset:         184
        .size:           8
        .value_kind:     global_buffer
      - .address_space:  global
        .offset:         192
        .size:           8
        .value_kind:     global_buffer
      - .actual_access:  read_only
        .address_space:  global
        .offset:         200
        .size:           8
        .value_kind:     global_buffer
    .group_segment_fixed_size: 12288
    .kernarg_segment_align: 8
    .kernarg_segment_size: 208
    .language:       OpenCL C
    .language_version:
      - 2
      - 0
    .max_flat_workgroup_size: 1024
    .name:           _ZN9rocsparseL6kernelILi1024ELi1EdiiEEvbbbT3_PS1_NS_15floating_traitsIT1_E6data_tES1_T2_PKS7_S9_PKS1_PKS4_21rocsparse_index_base_S9_S9_SB_PS4_SF_SE_S9_S9_SB_SF_SF_SE_SF_SF_PS6_SG_PKS6_
    .private_segment_fixed_size: 0
    .sgpr_count:     100
    .sgpr_spill_count: 16
    .symbol:         _ZN9rocsparseL6kernelILi1024ELi1EdiiEEvbbbT3_PS1_NS_15floating_traitsIT1_E6data_tES1_T2_PKS7_S9_PKS1_PKS4_21rocsparse_index_base_S9_S9_SB_PS4_SF_SE_S9_S9_SB_SF_SF_SE_SF_SF_PS6_SG_PKS6_.kd
    .uniform_work_group_size: 1
    .uses_dynamic_stack: false
    .vgpr_count:     43
    .vgpr_spill_count: 0
    .wavefront_size: 64
  - .agpr_count:     0
    .args:
      - .offset:         0
        .size:           1
        .value_kind:     by_value
      - .offset:         1
        .size:           1
        .value_kind:     by_value
      - .offset:         2
        .size:           1
        .value_kind:     by_value
      - .offset:         4
        .size:           4
        .value_kind:     by_value
      - .address_space:  global
        .offset:         8
        .size:           8
        .value_kind:     global_buffer
      - .offset:         16
        .size:           8
        .value_kind:     by_value
      - .offset:         24
        .size:           4
        .value_kind:     by_value
      - .offset:         28
        .size:           4
        .value_kind:     by_value
      - .actual_access:  read_only
        .address_space:  global
        .offset:         32
        .size:           8
        .value_kind:     global_buffer
      - .actual_access:  read_only
        .address_space:  global
        .offset:         40
        .size:           8
        .value_kind:     global_buffer
      - .actual_access:  read_only
        .address_space:  global
        .offset:         48
        .size:           8
        .value_kind:     global_buffer
      - .actual_access:  read_only
        .address_space:  global
        .offset:         56
        .size:           8
        .value_kind:     global_buffer
      - .offset:         64
        .size:           4
        .value_kind:     by_value
      - .actual_access:  read_only
        .address_space:  global
        .offset:         72
        .size:           8
        .value_kind:     global_buffer
      - .actual_access:  read_only
        .address_space:  global
        .offset:         80
        .size:           8
        .value_kind:     global_buffer
      - .actual_access:  read_only
        .address_space:  global
        .offset:         88
        .size:           8
        .value_kind:     global_buffer
      - .address_space:  global
        .offset:         96
        .size:           8
        .value_kind:     global_buffer
      - .address_space:  global
        .offset:         104
        .size:           8
        .value_kind:     global_buffer
      - .offset:         112
        .size:           4
        .value_kind:     by_value
      - .actual_access:  read_only
        .address_space:  global
        .offset:         120
        .size:           8
        .value_kind:     global_buffer
      - .actual_access:  read_only
        .address_space:  global
        .offset:         128
        .size:           8
        .value_kind:     global_buffer
      - .actual_access:  read_only
        .address_space:  global
        .offset:         136
        .size:           8
        .value_kind:     global_buffer
      - .address_space:  global
        .offset:         144
        .size:           8
        .value_kind:     global_buffer
      - .address_space:  global
        .offset:         152
        .size:           8
        .value_kind:     global_buffer
      - .offset:         160
        .size:           4
        .value_kind:     by_value
      - .address_space:  global
        .offset:         168
        .size:           8
        .value_kind:     global_buffer
      - .address_space:  global
        .offset:         176
        .size:           8
        .value_kind:     global_buffer
      - .address_space:  global
        .offset:         184
        .size:           8
        .value_kind:     global_buffer
      - .address_space:  global
        .offset:         192
        .size:           8
        .value_kind:     global_buffer
      - .actual_access:  read_only
        .address_space:  global
        .offset:         200
        .size:           8
        .value_kind:     global_buffer
    .group_segment_fixed_size: 6144
    .kernarg_segment_align: 8
    .kernarg_segment_size: 208
    .language:       OpenCL C
    .language_version:
      - 2
      - 0
    .max_flat_workgroup_size: 1024
    .name:           _ZN9rocsparseL6kernelILi1024ELi2EdiiEEvbbbT3_PS1_NS_15floating_traitsIT1_E6data_tES1_T2_PKS7_S9_PKS1_PKS4_21rocsparse_index_base_S9_S9_SB_PS4_SF_SE_S9_S9_SB_SF_SF_SE_SF_SF_PS6_SG_PKS6_
    .private_segment_fixed_size: 0
    .sgpr_count:     100
    .sgpr_spill_count: 24
    .symbol:         _ZN9rocsparseL6kernelILi1024ELi2EdiiEEvbbbT3_PS1_NS_15floating_traitsIT1_E6data_tES1_T2_PKS7_S9_PKS1_PKS4_21rocsparse_index_base_S9_S9_SB_PS4_SF_SE_S9_S9_SB_SF_SF_SE_SF_SF_PS6_SG_PKS6_.kd
    .uniform_work_group_size: 1
    .uses_dynamic_stack: false
    .vgpr_count:     49
    .vgpr_spill_count: 0
    .wavefront_size: 64
  - .agpr_count:     0
    .args:
      - .offset:         0
        .size:           1
        .value_kind:     by_value
      - .offset:         1
        .size:           1
        .value_kind:     by_value
      - .offset:         2
        .size:           1
        .value_kind:     by_value
      - .offset:         4
        .size:           4
        .value_kind:     by_value
      - .address_space:  global
        .offset:         8
        .size:           8
        .value_kind:     global_buffer
      - .offset:         16
        .size:           8
        .value_kind:     by_value
      - .offset:         24
        .size:           4
        .value_kind:     by_value
      - .offset:         28
        .size:           4
        .value_kind:     by_value
      - .actual_access:  read_only
        .address_space:  global
        .offset:         32
        .size:           8
        .value_kind:     global_buffer
      - .actual_access:  read_only
        .address_space:  global
        .offset:         40
        .size:           8
        .value_kind:     global_buffer
      - .actual_access:  read_only
        .address_space:  global
        .offset:         48
        .size:           8
        .value_kind:     global_buffer
      - .actual_access:  read_only
        .address_space:  global
        .offset:         56
        .size:           8
        .value_kind:     global_buffer
      - .offset:         64
        .size:           4
        .value_kind:     by_value
      - .actual_access:  read_only
        .address_space:  global
        .offset:         72
        .size:           8
        .value_kind:     global_buffer
      - .actual_access:  read_only
        .address_space:  global
        .offset:         80
        .size:           8
        .value_kind:     global_buffer
      - .actual_access:  read_only
        .address_space:  global
        .offset:         88
        .size:           8
        .value_kind:     global_buffer
      - .address_space:  global
        .offset:         96
        .size:           8
        .value_kind:     global_buffer
      - .address_space:  global
        .offset:         104
        .size:           8
        .value_kind:     global_buffer
      - .offset:         112
        .size:           4
        .value_kind:     by_value
      - .actual_access:  read_only
        .address_space:  global
        .offset:         120
        .size:           8
        .value_kind:     global_buffer
      - .actual_access:  read_only
        .address_space:  global
        .offset:         128
        .size:           8
        .value_kind:     global_buffer
      - .actual_access:  read_only
        .address_space:  global
        .offset:         136
        .size:           8
        .value_kind:     global_buffer
      - .address_space:  global
        .offset:         144
        .size:           8
        .value_kind:     global_buffer
      - .address_space:  global
        .offset:         152
        .size:           8
        .value_kind:     global_buffer
      - .offset:         160
        .size:           4
        .value_kind:     by_value
      - .address_space:  global
        .offset:         168
        .size:           8
        .value_kind:     global_buffer
      - .address_space:  global
        .offset:         176
        .size:           8
        .value_kind:     global_buffer
      - .address_space:  global
        .offset:         184
        .size:           8
        .value_kind:     global_buffer
      - .address_space:  global
        .offset:         192
        .size:           8
        .value_kind:     global_buffer
      - .actual_access:  read_only
        .address_space:  global
        .offset:         200
        .size:           8
        .value_kind:     global_buffer
    .group_segment_fixed_size: 3072
    .kernarg_segment_align: 8
    .kernarg_segment_size: 208
    .language:       OpenCL C
    .language_version:
      - 2
      - 0
    .max_flat_workgroup_size: 1024
    .name:           _ZN9rocsparseL6kernelILi1024ELi4EdiiEEvbbbT3_PS1_NS_15floating_traitsIT1_E6data_tES1_T2_PKS7_S9_PKS1_PKS4_21rocsparse_index_base_S9_S9_SB_PS4_SF_SE_S9_S9_SB_SF_SF_SE_SF_SF_PS6_SG_PKS6_
    .private_segment_fixed_size: 0
    .sgpr_count:     100
    .sgpr_spill_count: 22
    .symbol:         _ZN9rocsparseL6kernelILi1024ELi4EdiiEEvbbbT3_PS1_NS_15floating_traitsIT1_E6data_tES1_T2_PKS7_S9_PKS1_PKS4_21rocsparse_index_base_S9_S9_SB_PS4_SF_SE_S9_S9_SB_SF_SF_SE_SF_SF_PS6_SG_PKS6_.kd
    .uniform_work_group_size: 1
    .uses_dynamic_stack: false
    .vgpr_count:     49
    .vgpr_spill_count: 0
    .wavefront_size: 64
  - .agpr_count:     0
    .args:
      - .offset:         0
        .size:           1
        .value_kind:     by_value
      - .offset:         1
        .size:           1
        .value_kind:     by_value
      - .offset:         2
        .size:           1
        .value_kind:     by_value
      - .offset:         4
        .size:           4
        .value_kind:     by_value
      - .address_space:  global
        .offset:         8
        .size:           8
        .value_kind:     global_buffer
      - .offset:         16
        .size:           8
        .value_kind:     by_value
      - .offset:         24
        .size:           4
        .value_kind:     by_value
      - .offset:         28
        .size:           4
        .value_kind:     by_value
      - .actual_access:  read_only
        .address_space:  global
        .offset:         32
        .size:           8
        .value_kind:     global_buffer
      - .actual_access:  read_only
        .address_space:  global
        .offset:         40
        .size:           8
        .value_kind:     global_buffer
      - .actual_access:  read_only
        .address_space:  global
        .offset:         48
        .size:           8
        .value_kind:     global_buffer
      - .actual_access:  read_only
        .address_space:  global
        .offset:         56
        .size:           8
        .value_kind:     global_buffer
      - .offset:         64
        .size:           4
        .value_kind:     by_value
      - .actual_access:  read_only
        .address_space:  global
        .offset:         72
        .size:           8
        .value_kind:     global_buffer
      - .actual_access:  read_only
        .address_space:  global
        .offset:         80
        .size:           8
        .value_kind:     global_buffer
      - .actual_access:  read_only
        .address_space:  global
        .offset:         88
        .size:           8
        .value_kind:     global_buffer
      - .address_space:  global
        .offset:         96
        .size:           8
        .value_kind:     global_buffer
      - .address_space:  global
        .offset:         104
        .size:           8
        .value_kind:     global_buffer
      - .offset:         112
        .size:           4
        .value_kind:     by_value
      - .actual_access:  read_only
        .address_space:  global
        .offset:         120
        .size:           8
        .value_kind:     global_buffer
      - .actual_access:  read_only
        .address_space:  global
        .offset:         128
        .size:           8
        .value_kind:     global_buffer
      - .actual_access:  read_only
        .address_space:  global
        .offset:         136
        .size:           8
        .value_kind:     global_buffer
      - .address_space:  global
        .offset:         144
        .size:           8
        .value_kind:     global_buffer
      - .address_space:  global
        .offset:         152
        .size:           8
        .value_kind:     global_buffer
      - .offset:         160
        .size:           4
        .value_kind:     by_value
      - .address_space:  global
        .offset:         168
        .size:           8
        .value_kind:     global_buffer
      - .address_space:  global
        .offset:         176
        .size:           8
        .value_kind:     global_buffer
      - .address_space:  global
        .offset:         184
        .size:           8
        .value_kind:     global_buffer
      - .address_space:  global
        .offset:         192
        .size:           8
        .value_kind:     global_buffer
      - .actual_access:  read_only
        .address_space:  global
        .offset:         200
        .size:           8
        .value_kind:     global_buffer
    .group_segment_fixed_size: 1536
    .kernarg_segment_align: 8
    .kernarg_segment_size: 208
    .language:       OpenCL C
    .language_version:
      - 2
      - 0
    .max_flat_workgroup_size: 1024
    .name:           _ZN9rocsparseL6kernelILi1024ELi8EdiiEEvbbbT3_PS1_NS_15floating_traitsIT1_E6data_tES1_T2_PKS7_S9_PKS1_PKS4_21rocsparse_index_base_S9_S9_SB_PS4_SF_SE_S9_S9_SB_SF_SF_SE_SF_SF_PS6_SG_PKS6_
    .private_segment_fixed_size: 0
    .sgpr_count:     100
    .sgpr_spill_count: 20
    .symbol:         _ZN9rocsparseL6kernelILi1024ELi8EdiiEEvbbbT3_PS1_NS_15floating_traitsIT1_E6data_tES1_T2_PKS7_S9_PKS1_PKS4_21rocsparse_index_base_S9_S9_SB_PS4_SF_SE_S9_S9_SB_SF_SF_SE_SF_SF_PS6_SG_PKS6_.kd
    .uniform_work_group_size: 1
    .uses_dynamic_stack: false
    .vgpr_count:     49
    .vgpr_spill_count: 0
    .wavefront_size: 64
  - .agpr_count:     0
    .args:
      - .offset:         0
        .size:           1
        .value_kind:     by_value
      - .offset:         1
        .size:           1
        .value_kind:     by_value
      - .offset:         2
        .size:           1
        .value_kind:     by_value
      - .offset:         4
        .size:           4
        .value_kind:     by_value
      - .address_space:  global
        .offset:         8
        .size:           8
        .value_kind:     global_buffer
      - .offset:         16
        .size:           8
        .value_kind:     by_value
      - .offset:         24
        .size:           4
        .value_kind:     by_value
      - .offset:         28
        .size:           4
        .value_kind:     by_value
      - .actual_access:  read_only
        .address_space:  global
        .offset:         32
        .size:           8
        .value_kind:     global_buffer
      - .actual_access:  read_only
        .address_space:  global
        .offset:         40
        .size:           8
        .value_kind:     global_buffer
      - .actual_access:  read_only
        .address_space:  global
        .offset:         48
        .size:           8
        .value_kind:     global_buffer
      - .actual_access:  read_only
        .address_space:  global
        .offset:         56
        .size:           8
        .value_kind:     global_buffer
      - .offset:         64
        .size:           4
        .value_kind:     by_value
      - .actual_access:  read_only
        .address_space:  global
        .offset:         72
        .size:           8
        .value_kind:     global_buffer
      - .actual_access:  read_only
        .address_space:  global
        .offset:         80
        .size:           8
        .value_kind:     global_buffer
      - .actual_access:  read_only
        .address_space:  global
        .offset:         88
        .size:           8
        .value_kind:     global_buffer
      - .address_space:  global
        .offset:         96
        .size:           8
        .value_kind:     global_buffer
      - .address_space:  global
        .offset:         104
        .size:           8
        .value_kind:     global_buffer
      - .offset:         112
        .size:           4
        .value_kind:     by_value
      - .actual_access:  read_only
        .address_space:  global
        .offset:         120
        .size:           8
        .value_kind:     global_buffer
      - .actual_access:  read_only
        .address_space:  global
        .offset:         128
        .size:           8
        .value_kind:     global_buffer
      - .actual_access:  read_only
        .address_space:  global
        .offset:         136
        .size:           8
        .value_kind:     global_buffer
      - .address_space:  global
        .offset:         144
        .size:           8
        .value_kind:     global_buffer
      - .address_space:  global
        .offset:         152
        .size:           8
        .value_kind:     global_buffer
      - .offset:         160
        .size:           4
        .value_kind:     by_value
      - .address_space:  global
        .offset:         168
        .size:           8
        .value_kind:     global_buffer
      - .address_space:  global
        .offset:         176
        .size:           8
        .value_kind:     global_buffer
      - .address_space:  global
        .offset:         184
        .size:           8
        .value_kind:     global_buffer
      - .address_space:  global
        .offset:         192
        .size:           8
        .value_kind:     global_buffer
      - .actual_access:  read_only
        .address_space:  global
        .offset:         200
        .size:           8
        .value_kind:     global_buffer
    .group_segment_fixed_size: 768
    .kernarg_segment_align: 8
    .kernarg_segment_size: 208
    .language:       OpenCL C
    .language_version:
      - 2
      - 0
    .max_flat_workgroup_size: 1024
    .name:           _ZN9rocsparseL6kernelILi1024ELi16EdiiEEvbbbT3_PS1_NS_15floating_traitsIT1_E6data_tES1_T2_PKS7_S9_PKS1_PKS4_21rocsparse_index_base_S9_S9_SB_PS4_SF_SE_S9_S9_SB_SF_SF_SE_SF_SF_PS6_SG_PKS6_
    .private_segment_fixed_size: 0
    .sgpr_count:     100
    .sgpr_spill_count: 16
    .symbol:         _ZN9rocsparseL6kernelILi1024ELi16EdiiEEvbbbT3_PS1_NS_15floating_traitsIT1_E6data_tES1_T2_PKS7_S9_PKS1_PKS4_21rocsparse_index_base_S9_S9_SB_PS4_SF_SE_S9_S9_SB_SF_SF_SE_SF_SF_PS6_SG_PKS6_.kd
    .uniform_work_group_size: 1
    .uses_dynamic_stack: false
    .vgpr_count:     49
    .vgpr_spill_count: 0
    .wavefront_size: 64
  - .agpr_count:     0
    .args:
      - .offset:         0
        .size:           1
        .value_kind:     by_value
      - .offset:         1
        .size:           1
        .value_kind:     by_value
      - .offset:         2
        .size:           1
        .value_kind:     by_value
      - .offset:         4
        .size:           4
        .value_kind:     by_value
      - .address_space:  global
        .offset:         8
        .size:           8
        .value_kind:     global_buffer
      - .offset:         16
        .size:           8
        .value_kind:     by_value
      - .offset:         24
        .size:           4
        .value_kind:     by_value
      - .offset:         28
        .size:           4
        .value_kind:     by_value
      - .actual_access:  read_only
        .address_space:  global
        .offset:         32
        .size:           8
        .value_kind:     global_buffer
      - .actual_access:  read_only
        .address_space:  global
        .offset:         40
        .size:           8
        .value_kind:     global_buffer
      - .actual_access:  read_only
        .address_space:  global
        .offset:         48
        .size:           8
        .value_kind:     global_buffer
      - .actual_access:  read_only
        .address_space:  global
        .offset:         56
        .size:           8
        .value_kind:     global_buffer
      - .offset:         64
        .size:           4
        .value_kind:     by_value
      - .actual_access:  read_only
        .address_space:  global
        .offset:         72
        .size:           8
        .value_kind:     global_buffer
      - .actual_access:  read_only
        .address_space:  global
        .offset:         80
        .size:           8
        .value_kind:     global_buffer
      - .actual_access:  read_only
        .address_space:  global
        .offset:         88
        .size:           8
        .value_kind:     global_buffer
      - .address_space:  global
        .offset:         96
        .size:           8
        .value_kind:     global_buffer
      - .address_space:  global
        .offset:         104
        .size:           8
        .value_kind:     global_buffer
      - .offset:         112
        .size:           4
        .value_kind:     by_value
      - .actual_access:  read_only
        .address_space:  global
        .offset:         120
        .size:           8
        .value_kind:     global_buffer
      - .actual_access:  read_only
        .address_space:  global
        .offset:         128
        .size:           8
        .value_kind:     global_buffer
      - .actual_access:  read_only
        .address_space:  global
        .offset:         136
        .size:           8
        .value_kind:     global_buffer
      - .address_space:  global
        .offset:         144
        .size:           8
        .value_kind:     global_buffer
      - .address_space:  global
        .offset:         152
        .size:           8
        .value_kind:     global_buffer
      - .offset:         160
        .size:           4
        .value_kind:     by_value
      - .address_space:  global
        .offset:         168
        .size:           8
        .value_kind:     global_buffer
      - .address_space:  global
        .offset:         176
        .size:           8
        .value_kind:     global_buffer
      - .address_space:  global
        .offset:         184
        .size:           8
        .value_kind:     global_buffer
      - .address_space:  global
        .offset:         192
        .size:           8
        .value_kind:     global_buffer
      - .actual_access:  read_only
        .address_space:  global
        .offset:         200
        .size:           8
        .value_kind:     global_buffer
    .group_segment_fixed_size: 384
    .kernarg_segment_align: 8
    .kernarg_segment_size: 208
    .language:       OpenCL C
    .language_version:
      - 2
      - 0
    .max_flat_workgroup_size: 1024
    .name:           _ZN9rocsparseL6kernelILi1024ELi32EdiiEEvbbbT3_PS1_NS_15floating_traitsIT1_E6data_tES1_T2_PKS7_S9_PKS1_PKS4_21rocsparse_index_base_S9_S9_SB_PS4_SF_SE_S9_S9_SB_SF_SF_SE_SF_SF_PS6_SG_PKS6_
    .private_segment_fixed_size: 0
    .sgpr_count:     100
    .sgpr_spill_count: 14
    .symbol:         _ZN9rocsparseL6kernelILi1024ELi32EdiiEEvbbbT3_PS1_NS_15floating_traitsIT1_E6data_tES1_T2_PKS7_S9_PKS1_PKS4_21rocsparse_index_base_S9_S9_SB_PS4_SF_SE_S9_S9_SB_SF_SF_SE_SF_SF_PS6_SG_PKS6_.kd
    .uniform_work_group_size: 1
    .uses_dynamic_stack: false
    .vgpr_count:     49
    .vgpr_spill_count: 0
    .wavefront_size: 64
  - .agpr_count:     0
    .args:
      - .offset:         0
        .size:           1
        .value_kind:     by_value
      - .offset:         1
        .size:           1
        .value_kind:     by_value
      - .offset:         2
        .size:           1
        .value_kind:     by_value
      - .offset:         4
        .size:           4
        .value_kind:     by_value
      - .address_space:  global
        .offset:         8
        .size:           8
        .value_kind:     global_buffer
      - .offset:         16
        .size:           8
        .value_kind:     by_value
      - .offset:         24
        .size:           4
        .value_kind:     by_value
      - .offset:         28
        .size:           4
        .value_kind:     by_value
      - .actual_access:  read_only
        .address_space:  global
        .offset:         32
        .size:           8
        .value_kind:     global_buffer
      - .actual_access:  read_only
        .address_space:  global
        .offset:         40
        .size:           8
        .value_kind:     global_buffer
      - .actual_access:  read_only
        .address_space:  global
        .offset:         48
        .size:           8
        .value_kind:     global_buffer
      - .actual_access:  read_only
        .address_space:  global
        .offset:         56
        .size:           8
        .value_kind:     global_buffer
      - .offset:         64
        .size:           4
        .value_kind:     by_value
      - .actual_access:  read_only
        .address_space:  global
        .offset:         72
        .size:           8
        .value_kind:     global_buffer
      - .actual_access:  read_only
        .address_space:  global
        .offset:         80
        .size:           8
        .value_kind:     global_buffer
      - .actual_access:  read_only
        .address_space:  global
        .offset:         88
        .size:           8
        .value_kind:     global_buffer
      - .address_space:  global
        .offset:         96
        .size:           8
        .value_kind:     global_buffer
      - .address_space:  global
        .offset:         104
        .size:           8
        .value_kind:     global_buffer
      - .offset:         112
        .size:           4
        .value_kind:     by_value
      - .actual_access:  read_only
        .address_space:  global
        .offset:         120
        .size:           8
        .value_kind:     global_buffer
      - .actual_access:  read_only
        .address_space:  global
        .offset:         128
        .size:           8
        .value_kind:     global_buffer
      - .actual_access:  read_only
        .address_space:  global
        .offset:         136
        .size:           8
        .value_kind:     global_buffer
      - .address_space:  global
        .offset:         144
        .size:           8
        .value_kind:     global_buffer
      - .address_space:  global
        .offset:         152
        .size:           8
        .value_kind:     global_buffer
      - .offset:         160
        .size:           4
        .value_kind:     by_value
      - .address_space:  global
        .offset:         168
        .size:           8
        .value_kind:     global_buffer
      - .address_space:  global
        .offset:         176
        .size:           8
        .value_kind:     global_buffer
      - .address_space:  global
        .offset:         184
        .size:           8
        .value_kind:     global_buffer
      - .address_space:  global
        .offset:         192
        .size:           8
        .value_kind:     global_buffer
      - .actual_access:  read_only
        .address_space:  global
        .offset:         200
        .size:           8
        .value_kind:     global_buffer
    .group_segment_fixed_size: 192
    .kernarg_segment_align: 8
    .kernarg_segment_size: 208
    .language:       OpenCL C
    .language_version:
      - 2
      - 0
    .max_flat_workgroup_size: 1024
    .name:           _ZN9rocsparseL6kernelILi1024ELi64EdiiEEvbbbT3_PS1_NS_15floating_traitsIT1_E6data_tES1_T2_PKS7_S9_PKS1_PKS4_21rocsparse_index_base_S9_S9_SB_PS4_SF_SE_S9_S9_SB_SF_SF_SE_SF_SF_PS6_SG_PKS6_
    .private_segment_fixed_size: 0
    .sgpr_count:     100
    .sgpr_spill_count: 12
    .symbol:         _ZN9rocsparseL6kernelILi1024ELi64EdiiEEvbbbT3_PS1_NS_15floating_traitsIT1_E6data_tES1_T2_PKS7_S9_PKS1_PKS4_21rocsparse_index_base_S9_S9_SB_PS4_SF_SE_S9_S9_SB_SF_SF_SE_SF_SF_PS6_SG_PKS6_.kd
    .uniform_work_group_size: 1
    .uses_dynamic_stack: false
    .vgpr_count:     49
    .vgpr_spill_count: 0
    .wavefront_size: 64
  - .agpr_count:     0
    .args:
      - .offset:         0
        .size:           4
        .value_kind:     by_value
      - .offset:         4
        .size:           4
        .value_kind:     by_value
      - .offset:         8
        .size:           4
        .value_kind:     by_value
      - .actual_access:  read_only
        .address_space:  global
        .offset:         16
        .size:           8
        .value_kind:     global_buffer
      - .actual_access:  read_only
        .address_space:  global
        .offset:         24
        .size:           8
        .value_kind:     global_buffer
      - .actual_access:  read_only
        .address_space:  global
        .offset:         32
        .size:           8
        .value_kind:     global_buffer
      - .actual_access:  read_only
        .address_space:  global
        .offset:         40
        .size:           8
        .value_kind:     global_buffer
      - .offset:         48
        .size:           4
        .value_kind:     by_value
      - .actual_access:  read_only
        .address_space:  global
        .offset:         56
        .size:           8
        .value_kind:     global_buffer
      - .actual_access:  read_only
        .address_space:  global
        .offset:         64
        .size:           8
        .value_kind:     global_buffer
      - .actual_access:  read_only
        .address_space:  global
        .offset:         72
        .size:           8
        .value_kind:     global_buffer
      - .address_space:  global
        .offset:         80
        .size:           8
        .value_kind:     global_buffer
      - .address_space:  global
        .offset:         88
        .size:           8
        .value_kind:     global_buffer
      - .offset:         96
        .size:           4
        .value_kind:     by_value
      - .actual_access:  read_only
        .address_space:  global
        .offset:         104
        .size:           8
        .value_kind:     global_buffer
      - .actual_access:  read_only
        .address_space:  global
        .offset:         112
        .size:           8
        .value_kind:     global_buffer
      - .actual_access:  read_only
        .address_space:  global
        .offset:         120
        .size:           8
        .value_kind:     global_buffer
      - .address_space:  global
        .offset:         128
        .size:           8
        .value_kind:     global_buffer
      - .address_space:  global
        .offset:         136
        .size:           8
        .value_kind:     global_buffer
      - .offset:         144
        .size:           4
        .value_kind:     by_value
      - .address_space:  global
        .offset:         152
        .size:           8
        .value_kind:     global_buffer
      - .address_space:  global
        .offset:         160
        .size:           8
        .value_kind:     global_buffer
    .group_segment_fixed_size: 0
    .kernarg_segment_align: 8
    .kernarg_segment_size: 168
    .language:       OpenCL C
    .language_version:
      - 2
      - 0
    .max_flat_workgroup_size: 1024
    .name:           _ZN9rocsparseL14kernel_freerunILi1024ELi1E21rocsparse_complex_numIfEiiEEvT3_S3_T2_PKS4_S6_PKS3_PKT1_21rocsparse_index_base_S6_S6_S8_PS9_SD_SC_S6_S6_S8_SD_SD_SC_SD_SD_
    .private_segment_fixed_size: 0
    .sgpr_count:     74
    .sgpr_spill_count: 0
    .symbol:         _ZN9rocsparseL14kernel_freerunILi1024ELi1E21rocsparse_complex_numIfEiiEEvT3_S3_T2_PKS4_S6_PKS3_PKT1_21rocsparse_index_base_S6_S6_S8_PS9_SD_SC_S6_S6_S8_SD_SD_SC_SD_SD_.kd
    .uniform_work_group_size: 1
    .uses_dynamic_stack: false
    .vgpr_count:     32
    .vgpr_spill_count: 0
    .wavefront_size: 64
  - .agpr_count:     0
    .args:
      - .offset:         0
        .size:           4
        .value_kind:     by_value
      - .offset:         4
        .size:           4
        .value_kind:     by_value
      - .offset:         8
        .size:           4
        .value_kind:     by_value
      - .actual_access:  read_only
        .address_space:  global
        .offset:         16
        .size:           8
        .value_kind:     global_buffer
      - .actual_access:  read_only
        .address_space:  global
        .offset:         24
        .size:           8
        .value_kind:     global_buffer
      - .actual_access:  read_only
        .address_space:  global
        .offset:         32
        .size:           8
        .value_kind:     global_buffer
      - .actual_access:  read_only
        .address_space:  global
        .offset:         40
        .size:           8
        .value_kind:     global_buffer
      - .offset:         48
        .size:           4
        .value_kind:     by_value
      - .actual_access:  read_only
        .address_space:  global
        .offset:         56
        .size:           8
        .value_kind:     global_buffer
      - .actual_access:  read_only
        .address_space:  global
        .offset:         64
        .size:           8
        .value_kind:     global_buffer
      - .actual_access:  read_only
        .address_space:  global
        .offset:         72
        .size:           8
        .value_kind:     global_buffer
      - .address_space:  global
        .offset:         80
        .size:           8
        .value_kind:     global_buffer
      - .address_space:  global
        .offset:         88
        .size:           8
        .value_kind:     global_buffer
      - .offset:         96
        .size:           4
        .value_kind:     by_value
      - .actual_access:  read_only
        .address_space:  global
        .offset:         104
        .size:           8
        .value_kind:     global_buffer
      - .actual_access:  read_only
        .address_space:  global
        .offset:         112
        .size:           8
        .value_kind:     global_buffer
      - .actual_access:  read_only
        .address_space:  global
        .offset:         120
        .size:           8
        .value_kind:     global_buffer
      - .address_space:  global
        .offset:         128
        .size:           8
        .value_kind:     global_buffer
      - .address_space:  global
        .offset:         136
        .size:           8
        .value_kind:     global_buffer
      - .offset:         144
        .size:           4
        .value_kind:     by_value
      - .address_space:  global
        .offset:         152
        .size:           8
        .value_kind:     global_buffer
      - .address_space:  global
        .offset:         160
        .size:           8
        .value_kind:     global_buffer
    .group_segment_fixed_size: 0
    .kernarg_segment_align: 8
    .kernarg_segment_size: 168
    .language:       OpenCL C
    .language_version:
      - 2
      - 0
    .max_flat_workgroup_size: 1024
    .name:           _ZN9rocsparseL14kernel_freerunILi1024ELi2E21rocsparse_complex_numIfEiiEEvT3_S3_T2_PKS4_S6_PKS3_PKT1_21rocsparse_index_base_S6_S6_S8_PS9_SD_SC_S6_S6_S8_SD_SD_SC_SD_SD_
    .private_segment_fixed_size: 0
    .sgpr_count:     80
    .sgpr_spill_count: 0
    .symbol:         _ZN9rocsparseL14kernel_freerunILi1024ELi2E21rocsparse_complex_numIfEiiEEvT3_S3_T2_PKS4_S6_PKS3_PKT1_21rocsparse_index_base_S6_S6_S8_PS9_SD_SC_S6_S6_S8_SD_SD_SC_SD_SD_.kd
    .uniform_work_group_size: 1
    .uses_dynamic_stack: false
    .vgpr_count:     36
    .vgpr_spill_count: 0
    .wavefront_size: 64
  - .agpr_count:     0
    .args:
      - .offset:         0
        .size:           4
        .value_kind:     by_value
      - .offset:         4
        .size:           4
        .value_kind:     by_value
      - .offset:         8
        .size:           4
        .value_kind:     by_value
      - .actual_access:  read_only
        .address_space:  global
        .offset:         16
        .size:           8
        .value_kind:     global_buffer
      - .actual_access:  read_only
        .address_space:  global
        .offset:         24
        .size:           8
        .value_kind:     global_buffer
      - .actual_access:  read_only
        .address_space:  global
        .offset:         32
        .size:           8
        .value_kind:     global_buffer
      - .actual_access:  read_only
        .address_space:  global
        .offset:         40
        .size:           8
        .value_kind:     global_buffer
      - .offset:         48
        .size:           4
        .value_kind:     by_value
      - .actual_access:  read_only
        .address_space:  global
        .offset:         56
        .size:           8
        .value_kind:     global_buffer
      - .actual_access:  read_only
        .address_space:  global
        .offset:         64
        .size:           8
        .value_kind:     global_buffer
      - .actual_access:  read_only
        .address_space:  global
        .offset:         72
        .size:           8
        .value_kind:     global_buffer
      - .address_space:  global
        .offset:         80
        .size:           8
        .value_kind:     global_buffer
      - .address_space:  global
        .offset:         88
        .size:           8
        .value_kind:     global_buffer
      - .offset:         96
        .size:           4
        .value_kind:     by_value
      - .actual_access:  read_only
        .address_space:  global
        .offset:         104
        .size:           8
        .value_kind:     global_buffer
      - .actual_access:  read_only
        .address_space:  global
        .offset:         112
        .size:           8
        .value_kind:     global_buffer
      - .actual_access:  read_only
        .address_space:  global
        .offset:         120
        .size:           8
        .value_kind:     global_buffer
      - .address_space:  global
        .offset:         128
        .size:           8
        .value_kind:     global_buffer
      - .address_space:  global
        .offset:         136
        .size:           8
        .value_kind:     global_buffer
      - .offset:         144
        .size:           4
        .value_kind:     by_value
      - .address_space:  global
        .offset:         152
        .size:           8
        .value_kind:     global_buffer
      - .address_space:  global
        .offset:         160
        .size:           8
        .value_kind:     global_buffer
    .group_segment_fixed_size: 0
    .kernarg_segment_align: 8
    .kernarg_segment_size: 168
    .language:       OpenCL C
    .language_version:
      - 2
      - 0
    .max_flat_workgroup_size: 1024
    .name:           _ZN9rocsparseL14kernel_freerunILi1024ELi4E21rocsparse_complex_numIfEiiEEvT3_S3_T2_PKS4_S6_PKS3_PKT1_21rocsparse_index_base_S6_S6_S8_PS9_SD_SC_S6_S6_S8_SD_SD_SC_SD_SD_
    .private_segment_fixed_size: 0
    .sgpr_count:     80
    .sgpr_spill_count: 0
    .symbol:         _ZN9rocsparseL14kernel_freerunILi1024ELi4E21rocsparse_complex_numIfEiiEEvT3_S3_T2_PKS4_S6_PKS3_PKT1_21rocsparse_index_base_S6_S6_S8_PS9_SD_SC_S6_S6_S8_SD_SD_SC_SD_SD_.kd
    .uniform_work_group_size: 1
    .uses_dynamic_stack: false
    .vgpr_count:     36
    .vgpr_spill_count: 0
    .wavefront_size: 64
  - .agpr_count:     0
    .args:
      - .offset:         0
        .size:           4
        .value_kind:     by_value
      - .offset:         4
        .size:           4
        .value_kind:     by_value
      - .offset:         8
        .size:           4
        .value_kind:     by_value
      - .actual_access:  read_only
        .address_space:  global
        .offset:         16
        .size:           8
        .value_kind:     global_buffer
      - .actual_access:  read_only
        .address_space:  global
        .offset:         24
        .size:           8
        .value_kind:     global_buffer
      - .actual_access:  read_only
        .address_space:  global
        .offset:         32
        .size:           8
        .value_kind:     global_buffer
      - .actual_access:  read_only
        .address_space:  global
        .offset:         40
        .size:           8
        .value_kind:     global_buffer
      - .offset:         48
        .size:           4
        .value_kind:     by_value
      - .actual_access:  read_only
        .address_space:  global
        .offset:         56
        .size:           8
        .value_kind:     global_buffer
      - .actual_access:  read_only
        .address_space:  global
        .offset:         64
        .size:           8
        .value_kind:     global_buffer
      - .actual_access:  read_only
        .address_space:  global
        .offset:         72
        .size:           8
        .value_kind:     global_buffer
      - .address_space:  global
        .offset:         80
        .size:           8
        .value_kind:     global_buffer
      - .address_space:  global
        .offset:         88
        .size:           8
        .value_kind:     global_buffer
      - .offset:         96
        .size:           4
        .value_kind:     by_value
      - .actual_access:  read_only
        .address_space:  global
        .offset:         104
        .size:           8
        .value_kind:     global_buffer
      - .actual_access:  read_only
        .address_space:  global
        .offset:         112
        .size:           8
        .value_kind:     global_buffer
      - .actual_access:  read_only
        .address_space:  global
        .offset:         120
        .size:           8
        .value_kind:     global_buffer
      - .address_space:  global
        .offset:         128
        .size:           8
        .value_kind:     global_buffer
      - .address_space:  global
        .offset:         136
        .size:           8
        .value_kind:     global_buffer
      - .offset:         144
        .size:           4
        .value_kind:     by_value
      - .address_space:  global
        .offset:         152
        .size:           8
        .value_kind:     global_buffer
      - .address_space:  global
        .offset:         160
        .size:           8
        .value_kind:     global_buffer
    .group_segment_fixed_size: 0
    .kernarg_segment_align: 8
    .kernarg_segment_size: 168
    .language:       OpenCL C
    .language_version:
      - 2
      - 0
    .max_flat_workgroup_size: 1024
    .name:           _ZN9rocsparseL14kernel_freerunILi1024ELi8E21rocsparse_complex_numIfEiiEEvT3_S3_T2_PKS4_S6_PKS3_PKT1_21rocsparse_index_base_S6_S6_S8_PS9_SD_SC_S6_S6_S8_SD_SD_SC_SD_SD_
    .private_segment_fixed_size: 0
    .sgpr_count:     80
    .sgpr_spill_count: 0
    .symbol:         _ZN9rocsparseL14kernel_freerunILi1024ELi8E21rocsparse_complex_numIfEiiEEvT3_S3_T2_PKS4_S6_PKS3_PKT1_21rocsparse_index_base_S6_S6_S8_PS9_SD_SC_S6_S6_S8_SD_SD_SC_SD_SD_.kd
    .uniform_work_group_size: 1
    .uses_dynamic_stack: false
    .vgpr_count:     36
    .vgpr_spill_count: 0
    .wavefront_size: 64
  - .agpr_count:     0
    .args:
      - .offset:         0
        .size:           4
        .value_kind:     by_value
      - .offset:         4
        .size:           4
        .value_kind:     by_value
      - .offset:         8
        .size:           4
        .value_kind:     by_value
      - .actual_access:  read_only
        .address_space:  global
        .offset:         16
        .size:           8
        .value_kind:     global_buffer
      - .actual_access:  read_only
        .address_space:  global
        .offset:         24
        .size:           8
        .value_kind:     global_buffer
      - .actual_access:  read_only
        .address_space:  global
        .offset:         32
        .size:           8
        .value_kind:     global_buffer
      - .actual_access:  read_only
        .address_space:  global
        .offset:         40
        .size:           8
        .value_kind:     global_buffer
      - .offset:         48
        .size:           4
        .value_kind:     by_value
      - .actual_access:  read_only
        .address_space:  global
        .offset:         56
        .size:           8
        .value_kind:     global_buffer
      - .actual_access:  read_only
        .address_space:  global
        .offset:         64
        .size:           8
        .value_kind:     global_buffer
      - .actual_access:  read_only
        .address_space:  global
        .offset:         72
        .size:           8
        .value_kind:     global_buffer
      - .address_space:  global
        .offset:         80
        .size:           8
        .value_kind:     global_buffer
      - .address_space:  global
        .offset:         88
        .size:           8
        .value_kind:     global_buffer
      - .offset:         96
        .size:           4
        .value_kind:     by_value
      - .actual_access:  read_only
        .address_space:  global
        .offset:         104
        .size:           8
        .value_kind:     global_buffer
      - .actual_access:  read_only
        .address_space:  global
        .offset:         112
        .size:           8
        .value_kind:     global_buffer
      - .actual_access:  read_only
        .address_space:  global
        .offset:         120
        .size:           8
        .value_kind:     global_buffer
      - .address_space:  global
        .offset:         128
        .size:           8
        .value_kind:     global_buffer
      - .address_space:  global
        .offset:         136
        .size:           8
        .value_kind:     global_buffer
      - .offset:         144
        .size:           4
        .value_kind:     by_value
      - .address_space:  global
        .offset:         152
        .size:           8
        .value_kind:     global_buffer
      - .address_space:  global
        .offset:         160
        .size:           8
        .value_kind:     global_buffer
    .group_segment_fixed_size: 0
    .kernarg_segment_align: 8
    .kernarg_segment_size: 168
    .language:       OpenCL C
    .language_version:
      - 2
      - 0
    .max_flat_workgroup_size: 1024
    .name:           _ZN9rocsparseL14kernel_freerunILi1024ELi16E21rocsparse_complex_numIfEiiEEvT3_S3_T2_PKS4_S6_PKS3_PKT1_21rocsparse_index_base_S6_S6_S8_PS9_SD_SC_S6_S6_S8_SD_SD_SC_SD_SD_
    .private_segment_fixed_size: 0
    .sgpr_count:     80
    .sgpr_spill_count: 0
    .symbol:         _ZN9rocsparseL14kernel_freerunILi1024ELi16E21rocsparse_complex_numIfEiiEEvT3_S3_T2_PKS4_S6_PKS3_PKT1_21rocsparse_index_base_S6_S6_S8_PS9_SD_SC_S6_S6_S8_SD_SD_SC_SD_SD_.kd
    .uniform_work_group_size: 1
    .uses_dynamic_stack: false
    .vgpr_count:     36
    .vgpr_spill_count: 0
    .wavefront_size: 64
  - .agpr_count:     0
    .args:
      - .offset:         0
        .size:           4
        .value_kind:     by_value
      - .offset:         4
        .size:           4
        .value_kind:     by_value
      - .offset:         8
        .size:           4
        .value_kind:     by_value
      - .actual_access:  read_only
        .address_space:  global
        .offset:         16
        .size:           8
        .value_kind:     global_buffer
      - .actual_access:  read_only
        .address_space:  global
        .offset:         24
        .size:           8
        .value_kind:     global_buffer
      - .actual_access:  read_only
        .address_space:  global
        .offset:         32
        .size:           8
        .value_kind:     global_buffer
      - .actual_access:  read_only
        .address_space:  global
        .offset:         40
        .size:           8
        .value_kind:     global_buffer
      - .offset:         48
        .size:           4
        .value_kind:     by_value
      - .actual_access:  read_only
        .address_space:  global
        .offset:         56
        .size:           8
        .value_kind:     global_buffer
      - .actual_access:  read_only
        .address_space:  global
        .offset:         64
        .size:           8
        .value_kind:     global_buffer
      - .actual_access:  read_only
        .address_space:  global
        .offset:         72
        .size:           8
        .value_kind:     global_buffer
      - .address_space:  global
        .offset:         80
        .size:           8
        .value_kind:     global_buffer
      - .address_space:  global
        .offset:         88
        .size:           8
        .value_kind:     global_buffer
      - .offset:         96
        .size:           4
        .value_kind:     by_value
      - .actual_access:  read_only
        .address_space:  global
        .offset:         104
        .size:           8
        .value_kind:     global_buffer
      - .actual_access:  read_only
        .address_space:  global
        .offset:         112
        .size:           8
        .value_kind:     global_buffer
      - .actual_access:  read_only
        .address_space:  global
        .offset:         120
        .size:           8
        .value_kind:     global_buffer
      - .address_space:  global
        .offset:         128
        .size:           8
        .value_kind:     global_buffer
      - .address_space:  global
        .offset:         136
        .size:           8
        .value_kind:     global_buffer
      - .offset:         144
        .size:           4
        .value_kind:     by_value
      - .address_space:  global
        .offset:         152
        .size:           8
        .value_kind:     global_buffer
      - .address_space:  global
        .offset:         160
        .size:           8
        .value_kind:     global_buffer
    .group_segment_fixed_size: 0
    .kernarg_segment_align: 8
    .kernarg_segment_size: 168
    .language:       OpenCL C
    .language_version:
      - 2
      - 0
    .max_flat_workgroup_size: 1024
    .name:           _ZN9rocsparseL14kernel_freerunILi1024ELi32E21rocsparse_complex_numIfEiiEEvT3_S3_T2_PKS4_S6_PKS3_PKT1_21rocsparse_index_base_S6_S6_S8_PS9_SD_SC_S6_S6_S8_SD_SD_SC_SD_SD_
    .private_segment_fixed_size: 0
    .sgpr_count:     80
    .sgpr_spill_count: 0
    .symbol:         _ZN9rocsparseL14kernel_freerunILi1024ELi32E21rocsparse_complex_numIfEiiEEvT3_S3_T2_PKS4_S6_PKS3_PKT1_21rocsparse_index_base_S6_S6_S8_PS9_SD_SC_S6_S6_S8_SD_SD_SC_SD_SD_.kd
    .uniform_work_group_size: 1
    .uses_dynamic_stack: false
    .vgpr_count:     36
    .vgpr_spill_count: 0
    .wavefront_size: 64
  - .agpr_count:     0
    .args:
      - .offset:         0
        .size:           4
        .value_kind:     by_value
      - .offset:         4
        .size:           4
        .value_kind:     by_value
      - .offset:         8
        .size:           4
        .value_kind:     by_value
      - .actual_access:  read_only
        .address_space:  global
        .offset:         16
        .size:           8
        .value_kind:     global_buffer
      - .actual_access:  read_only
        .address_space:  global
        .offset:         24
        .size:           8
        .value_kind:     global_buffer
      - .actual_access:  read_only
        .address_space:  global
        .offset:         32
        .size:           8
        .value_kind:     global_buffer
      - .actual_access:  read_only
        .address_space:  global
        .offset:         40
        .size:           8
        .value_kind:     global_buffer
      - .offset:         48
        .size:           4
        .value_kind:     by_value
      - .actual_access:  read_only
        .address_space:  global
        .offset:         56
        .size:           8
        .value_kind:     global_buffer
      - .actual_access:  read_only
        .address_space:  global
        .offset:         64
        .size:           8
        .value_kind:     global_buffer
      - .actual_access:  read_only
        .address_space:  global
        .offset:         72
        .size:           8
        .value_kind:     global_buffer
      - .address_space:  global
        .offset:         80
        .size:           8
        .value_kind:     global_buffer
      - .address_space:  global
        .offset:         88
        .size:           8
        .value_kind:     global_buffer
      - .offset:         96
        .size:           4
        .value_kind:     by_value
      - .actual_access:  read_only
        .address_space:  global
        .offset:         104
        .size:           8
        .value_kind:     global_buffer
      - .actual_access:  read_only
        .address_space:  global
        .offset:         112
        .size:           8
        .value_kind:     global_buffer
      - .actual_access:  read_only
        .address_space:  global
        .offset:         120
        .size:           8
        .value_kind:     global_buffer
      - .address_space:  global
        .offset:         128
        .size:           8
        .value_kind:     global_buffer
      - .address_space:  global
        .offset:         136
        .size:           8
        .value_kind:     global_buffer
      - .offset:         144
        .size:           4
        .value_kind:     by_value
      - .address_space:  global
        .offset:         152
        .size:           8
        .value_kind:     global_buffer
      - .address_space:  global
        .offset:         160
        .size:           8
        .value_kind:     global_buffer
    .group_segment_fixed_size: 0
    .kernarg_segment_align: 8
    .kernarg_segment_size: 168
    .language:       OpenCL C
    .language_version:
      - 2
      - 0
    .max_flat_workgroup_size: 1024
    .name:           _ZN9rocsparseL14kernel_freerunILi1024ELi64E21rocsparse_complex_numIfEiiEEvT3_S3_T2_PKS4_S6_PKS3_PKT1_21rocsparse_index_base_S6_S6_S8_PS9_SD_SC_S6_S6_S8_SD_SD_SC_SD_SD_
    .private_segment_fixed_size: 0
    .sgpr_count:     80
    .sgpr_spill_count: 0
    .symbol:         _ZN9rocsparseL14kernel_freerunILi1024ELi64E21rocsparse_complex_numIfEiiEEvT3_S3_T2_PKS4_S6_PKS3_PKT1_21rocsparse_index_base_S6_S6_S8_PS9_SD_SC_S6_S6_S8_SD_SD_SC_SD_SD_.kd
    .uniform_work_group_size: 1
    .uses_dynamic_stack: false
    .vgpr_count:     36
    .vgpr_spill_count: 0
    .wavefront_size: 64
  - .agpr_count:     0
    .args:
      - .offset:         0
        .size:           1
        .value_kind:     by_value
      - .offset:         1
        .size:           1
        .value_kind:     by_value
      - .offset:         2
        .size:           1
        .value_kind:     by_value
      - .offset:         4
        .size:           4
        .value_kind:     by_value
      - .address_space:  global
        .offset:         8
        .size:           8
        .value_kind:     global_buffer
      - .offset:         16
        .size:           4
        .value_kind:     by_value
      - .offset:         20
        .size:           4
        .value_kind:     by_value
      - .offset:         24
        .size:           4
        .value_kind:     by_value
      - .actual_access:  read_only
        .address_space:  global
        .offset:         32
        .size:           8
        .value_kind:     global_buffer
      - .actual_access:  read_only
        .address_space:  global
        .offset:         40
        .size:           8
        .value_kind:     global_buffer
      - .actual_access:  read_only
        .address_space:  global
        .offset:         48
        .size:           8
        .value_kind:     global_buffer
      - .actual_access:  read_only
        .address_space:  global
        .offset:         56
        .size:           8
        .value_kind:     global_buffer
      - .offset:         64
        .size:           4
        .value_kind:     by_value
      - .actual_access:  read_only
        .address_space:  global
        .offset:         72
        .size:           8
        .value_kind:     global_buffer
      - .actual_access:  read_only
        .address_space:  global
        .offset:         80
        .size:           8
        .value_kind:     global_buffer
      - .actual_access:  read_only
        .address_space:  global
        .offset:         88
        .size:           8
        .value_kind:     global_buffer
      - .address_space:  global
        .offset:         96
        .size:           8
        .value_kind:     global_buffer
      - .address_space:  global
        .offset:         104
        .size:           8
        .value_kind:     global_buffer
      - .offset:         112
        .size:           4
        .value_kind:     by_value
      - .actual_access:  read_only
        .address_space:  global
        .offset:         120
        .size:           8
        .value_kind:     global_buffer
      - .actual_access:  read_only
        .address_space:  global
        .offset:         128
        .size:           8
        .value_kind:     global_buffer
      - .actual_access:  read_only
        .address_space:  global
        .offset:         136
        .size:           8
        .value_kind:     global_buffer
      - .address_space:  global
        .offset:         144
        .size:           8
        .value_kind:     global_buffer
      - .address_space:  global
        .offset:         152
        .size:           8
        .value_kind:     global_buffer
      - .offset:         160
        .size:           4
        .value_kind:     by_value
      - .address_space:  global
        .offset:         168
        .size:           8
        .value_kind:     global_buffer
      - .address_space:  global
        .offset:         176
        .size:           8
        .value_kind:     global_buffer
      - .address_space:  global
        .offset:         184
        .size:           8
        .value_kind:     global_buffer
      - .address_space:  global
        .offset:         192
        .size:           8
        .value_kind:     global_buffer
      - .actual_access:  read_only
        .address_space:  global
        .offset:         200
        .size:           8
        .value_kind:     global_buffer
    .group_segment_fixed_size: 8192
    .kernarg_segment_align: 8
    .kernarg_segment_size: 208
    .language:       OpenCL C
    .language_version:
      - 2
      - 0
    .max_flat_workgroup_size: 1024
    .name:           _ZN9rocsparseL6kernelILi1024ELi1E21rocsparse_complex_numIfEiiEEvbbbT3_PS3_NS_15floating_traitsIT1_E6data_tES3_T2_PKS9_SB_PKS3_PKS6_21rocsparse_index_base_SB_SB_SD_PS6_SH_SG_SB_SB_SD_SH_SH_SG_SH_SH_PS8_SI_PKS8_
    .private_segment_fixed_size: 0
    .sgpr_count:     100
    .sgpr_spill_count: 14
    .symbol:         _ZN9rocsparseL6kernelILi1024ELi1E21rocsparse_complex_numIfEiiEEvbbbT3_PS3_NS_15floating_traitsIT1_E6data_tES3_T2_PKS9_SB_PKS3_PKS6_21rocsparse_index_base_SB_SB_SD_PS6_SH_SG_SB_SB_SD_SH_SH_SG_SH_SH_PS8_SI_PKS8_.kd
    .uniform_work_group_size: 1
    .uses_dynamic_stack: false
    .vgpr_count:     39
    .vgpr_spill_count: 0
    .wavefront_size: 64
  - .agpr_count:     0
    .args:
      - .offset:         0
        .size:           1
        .value_kind:     by_value
      - .offset:         1
        .size:           1
        .value_kind:     by_value
      - .offset:         2
        .size:           1
        .value_kind:     by_value
      - .offset:         4
        .size:           4
        .value_kind:     by_value
      - .address_space:  global
        .offset:         8
        .size:           8
        .value_kind:     global_buffer
      - .offset:         16
        .size:           4
        .value_kind:     by_value
      - .offset:         20
        .size:           4
        .value_kind:     by_value
      - .offset:         24
        .size:           4
        .value_kind:     by_value
      - .actual_access:  read_only
        .address_space:  global
        .offset:         32
        .size:           8
        .value_kind:     global_buffer
      - .actual_access:  read_only
        .address_space:  global
        .offset:         40
        .size:           8
        .value_kind:     global_buffer
      - .actual_access:  read_only
        .address_space:  global
        .offset:         48
        .size:           8
        .value_kind:     global_buffer
      - .actual_access:  read_only
        .address_space:  global
        .offset:         56
        .size:           8
        .value_kind:     global_buffer
      - .offset:         64
        .size:           4
        .value_kind:     by_value
      - .actual_access:  read_only
        .address_space:  global
        .offset:         72
        .size:           8
        .value_kind:     global_buffer
      - .actual_access:  read_only
        .address_space:  global
        .offset:         80
        .size:           8
        .value_kind:     global_buffer
      - .actual_access:  read_only
        .address_space:  global
        .offset:         88
        .size:           8
        .value_kind:     global_buffer
      - .address_space:  global
        .offset:         96
        .size:           8
        .value_kind:     global_buffer
      - .address_space:  global
        .offset:         104
        .size:           8
        .value_kind:     global_buffer
      - .offset:         112
        .size:           4
        .value_kind:     by_value
      - .actual_access:  read_only
        .address_space:  global
        .offset:         120
        .size:           8
        .value_kind:     global_buffer
      - .actual_access:  read_only
        .address_space:  global
        .offset:         128
        .size:           8
        .value_kind:     global_buffer
      - .actual_access:  read_only
        .address_space:  global
        .offset:         136
        .size:           8
        .value_kind:     global_buffer
      - .address_space:  global
        .offset:         144
        .size:           8
        .value_kind:     global_buffer
      - .address_space:  global
        .offset:         152
        .size:           8
        .value_kind:     global_buffer
      - .offset:         160
        .size:           4
        .value_kind:     by_value
      - .address_space:  global
        .offset:         168
        .size:           8
        .value_kind:     global_buffer
      - .address_space:  global
        .offset:         176
        .size:           8
        .value_kind:     global_buffer
      - .address_space:  global
        .offset:         184
        .size:           8
        .value_kind:     global_buffer
      - .address_space:  global
        .offset:         192
        .size:           8
        .value_kind:     global_buffer
      - .actual_access:  read_only
        .address_space:  global
        .offset:         200
        .size:           8
        .value_kind:     global_buffer
    .group_segment_fixed_size: 4096
    .kernarg_segment_align: 8
    .kernarg_segment_size: 208
    .language:       OpenCL C
    .language_version:
      - 2
      - 0
    .max_flat_workgroup_size: 1024
    .name:           _ZN9rocsparseL6kernelILi1024ELi2E21rocsparse_complex_numIfEiiEEvbbbT3_PS3_NS_15floating_traitsIT1_E6data_tES3_T2_PKS9_SB_PKS3_PKS6_21rocsparse_index_base_SB_SB_SD_PS6_SH_SG_SB_SB_SD_SH_SH_SG_SH_SH_PS8_SI_PKS8_
    .private_segment_fixed_size: 0
    .sgpr_count:     100
    .sgpr_spill_count: 22
    .symbol:         _ZN9rocsparseL6kernelILi1024ELi2E21rocsparse_complex_numIfEiiEEvbbbT3_PS3_NS_15floating_traitsIT1_E6data_tES3_T2_PKS9_SB_PKS3_PKS6_21rocsparse_index_base_SB_SB_SD_PS6_SH_SG_SB_SB_SD_SH_SH_SG_SH_SH_PS8_SI_PKS8_.kd
    .uniform_work_group_size: 1
    .uses_dynamic_stack: false
    .vgpr_count:     45
    .vgpr_spill_count: 0
    .wavefront_size: 64
  - .agpr_count:     0
    .args:
      - .offset:         0
        .size:           1
        .value_kind:     by_value
      - .offset:         1
        .size:           1
        .value_kind:     by_value
      - .offset:         2
        .size:           1
        .value_kind:     by_value
      - .offset:         4
        .size:           4
        .value_kind:     by_value
      - .address_space:  global
        .offset:         8
        .size:           8
        .value_kind:     global_buffer
      - .offset:         16
        .size:           4
        .value_kind:     by_value
      - .offset:         20
        .size:           4
        .value_kind:     by_value
      - .offset:         24
        .size:           4
        .value_kind:     by_value
      - .actual_access:  read_only
        .address_space:  global
        .offset:         32
        .size:           8
        .value_kind:     global_buffer
      - .actual_access:  read_only
        .address_space:  global
        .offset:         40
        .size:           8
        .value_kind:     global_buffer
      - .actual_access:  read_only
        .address_space:  global
        .offset:         48
        .size:           8
        .value_kind:     global_buffer
      - .actual_access:  read_only
        .address_space:  global
        .offset:         56
        .size:           8
        .value_kind:     global_buffer
      - .offset:         64
        .size:           4
        .value_kind:     by_value
      - .actual_access:  read_only
        .address_space:  global
        .offset:         72
        .size:           8
        .value_kind:     global_buffer
      - .actual_access:  read_only
        .address_space:  global
        .offset:         80
        .size:           8
        .value_kind:     global_buffer
      - .actual_access:  read_only
        .address_space:  global
        .offset:         88
        .size:           8
        .value_kind:     global_buffer
      - .address_space:  global
        .offset:         96
        .size:           8
        .value_kind:     global_buffer
      - .address_space:  global
        .offset:         104
        .size:           8
        .value_kind:     global_buffer
      - .offset:         112
        .size:           4
        .value_kind:     by_value
      - .actual_access:  read_only
        .address_space:  global
        .offset:         120
        .size:           8
        .value_kind:     global_buffer
      - .actual_access:  read_only
        .address_space:  global
        .offset:         128
        .size:           8
        .value_kind:     global_buffer
      - .actual_access:  read_only
        .address_space:  global
        .offset:         136
        .size:           8
        .value_kind:     global_buffer
      - .address_space:  global
        .offset:         144
        .size:           8
        .value_kind:     global_buffer
      - .address_space:  global
        .offset:         152
        .size:           8
        .value_kind:     global_buffer
      - .offset:         160
        .size:           4
        .value_kind:     by_value
      - .address_space:  global
        .offset:         168
        .size:           8
        .value_kind:     global_buffer
      - .address_space:  global
        .offset:         176
        .size:           8
        .value_kind:     global_buffer
      - .address_space:  global
        .offset:         184
        .size:           8
        .value_kind:     global_buffer
      - .address_space:  global
        .offset:         192
        .size:           8
        .value_kind:     global_buffer
      - .actual_access:  read_only
        .address_space:  global
        .offset:         200
        .size:           8
        .value_kind:     global_buffer
    .group_segment_fixed_size: 2048
    .kernarg_segment_align: 8
    .kernarg_segment_size: 208
    .language:       OpenCL C
    .language_version:
      - 2
      - 0
    .max_flat_workgroup_size: 1024
    .name:           _ZN9rocsparseL6kernelILi1024ELi4E21rocsparse_complex_numIfEiiEEvbbbT3_PS3_NS_15floating_traitsIT1_E6data_tES3_T2_PKS9_SB_PKS3_PKS6_21rocsparse_index_base_SB_SB_SD_PS6_SH_SG_SB_SB_SD_SH_SH_SG_SH_SH_PS8_SI_PKS8_
    .private_segment_fixed_size: 0
    .sgpr_count:     100
    .sgpr_spill_count: 20
    .symbol:         _ZN9rocsparseL6kernelILi1024ELi4E21rocsparse_complex_numIfEiiEEvbbbT3_PS3_NS_15floating_traitsIT1_E6data_tES3_T2_PKS9_SB_PKS3_PKS6_21rocsparse_index_base_SB_SB_SD_PS6_SH_SG_SB_SB_SD_SH_SH_SG_SH_SH_PS8_SI_PKS8_.kd
    .uniform_work_group_size: 1
    .uses_dynamic_stack: false
    .vgpr_count:     45
    .vgpr_spill_count: 0
    .wavefront_size: 64
  - .agpr_count:     0
    .args:
      - .offset:         0
        .size:           1
        .value_kind:     by_value
      - .offset:         1
        .size:           1
        .value_kind:     by_value
      - .offset:         2
        .size:           1
        .value_kind:     by_value
      - .offset:         4
        .size:           4
        .value_kind:     by_value
      - .address_space:  global
        .offset:         8
        .size:           8
        .value_kind:     global_buffer
      - .offset:         16
        .size:           4
        .value_kind:     by_value
      - .offset:         20
        .size:           4
        .value_kind:     by_value
      - .offset:         24
        .size:           4
        .value_kind:     by_value
      - .actual_access:  read_only
        .address_space:  global
        .offset:         32
        .size:           8
        .value_kind:     global_buffer
      - .actual_access:  read_only
        .address_space:  global
        .offset:         40
        .size:           8
        .value_kind:     global_buffer
      - .actual_access:  read_only
        .address_space:  global
        .offset:         48
        .size:           8
        .value_kind:     global_buffer
      - .actual_access:  read_only
        .address_space:  global
        .offset:         56
        .size:           8
        .value_kind:     global_buffer
      - .offset:         64
        .size:           4
        .value_kind:     by_value
      - .actual_access:  read_only
        .address_space:  global
        .offset:         72
        .size:           8
        .value_kind:     global_buffer
      - .actual_access:  read_only
        .address_space:  global
        .offset:         80
        .size:           8
        .value_kind:     global_buffer
      - .actual_access:  read_only
        .address_space:  global
        .offset:         88
        .size:           8
        .value_kind:     global_buffer
      - .address_space:  global
        .offset:         96
        .size:           8
        .value_kind:     global_buffer
      - .address_space:  global
        .offset:         104
        .size:           8
        .value_kind:     global_buffer
      - .offset:         112
        .size:           4
        .value_kind:     by_value
      - .actual_access:  read_only
        .address_space:  global
        .offset:         120
        .size:           8
        .value_kind:     global_buffer
      - .actual_access:  read_only
        .address_space:  global
        .offset:         128
        .size:           8
        .value_kind:     global_buffer
      - .actual_access:  read_only
        .address_space:  global
        .offset:         136
        .size:           8
        .value_kind:     global_buffer
      - .address_space:  global
        .offset:         144
        .size:           8
        .value_kind:     global_buffer
      - .address_space:  global
        .offset:         152
        .size:           8
        .value_kind:     global_buffer
      - .offset:         160
        .size:           4
        .value_kind:     by_value
      - .address_space:  global
        .offset:         168
        .size:           8
        .value_kind:     global_buffer
      - .address_space:  global
        .offset:         176
        .size:           8
        .value_kind:     global_buffer
      - .address_space:  global
        .offset:         184
        .size:           8
        .value_kind:     global_buffer
      - .address_space:  global
        .offset:         192
        .size:           8
        .value_kind:     global_buffer
      - .actual_access:  read_only
        .address_space:  global
        .offset:         200
        .size:           8
        .value_kind:     global_buffer
    .group_segment_fixed_size: 1024
    .kernarg_segment_align: 8
    .kernarg_segment_size: 208
    .language:       OpenCL C
    .language_version:
      - 2
      - 0
    .max_flat_workgroup_size: 1024
    .name:           _ZN9rocsparseL6kernelILi1024ELi8E21rocsparse_complex_numIfEiiEEvbbbT3_PS3_NS_15floating_traitsIT1_E6data_tES3_T2_PKS9_SB_PKS3_PKS6_21rocsparse_index_base_SB_SB_SD_PS6_SH_SG_SB_SB_SD_SH_SH_SG_SH_SH_PS8_SI_PKS8_
    .private_segment_fixed_size: 0
    .sgpr_count:     100
    .sgpr_spill_count: 18
    .symbol:         _ZN9rocsparseL6kernelILi1024ELi8E21rocsparse_complex_numIfEiiEEvbbbT3_PS3_NS_15floating_traitsIT1_E6data_tES3_T2_PKS9_SB_PKS3_PKS6_21rocsparse_index_base_SB_SB_SD_PS6_SH_SG_SB_SB_SD_SH_SH_SG_SH_SH_PS8_SI_PKS8_.kd
    .uniform_work_group_size: 1
    .uses_dynamic_stack: false
    .vgpr_count:     45
    .vgpr_spill_count: 0
    .wavefront_size: 64
  - .agpr_count:     0
    .args:
      - .offset:         0
        .size:           1
        .value_kind:     by_value
      - .offset:         1
        .size:           1
        .value_kind:     by_value
      - .offset:         2
        .size:           1
        .value_kind:     by_value
      - .offset:         4
        .size:           4
        .value_kind:     by_value
      - .address_space:  global
        .offset:         8
        .size:           8
        .value_kind:     global_buffer
      - .offset:         16
        .size:           4
        .value_kind:     by_value
      - .offset:         20
        .size:           4
        .value_kind:     by_value
      - .offset:         24
        .size:           4
        .value_kind:     by_value
      - .actual_access:  read_only
        .address_space:  global
        .offset:         32
        .size:           8
        .value_kind:     global_buffer
      - .actual_access:  read_only
        .address_space:  global
        .offset:         40
        .size:           8
        .value_kind:     global_buffer
      - .actual_access:  read_only
        .address_space:  global
        .offset:         48
        .size:           8
        .value_kind:     global_buffer
      - .actual_access:  read_only
        .address_space:  global
        .offset:         56
        .size:           8
        .value_kind:     global_buffer
      - .offset:         64
        .size:           4
        .value_kind:     by_value
      - .actual_access:  read_only
        .address_space:  global
        .offset:         72
        .size:           8
        .value_kind:     global_buffer
      - .actual_access:  read_only
        .address_space:  global
        .offset:         80
        .size:           8
        .value_kind:     global_buffer
      - .actual_access:  read_only
        .address_space:  global
        .offset:         88
        .size:           8
        .value_kind:     global_buffer
      - .address_space:  global
        .offset:         96
        .size:           8
        .value_kind:     global_buffer
      - .address_space:  global
        .offset:         104
        .size:           8
        .value_kind:     global_buffer
      - .offset:         112
        .size:           4
        .value_kind:     by_value
      - .actual_access:  read_only
        .address_space:  global
        .offset:         120
        .size:           8
        .value_kind:     global_buffer
      - .actual_access:  read_only
        .address_space:  global
        .offset:         128
        .size:           8
        .value_kind:     global_buffer
      - .actual_access:  read_only
        .address_space:  global
        .offset:         136
        .size:           8
        .value_kind:     global_buffer
      - .address_space:  global
        .offset:         144
        .size:           8
        .value_kind:     global_buffer
      - .address_space:  global
        .offset:         152
        .size:           8
        .value_kind:     global_buffer
      - .offset:         160
        .size:           4
        .value_kind:     by_value
      - .address_space:  global
        .offset:         168
        .size:           8
        .value_kind:     global_buffer
      - .address_space:  global
        .offset:         176
        .size:           8
        .value_kind:     global_buffer
      - .address_space:  global
        .offset:         184
        .size:           8
        .value_kind:     global_buffer
      - .address_space:  global
        .offset:         192
        .size:           8
        .value_kind:     global_buffer
      - .actual_access:  read_only
        .address_space:  global
        .offset:         200
        .size:           8
        .value_kind:     global_buffer
    .group_segment_fixed_size: 512
    .kernarg_segment_align: 8
    .kernarg_segment_size: 208
    .language:       OpenCL C
    .language_version:
      - 2
      - 0
    .max_flat_workgroup_size: 1024
    .name:           _ZN9rocsparseL6kernelILi1024ELi16E21rocsparse_complex_numIfEiiEEvbbbT3_PS3_NS_15floating_traitsIT1_E6data_tES3_T2_PKS9_SB_PKS3_PKS6_21rocsparse_index_base_SB_SB_SD_PS6_SH_SG_SB_SB_SD_SH_SH_SG_SH_SH_PS8_SI_PKS8_
    .private_segment_fixed_size: 0
    .sgpr_count:     100
    .sgpr_spill_count: 16
    .symbol:         _ZN9rocsparseL6kernelILi1024ELi16E21rocsparse_complex_numIfEiiEEvbbbT3_PS3_NS_15floating_traitsIT1_E6data_tES3_T2_PKS9_SB_PKS3_PKS6_21rocsparse_index_base_SB_SB_SD_PS6_SH_SG_SB_SB_SD_SH_SH_SG_SH_SH_PS8_SI_PKS8_.kd
    .uniform_work_group_size: 1
    .uses_dynamic_stack: false
    .vgpr_count:     45
    .vgpr_spill_count: 0
    .wavefront_size: 64
  - .agpr_count:     0
    .args:
      - .offset:         0
        .size:           1
        .value_kind:     by_value
      - .offset:         1
        .size:           1
        .value_kind:     by_value
      - .offset:         2
        .size:           1
        .value_kind:     by_value
      - .offset:         4
        .size:           4
        .value_kind:     by_value
      - .address_space:  global
        .offset:         8
        .size:           8
        .value_kind:     global_buffer
      - .offset:         16
        .size:           4
        .value_kind:     by_value
      - .offset:         20
        .size:           4
        .value_kind:     by_value
      - .offset:         24
        .size:           4
        .value_kind:     by_value
      - .actual_access:  read_only
        .address_space:  global
        .offset:         32
        .size:           8
        .value_kind:     global_buffer
      - .actual_access:  read_only
        .address_space:  global
        .offset:         40
        .size:           8
        .value_kind:     global_buffer
      - .actual_access:  read_only
        .address_space:  global
        .offset:         48
        .size:           8
        .value_kind:     global_buffer
      - .actual_access:  read_only
        .address_space:  global
        .offset:         56
        .size:           8
        .value_kind:     global_buffer
      - .offset:         64
        .size:           4
        .value_kind:     by_value
      - .actual_access:  read_only
        .address_space:  global
        .offset:         72
        .size:           8
        .value_kind:     global_buffer
      - .actual_access:  read_only
        .address_space:  global
        .offset:         80
        .size:           8
        .value_kind:     global_buffer
      - .actual_access:  read_only
        .address_space:  global
        .offset:         88
        .size:           8
        .value_kind:     global_buffer
      - .address_space:  global
        .offset:         96
        .size:           8
        .value_kind:     global_buffer
      - .address_space:  global
        .offset:         104
        .size:           8
        .value_kind:     global_buffer
      - .offset:         112
        .size:           4
        .value_kind:     by_value
      - .actual_access:  read_only
        .address_space:  global
        .offset:         120
        .size:           8
        .value_kind:     global_buffer
      - .actual_access:  read_only
        .address_space:  global
        .offset:         128
        .size:           8
        .value_kind:     global_buffer
      - .actual_access:  read_only
        .address_space:  global
        .offset:         136
        .size:           8
        .value_kind:     global_buffer
      - .address_space:  global
        .offset:         144
        .size:           8
        .value_kind:     global_buffer
      - .address_space:  global
        .offset:         152
        .size:           8
        .value_kind:     global_buffer
      - .offset:         160
        .size:           4
        .value_kind:     by_value
      - .address_space:  global
        .offset:         168
        .size:           8
        .value_kind:     global_buffer
      - .address_space:  global
        .offset:         176
        .size:           8
        .value_kind:     global_buffer
      - .address_space:  global
        .offset:         184
        .size:           8
        .value_kind:     global_buffer
      - .address_space:  global
        .offset:         192
        .size:           8
        .value_kind:     global_buffer
      - .actual_access:  read_only
        .address_space:  global
        .offset:         200
        .size:           8
        .value_kind:     global_buffer
    .group_segment_fixed_size: 256
    .kernarg_segment_align: 8
    .kernarg_segment_size: 208
    .language:       OpenCL C
    .language_version:
      - 2
      - 0
    .max_flat_workgroup_size: 1024
    .name:           _ZN9rocsparseL6kernelILi1024ELi32E21rocsparse_complex_numIfEiiEEvbbbT3_PS3_NS_15floating_traitsIT1_E6data_tES3_T2_PKS9_SB_PKS3_PKS6_21rocsparse_index_base_SB_SB_SD_PS6_SH_SG_SB_SB_SD_SH_SH_SG_SH_SH_PS8_SI_PKS8_
    .private_segment_fixed_size: 0
    .sgpr_count:     100
    .sgpr_spill_count: 14
    .symbol:         _ZN9rocsparseL6kernelILi1024ELi32E21rocsparse_complex_numIfEiiEEvbbbT3_PS3_NS_15floating_traitsIT1_E6data_tES3_T2_PKS9_SB_PKS3_PKS6_21rocsparse_index_base_SB_SB_SD_PS6_SH_SG_SB_SB_SD_SH_SH_SG_SH_SH_PS8_SI_PKS8_.kd
    .uniform_work_group_size: 1
    .uses_dynamic_stack: false
    .vgpr_count:     45
    .vgpr_spill_count: 0
    .wavefront_size: 64
  - .agpr_count:     0
    .args:
      - .offset:         0
        .size:           1
        .value_kind:     by_value
      - .offset:         1
        .size:           1
        .value_kind:     by_value
      - .offset:         2
        .size:           1
        .value_kind:     by_value
      - .offset:         4
        .size:           4
        .value_kind:     by_value
      - .address_space:  global
        .offset:         8
        .size:           8
        .value_kind:     global_buffer
      - .offset:         16
        .size:           4
        .value_kind:     by_value
      - .offset:         20
        .size:           4
        .value_kind:     by_value
      - .offset:         24
        .size:           4
        .value_kind:     by_value
      - .actual_access:  read_only
        .address_space:  global
        .offset:         32
        .size:           8
        .value_kind:     global_buffer
      - .actual_access:  read_only
        .address_space:  global
        .offset:         40
        .size:           8
        .value_kind:     global_buffer
      - .actual_access:  read_only
        .address_space:  global
        .offset:         48
        .size:           8
        .value_kind:     global_buffer
      - .actual_access:  read_only
        .address_space:  global
        .offset:         56
        .size:           8
        .value_kind:     global_buffer
      - .offset:         64
        .size:           4
        .value_kind:     by_value
      - .actual_access:  read_only
        .address_space:  global
        .offset:         72
        .size:           8
        .value_kind:     global_buffer
      - .actual_access:  read_only
        .address_space:  global
        .offset:         80
        .size:           8
        .value_kind:     global_buffer
      - .actual_access:  read_only
        .address_space:  global
        .offset:         88
        .size:           8
        .value_kind:     global_buffer
      - .address_space:  global
        .offset:         96
        .size:           8
        .value_kind:     global_buffer
      - .address_space:  global
        .offset:         104
        .size:           8
        .value_kind:     global_buffer
      - .offset:         112
        .size:           4
        .value_kind:     by_value
      - .actual_access:  read_only
        .address_space:  global
        .offset:         120
        .size:           8
        .value_kind:     global_buffer
      - .actual_access:  read_only
        .address_space:  global
        .offset:         128
        .size:           8
        .value_kind:     global_buffer
      - .actual_access:  read_only
        .address_space:  global
        .offset:         136
        .size:           8
        .value_kind:     global_buffer
      - .address_space:  global
        .offset:         144
        .size:           8
        .value_kind:     global_buffer
      - .address_space:  global
        .offset:         152
        .size:           8
        .value_kind:     global_buffer
      - .offset:         160
        .size:           4
        .value_kind:     by_value
      - .address_space:  global
        .offset:         168
        .size:           8
        .value_kind:     global_buffer
      - .address_space:  global
        .offset:         176
        .size:           8
        .value_kind:     global_buffer
      - .address_space:  global
        .offset:         184
        .size:           8
        .value_kind:     global_buffer
      - .address_space:  global
        .offset:         192
        .size:           8
        .value_kind:     global_buffer
      - .actual_access:  read_only
        .address_space:  global
        .offset:         200
        .size:           8
        .value_kind:     global_buffer
    .group_segment_fixed_size: 128
    .kernarg_segment_align: 8
    .kernarg_segment_size: 208
    .language:       OpenCL C
    .language_version:
      - 2
      - 0
    .max_flat_workgroup_size: 1024
    .name:           _ZN9rocsparseL6kernelILi1024ELi64E21rocsparse_complex_numIfEiiEEvbbbT3_PS3_NS_15floating_traitsIT1_E6data_tES3_T2_PKS9_SB_PKS3_PKS6_21rocsparse_index_base_SB_SB_SD_PS6_SH_SG_SB_SB_SD_SH_SH_SG_SH_SH_PS8_SI_PKS8_
    .private_segment_fixed_size: 0
    .sgpr_count:     100
    .sgpr_spill_count: 12
    .symbol:         _ZN9rocsparseL6kernelILi1024ELi64E21rocsparse_complex_numIfEiiEEvbbbT3_PS3_NS_15floating_traitsIT1_E6data_tES3_T2_PKS9_SB_PKS3_PKS6_21rocsparse_index_base_SB_SB_SD_PS6_SH_SG_SB_SB_SD_SH_SH_SG_SH_SH_PS8_SI_PKS8_.kd
    .uniform_work_group_size: 1
    .uses_dynamic_stack: false
    .vgpr_count:     45
    .vgpr_spill_count: 0
    .wavefront_size: 64
  - .agpr_count:     0
    .args:
      - .offset:         0
        .size:           4
        .value_kind:     by_value
      - .offset:         4
        .size:           4
        .value_kind:     by_value
      - .offset:         8
        .size:           4
        .value_kind:     by_value
      - .actual_access:  read_only
        .address_space:  global
        .offset:         16
        .size:           8
        .value_kind:     global_buffer
      - .actual_access:  read_only
        .address_space:  global
        .offset:         24
        .size:           8
        .value_kind:     global_buffer
      - .actual_access:  read_only
        .address_space:  global
        .offset:         32
        .size:           8
        .value_kind:     global_buffer
      - .actual_access:  read_only
        .address_space:  global
        .offset:         40
        .size:           8
        .value_kind:     global_buffer
      - .offset:         48
        .size:           4
        .value_kind:     by_value
      - .actual_access:  read_only
        .address_space:  global
        .offset:         56
        .size:           8
        .value_kind:     global_buffer
      - .actual_access:  read_only
        .address_space:  global
        .offset:         64
        .size:           8
        .value_kind:     global_buffer
      - .actual_access:  read_only
        .address_space:  global
        .offset:         72
        .size:           8
        .value_kind:     global_buffer
      - .address_space:  global
        .offset:         80
        .size:           8
        .value_kind:     global_buffer
      - .address_space:  global
        .offset:         88
        .size:           8
        .value_kind:     global_buffer
      - .offset:         96
        .size:           4
        .value_kind:     by_value
      - .actual_access:  read_only
        .address_space:  global
        .offset:         104
        .size:           8
        .value_kind:     global_buffer
      - .actual_access:  read_only
        .address_space:  global
        .offset:         112
        .size:           8
        .value_kind:     global_buffer
      - .actual_access:  read_only
        .address_space:  global
        .offset:         120
        .size:           8
        .value_kind:     global_buffer
      - .address_space:  global
        .offset:         128
        .size:           8
        .value_kind:     global_buffer
      - .address_space:  global
        .offset:         136
        .size:           8
        .value_kind:     global_buffer
      - .offset:         144
        .size:           4
        .value_kind:     by_value
      - .address_space:  global
        .offset:         152
        .size:           8
        .value_kind:     global_buffer
      - .address_space:  global
        .offset:         160
        .size:           8
        .value_kind:     global_buffer
    .group_segment_fixed_size: 0
    .kernarg_segment_align: 8
    .kernarg_segment_size: 168
    .language:       OpenCL C
    .language_version:
      - 2
      - 0
    .max_flat_workgroup_size: 1024
    .name:           _ZN9rocsparseL14kernel_freerunILi1024ELi1E21rocsparse_complex_numIdEiiEEvT3_S3_T2_PKS4_S6_PKS3_PKT1_21rocsparse_index_base_S6_S6_S8_PS9_SD_SC_S6_S6_S8_SD_SD_SC_SD_SD_
    .private_segment_fixed_size: 0
    .sgpr_count:     76
    .sgpr_spill_count: 0
    .symbol:         _ZN9rocsparseL14kernel_freerunILi1024ELi1E21rocsparse_complex_numIdEiiEEvT3_S3_T2_PKS4_S6_PKS3_PKT1_21rocsparse_index_base_S6_S6_S8_PS9_SD_SC_S6_S6_S8_SD_SD_SC_SD_SD_.kd
    .uniform_work_group_size: 1
    .uses_dynamic_stack: false
    .vgpr_count:     42
    .vgpr_spill_count: 0
    .wavefront_size: 64
  - .agpr_count:     0
    .args:
      - .offset:         0
        .size:           4
        .value_kind:     by_value
      - .offset:         4
        .size:           4
        .value_kind:     by_value
      - .offset:         8
        .size:           4
        .value_kind:     by_value
      - .actual_access:  read_only
        .address_space:  global
        .offset:         16
        .size:           8
        .value_kind:     global_buffer
      - .actual_access:  read_only
        .address_space:  global
        .offset:         24
        .size:           8
        .value_kind:     global_buffer
      - .actual_access:  read_only
        .address_space:  global
        .offset:         32
        .size:           8
        .value_kind:     global_buffer
      - .actual_access:  read_only
        .address_space:  global
        .offset:         40
        .size:           8
        .value_kind:     global_buffer
      - .offset:         48
        .size:           4
        .value_kind:     by_value
      - .actual_access:  read_only
        .address_space:  global
        .offset:         56
        .size:           8
        .value_kind:     global_buffer
      - .actual_access:  read_only
        .address_space:  global
        .offset:         64
        .size:           8
        .value_kind:     global_buffer
      - .actual_access:  read_only
        .address_space:  global
        .offset:         72
        .size:           8
        .value_kind:     global_buffer
      - .address_space:  global
        .offset:         80
        .size:           8
        .value_kind:     global_buffer
      - .address_space:  global
        .offset:         88
        .size:           8
        .value_kind:     global_buffer
      - .offset:         96
        .size:           4
        .value_kind:     by_value
      - .actual_access:  read_only
        .address_space:  global
        .offset:         104
        .size:           8
        .value_kind:     global_buffer
      - .actual_access:  read_only
        .address_space:  global
        .offset:         112
        .size:           8
        .value_kind:     global_buffer
      - .actual_access:  read_only
        .address_space:  global
        .offset:         120
        .size:           8
        .value_kind:     global_buffer
      - .address_space:  global
        .offset:         128
        .size:           8
        .value_kind:     global_buffer
      - .address_space:  global
        .offset:         136
        .size:           8
        .value_kind:     global_buffer
      - .offset:         144
        .size:           4
        .value_kind:     by_value
      - .address_space:  global
        .offset:         152
        .size:           8
        .value_kind:     global_buffer
      - .address_space:  global
        .offset:         160
        .size:           8
        .value_kind:     global_buffer
    .group_segment_fixed_size: 0
    .kernarg_segment_align: 8
    .kernarg_segment_size: 168
    .language:       OpenCL C
    .language_version:
      - 2
      - 0
    .max_flat_workgroup_size: 1024
    .name:           _ZN9rocsparseL14kernel_freerunILi1024ELi2E21rocsparse_complex_numIdEiiEEvT3_S3_T2_PKS4_S6_PKS3_PKT1_21rocsparse_index_base_S6_S6_S8_PS9_SD_SC_S6_S6_S8_SD_SD_SC_SD_SD_
    .private_segment_fixed_size: 0
    .sgpr_count:     82
    .sgpr_spill_count: 0
    .symbol:         _ZN9rocsparseL14kernel_freerunILi1024ELi2E21rocsparse_complex_numIdEiiEEvT3_S3_T2_PKS4_S6_PKS3_PKT1_21rocsparse_index_base_S6_S6_S8_PS9_SD_SC_S6_S6_S8_SD_SD_SC_SD_SD_.kd
    .uniform_work_group_size: 1
    .uses_dynamic_stack: false
    .vgpr_count:     46
    .vgpr_spill_count: 0
    .wavefront_size: 64
  - .agpr_count:     0
    .args:
      - .offset:         0
        .size:           4
        .value_kind:     by_value
      - .offset:         4
        .size:           4
        .value_kind:     by_value
      - .offset:         8
        .size:           4
        .value_kind:     by_value
      - .actual_access:  read_only
        .address_space:  global
        .offset:         16
        .size:           8
        .value_kind:     global_buffer
      - .actual_access:  read_only
        .address_space:  global
        .offset:         24
        .size:           8
        .value_kind:     global_buffer
      - .actual_access:  read_only
        .address_space:  global
        .offset:         32
        .size:           8
        .value_kind:     global_buffer
      - .actual_access:  read_only
        .address_space:  global
        .offset:         40
        .size:           8
        .value_kind:     global_buffer
      - .offset:         48
        .size:           4
        .value_kind:     by_value
      - .actual_access:  read_only
        .address_space:  global
        .offset:         56
        .size:           8
        .value_kind:     global_buffer
      - .actual_access:  read_only
        .address_space:  global
        .offset:         64
        .size:           8
        .value_kind:     global_buffer
      - .actual_access:  read_only
        .address_space:  global
        .offset:         72
        .size:           8
        .value_kind:     global_buffer
      - .address_space:  global
        .offset:         80
        .size:           8
        .value_kind:     global_buffer
      - .address_space:  global
        .offset:         88
        .size:           8
        .value_kind:     global_buffer
      - .offset:         96
        .size:           4
        .value_kind:     by_value
      - .actual_access:  read_only
        .address_space:  global
        .offset:         104
        .size:           8
        .value_kind:     global_buffer
      - .actual_access:  read_only
        .address_space:  global
        .offset:         112
        .size:           8
        .value_kind:     global_buffer
      - .actual_access:  read_only
        .address_space:  global
        .offset:         120
        .size:           8
        .value_kind:     global_buffer
      - .address_space:  global
        .offset:         128
        .size:           8
        .value_kind:     global_buffer
      - .address_space:  global
        .offset:         136
        .size:           8
        .value_kind:     global_buffer
      - .offset:         144
        .size:           4
        .value_kind:     by_value
      - .address_space:  global
        .offset:         152
        .size:           8
        .value_kind:     global_buffer
      - .address_space:  global
        .offset:         160
        .size:           8
        .value_kind:     global_buffer
    .group_segment_fixed_size: 0
    .kernarg_segment_align: 8
    .kernarg_segment_size: 168
    .language:       OpenCL C
    .language_version:
      - 2
      - 0
    .max_flat_workgroup_size: 1024
    .name:           _ZN9rocsparseL14kernel_freerunILi1024ELi4E21rocsparse_complex_numIdEiiEEvT3_S3_T2_PKS4_S6_PKS3_PKT1_21rocsparse_index_base_S6_S6_S8_PS9_SD_SC_S6_S6_S8_SD_SD_SC_SD_SD_
    .private_segment_fixed_size: 0
    .sgpr_count:     80
    .sgpr_spill_count: 0
    .symbol:         _ZN9rocsparseL14kernel_freerunILi1024ELi4E21rocsparse_complex_numIdEiiEEvT3_S3_T2_PKS4_S6_PKS3_PKT1_21rocsparse_index_base_S6_S6_S8_PS9_SD_SC_S6_S6_S8_SD_SD_SC_SD_SD_.kd
    .uniform_work_group_size: 1
    .uses_dynamic_stack: false
    .vgpr_count:     46
    .vgpr_spill_count: 0
    .wavefront_size: 64
  - .agpr_count:     0
    .args:
      - .offset:         0
        .size:           4
        .value_kind:     by_value
      - .offset:         4
        .size:           4
        .value_kind:     by_value
      - .offset:         8
        .size:           4
        .value_kind:     by_value
      - .actual_access:  read_only
        .address_space:  global
        .offset:         16
        .size:           8
        .value_kind:     global_buffer
      - .actual_access:  read_only
        .address_space:  global
        .offset:         24
        .size:           8
        .value_kind:     global_buffer
      - .actual_access:  read_only
        .address_space:  global
        .offset:         32
        .size:           8
        .value_kind:     global_buffer
      - .actual_access:  read_only
        .address_space:  global
        .offset:         40
        .size:           8
        .value_kind:     global_buffer
      - .offset:         48
        .size:           4
        .value_kind:     by_value
      - .actual_access:  read_only
        .address_space:  global
        .offset:         56
        .size:           8
        .value_kind:     global_buffer
      - .actual_access:  read_only
        .address_space:  global
        .offset:         64
        .size:           8
        .value_kind:     global_buffer
      - .actual_access:  read_only
        .address_space:  global
        .offset:         72
        .size:           8
        .value_kind:     global_buffer
      - .address_space:  global
        .offset:         80
        .size:           8
        .value_kind:     global_buffer
      - .address_space:  global
        .offset:         88
        .size:           8
        .value_kind:     global_buffer
      - .offset:         96
        .size:           4
        .value_kind:     by_value
      - .actual_access:  read_only
        .address_space:  global
        .offset:         104
        .size:           8
        .value_kind:     global_buffer
      - .actual_access:  read_only
        .address_space:  global
        .offset:         112
        .size:           8
        .value_kind:     global_buffer
      - .actual_access:  read_only
        .address_space:  global
        .offset:         120
        .size:           8
        .value_kind:     global_buffer
      - .address_space:  global
        .offset:         128
        .size:           8
        .value_kind:     global_buffer
      - .address_space:  global
        .offset:         136
        .size:           8
        .value_kind:     global_buffer
      - .offset:         144
        .size:           4
        .value_kind:     by_value
      - .address_space:  global
        .offset:         152
        .size:           8
        .value_kind:     global_buffer
      - .address_space:  global
        .offset:         160
        .size:           8
        .value_kind:     global_buffer
    .group_segment_fixed_size: 0
    .kernarg_segment_align: 8
    .kernarg_segment_size: 168
    .language:       OpenCL C
    .language_version:
      - 2
      - 0
    .max_flat_workgroup_size: 1024
    .name:           _ZN9rocsparseL14kernel_freerunILi1024ELi8E21rocsparse_complex_numIdEiiEEvT3_S3_T2_PKS4_S6_PKS3_PKT1_21rocsparse_index_base_S6_S6_S8_PS9_SD_SC_S6_S6_S8_SD_SD_SC_SD_SD_
    .private_segment_fixed_size: 0
    .sgpr_count:     80
    .sgpr_spill_count: 0
    .symbol:         _ZN9rocsparseL14kernel_freerunILi1024ELi8E21rocsparse_complex_numIdEiiEEvT3_S3_T2_PKS4_S6_PKS3_PKT1_21rocsparse_index_base_S6_S6_S8_PS9_SD_SC_S6_S6_S8_SD_SD_SC_SD_SD_.kd
    .uniform_work_group_size: 1
    .uses_dynamic_stack: false
    .vgpr_count:     46
    .vgpr_spill_count: 0
    .wavefront_size: 64
  - .agpr_count:     0
    .args:
      - .offset:         0
        .size:           4
        .value_kind:     by_value
      - .offset:         4
        .size:           4
        .value_kind:     by_value
      - .offset:         8
        .size:           4
        .value_kind:     by_value
      - .actual_access:  read_only
        .address_space:  global
        .offset:         16
        .size:           8
        .value_kind:     global_buffer
      - .actual_access:  read_only
        .address_space:  global
        .offset:         24
        .size:           8
        .value_kind:     global_buffer
      - .actual_access:  read_only
        .address_space:  global
        .offset:         32
        .size:           8
        .value_kind:     global_buffer
      - .actual_access:  read_only
        .address_space:  global
        .offset:         40
        .size:           8
        .value_kind:     global_buffer
      - .offset:         48
        .size:           4
        .value_kind:     by_value
      - .actual_access:  read_only
        .address_space:  global
        .offset:         56
        .size:           8
        .value_kind:     global_buffer
      - .actual_access:  read_only
        .address_space:  global
        .offset:         64
        .size:           8
        .value_kind:     global_buffer
      - .actual_access:  read_only
        .address_space:  global
        .offset:         72
        .size:           8
        .value_kind:     global_buffer
      - .address_space:  global
        .offset:         80
        .size:           8
        .value_kind:     global_buffer
      - .address_space:  global
        .offset:         88
        .size:           8
        .value_kind:     global_buffer
      - .offset:         96
        .size:           4
        .value_kind:     by_value
      - .actual_access:  read_only
        .address_space:  global
        .offset:         104
        .size:           8
        .value_kind:     global_buffer
      - .actual_access:  read_only
        .address_space:  global
        .offset:         112
        .size:           8
        .value_kind:     global_buffer
      - .actual_access:  read_only
        .address_space:  global
        .offset:         120
        .size:           8
        .value_kind:     global_buffer
      - .address_space:  global
        .offset:         128
        .size:           8
        .value_kind:     global_buffer
      - .address_space:  global
        .offset:         136
        .size:           8
        .value_kind:     global_buffer
      - .offset:         144
        .size:           4
        .value_kind:     by_value
      - .address_space:  global
        .offset:         152
        .size:           8
        .value_kind:     global_buffer
      - .address_space:  global
        .offset:         160
        .size:           8
        .value_kind:     global_buffer
    .group_segment_fixed_size: 0
    .kernarg_segment_align: 8
    .kernarg_segment_size: 168
    .language:       OpenCL C
    .language_version:
      - 2
      - 0
    .max_flat_workgroup_size: 1024
    .name:           _ZN9rocsparseL14kernel_freerunILi1024ELi16E21rocsparse_complex_numIdEiiEEvT3_S3_T2_PKS4_S6_PKS3_PKT1_21rocsparse_index_base_S6_S6_S8_PS9_SD_SC_S6_S6_S8_SD_SD_SC_SD_SD_
    .private_segment_fixed_size: 0
    .sgpr_count:     80
    .sgpr_spill_count: 0
    .symbol:         _ZN9rocsparseL14kernel_freerunILi1024ELi16E21rocsparse_complex_numIdEiiEEvT3_S3_T2_PKS4_S6_PKS3_PKT1_21rocsparse_index_base_S6_S6_S8_PS9_SD_SC_S6_S6_S8_SD_SD_SC_SD_SD_.kd
    .uniform_work_group_size: 1
    .uses_dynamic_stack: false
    .vgpr_count:     46
    .vgpr_spill_count: 0
    .wavefront_size: 64
  - .agpr_count:     0
    .args:
      - .offset:         0
        .size:           4
        .value_kind:     by_value
      - .offset:         4
        .size:           4
        .value_kind:     by_value
      - .offset:         8
        .size:           4
        .value_kind:     by_value
      - .actual_access:  read_only
        .address_space:  global
        .offset:         16
        .size:           8
        .value_kind:     global_buffer
      - .actual_access:  read_only
        .address_space:  global
        .offset:         24
        .size:           8
        .value_kind:     global_buffer
      - .actual_access:  read_only
        .address_space:  global
        .offset:         32
        .size:           8
        .value_kind:     global_buffer
      - .actual_access:  read_only
        .address_space:  global
        .offset:         40
        .size:           8
        .value_kind:     global_buffer
      - .offset:         48
        .size:           4
        .value_kind:     by_value
      - .actual_access:  read_only
        .address_space:  global
        .offset:         56
        .size:           8
        .value_kind:     global_buffer
      - .actual_access:  read_only
        .address_space:  global
        .offset:         64
        .size:           8
        .value_kind:     global_buffer
      - .actual_access:  read_only
        .address_space:  global
        .offset:         72
        .size:           8
        .value_kind:     global_buffer
      - .address_space:  global
        .offset:         80
        .size:           8
        .value_kind:     global_buffer
      - .address_space:  global
        .offset:         88
        .size:           8
        .value_kind:     global_buffer
      - .offset:         96
        .size:           4
        .value_kind:     by_value
      - .actual_access:  read_only
        .address_space:  global
        .offset:         104
        .size:           8
        .value_kind:     global_buffer
      - .actual_access:  read_only
        .address_space:  global
        .offset:         112
        .size:           8
        .value_kind:     global_buffer
      - .actual_access:  read_only
        .address_space:  global
        .offset:         120
        .size:           8
        .value_kind:     global_buffer
      - .address_space:  global
        .offset:         128
        .size:           8
        .value_kind:     global_buffer
      - .address_space:  global
        .offset:         136
        .size:           8
        .value_kind:     global_buffer
      - .offset:         144
        .size:           4
        .value_kind:     by_value
      - .address_space:  global
        .offset:         152
        .size:           8
        .value_kind:     global_buffer
      - .address_space:  global
        .offset:         160
        .size:           8
        .value_kind:     global_buffer
    .group_segment_fixed_size: 0
    .kernarg_segment_align: 8
    .kernarg_segment_size: 168
    .language:       OpenCL C
    .language_version:
      - 2
      - 0
    .max_flat_workgroup_size: 1024
    .name:           _ZN9rocsparseL14kernel_freerunILi1024ELi32E21rocsparse_complex_numIdEiiEEvT3_S3_T2_PKS4_S6_PKS3_PKT1_21rocsparse_index_base_S6_S6_S8_PS9_SD_SC_S6_S6_S8_SD_SD_SC_SD_SD_
    .private_segment_fixed_size: 0
    .sgpr_count:     80
    .sgpr_spill_count: 0
    .symbol:         _ZN9rocsparseL14kernel_freerunILi1024ELi32E21rocsparse_complex_numIdEiiEEvT3_S3_T2_PKS4_S6_PKS3_PKT1_21rocsparse_index_base_S6_S6_S8_PS9_SD_SC_S6_S6_S8_SD_SD_SC_SD_SD_.kd
    .uniform_work_group_size: 1
    .uses_dynamic_stack: false
    .vgpr_count:     46
    .vgpr_spill_count: 0
    .wavefront_size: 64
  - .agpr_count:     0
    .args:
      - .offset:         0
        .size:           4
        .value_kind:     by_value
      - .offset:         4
        .size:           4
        .value_kind:     by_value
      - .offset:         8
        .size:           4
        .value_kind:     by_value
      - .actual_access:  read_only
        .address_space:  global
        .offset:         16
        .size:           8
        .value_kind:     global_buffer
      - .actual_access:  read_only
        .address_space:  global
        .offset:         24
        .size:           8
        .value_kind:     global_buffer
      - .actual_access:  read_only
        .address_space:  global
        .offset:         32
        .size:           8
        .value_kind:     global_buffer
      - .actual_access:  read_only
        .address_space:  global
        .offset:         40
        .size:           8
        .value_kind:     global_buffer
      - .offset:         48
        .size:           4
        .value_kind:     by_value
      - .actual_access:  read_only
        .address_space:  global
        .offset:         56
        .size:           8
        .value_kind:     global_buffer
      - .actual_access:  read_only
        .address_space:  global
        .offset:         64
        .size:           8
        .value_kind:     global_buffer
      - .actual_access:  read_only
        .address_space:  global
        .offset:         72
        .size:           8
        .value_kind:     global_buffer
      - .address_space:  global
        .offset:         80
        .size:           8
        .value_kind:     global_buffer
      - .address_space:  global
        .offset:         88
        .size:           8
        .value_kind:     global_buffer
      - .offset:         96
        .size:           4
        .value_kind:     by_value
      - .actual_access:  read_only
        .address_space:  global
        .offset:         104
        .size:           8
        .value_kind:     global_buffer
      - .actual_access:  read_only
        .address_space:  global
        .offset:         112
        .size:           8
        .value_kind:     global_buffer
      - .actual_access:  read_only
        .address_space:  global
        .offset:         120
        .size:           8
        .value_kind:     global_buffer
      - .address_space:  global
        .offset:         128
        .size:           8
        .value_kind:     global_buffer
      - .address_space:  global
        .offset:         136
        .size:           8
        .value_kind:     global_buffer
      - .offset:         144
        .size:           4
        .value_kind:     by_value
      - .address_space:  global
        .offset:         152
        .size:           8
        .value_kind:     global_buffer
      - .address_space:  global
        .offset:         160
        .size:           8
        .value_kind:     global_buffer
    .group_segment_fixed_size: 0
    .kernarg_segment_align: 8
    .kernarg_segment_size: 168
    .language:       OpenCL C
    .language_version:
      - 2
      - 0
    .max_flat_workgroup_size: 1024
    .name:           _ZN9rocsparseL14kernel_freerunILi1024ELi64E21rocsparse_complex_numIdEiiEEvT3_S3_T2_PKS4_S6_PKS3_PKT1_21rocsparse_index_base_S6_S6_S8_PS9_SD_SC_S6_S6_S8_SD_SD_SC_SD_SD_
    .private_segment_fixed_size: 0
    .sgpr_count:     80
    .sgpr_spill_count: 0
    .symbol:         _ZN9rocsparseL14kernel_freerunILi1024ELi64E21rocsparse_complex_numIdEiiEEvT3_S3_T2_PKS4_S6_PKS3_PKT1_21rocsparse_index_base_S6_S6_S8_PS9_SD_SC_S6_S6_S8_SD_SD_SC_SD_SD_.kd
    .uniform_work_group_size: 1
    .uses_dynamic_stack: false
    .vgpr_count:     46
    .vgpr_spill_count: 0
    .wavefront_size: 64
  - .agpr_count:     0
    .args:
      - .offset:         0
        .size:           1
        .value_kind:     by_value
      - .offset:         1
        .size:           1
        .value_kind:     by_value
      - .offset:         2
        .size:           1
        .value_kind:     by_value
      - .offset:         4
        .size:           4
        .value_kind:     by_value
      - .address_space:  global
        .offset:         8
        .size:           8
        .value_kind:     global_buffer
      - .offset:         16
        .size:           8
        .value_kind:     by_value
      - .offset:         24
        .size:           4
        .value_kind:     by_value
      - .offset:         28
        .size:           4
        .value_kind:     by_value
      - .actual_access:  read_only
        .address_space:  global
        .offset:         32
        .size:           8
        .value_kind:     global_buffer
      - .actual_access:  read_only
        .address_space:  global
        .offset:         40
        .size:           8
        .value_kind:     global_buffer
      - .actual_access:  read_only
        .address_space:  global
        .offset:         48
        .size:           8
        .value_kind:     global_buffer
      - .actual_access:  read_only
        .address_space:  global
        .offset:         56
        .size:           8
        .value_kind:     global_buffer
      - .offset:         64
        .size:           4
        .value_kind:     by_value
      - .actual_access:  read_only
        .address_space:  global
        .offset:         72
        .size:           8
        .value_kind:     global_buffer
      - .actual_access:  read_only
        .address_space:  global
        .offset:         80
        .size:           8
        .value_kind:     global_buffer
      - .actual_access:  read_only
        .address_space:  global
        .offset:         88
        .size:           8
        .value_kind:     global_buffer
      - .address_space:  global
        .offset:         96
        .size:           8
        .value_kind:     global_buffer
      - .address_space:  global
        .offset:         104
        .size:           8
        .value_kind:     global_buffer
      - .offset:         112
        .size:           4
        .value_kind:     by_value
      - .actual_access:  read_only
        .address_space:  global
        .offset:         120
        .size:           8
        .value_kind:     global_buffer
      - .actual_access:  read_only
        .address_space:  global
        .offset:         128
        .size:           8
        .value_kind:     global_buffer
      - .actual_access:  read_only
        .address_space:  global
        .offset:         136
        .size:           8
        .value_kind:     global_buffer
      - .address_space:  global
        .offset:         144
        .size:           8
        .value_kind:     global_buffer
      - .address_space:  global
        .offset:         152
        .size:           8
        .value_kind:     global_buffer
      - .offset:         160
        .size:           4
        .value_kind:     by_value
      - .address_space:  global
        .offset:         168
        .size:           8
        .value_kind:     global_buffer
      - .address_space:  global
        .offset:         176
        .size:           8
        .value_kind:     global_buffer
      - .address_space:  global
        .offset:         184
        .size:           8
        .value_kind:     global_buffer
      - .address_space:  global
        .offset:         192
        .size:           8
        .value_kind:     global_buffer
      - .actual_access:  read_only
        .address_space:  global
        .offset:         200
        .size:           8
        .value_kind:     global_buffer
    .group_segment_fixed_size: 12288
    .kernarg_segment_align: 8
    .kernarg_segment_size: 208
    .language:       OpenCL C
    .language_version:
      - 2
      - 0
    .max_flat_workgroup_size: 1024
    .name:           _ZN9rocsparseL6kernelILi1024ELi1E21rocsparse_complex_numIdEiiEEvbbbT3_PS3_NS_15floating_traitsIT1_E6data_tES3_T2_PKS9_SB_PKS3_PKS6_21rocsparse_index_base_SB_SB_SD_PS6_SH_SG_SB_SB_SD_SH_SH_SG_SH_SH_PS8_SI_PKS8_
    .private_segment_fixed_size: 0
    .sgpr_count:     100
    .sgpr_spill_count: 18
    .symbol:         _ZN9rocsparseL6kernelILi1024ELi1E21rocsparse_complex_numIdEiiEEvbbbT3_PS3_NS_15floating_traitsIT1_E6data_tES3_T2_PKS9_SB_PKS3_PKS6_21rocsparse_index_base_SB_SB_SD_PS6_SH_SG_SB_SB_SD_SH_SH_SG_SH_SH_PS8_SI_PKS8_.kd
    .uniform_work_group_size: 1
    .uses_dynamic_stack: false
    .vgpr_count:     57
    .vgpr_spill_count: 0
    .wavefront_size: 64
  - .agpr_count:     0
    .args:
      - .offset:         0
        .size:           1
        .value_kind:     by_value
      - .offset:         1
        .size:           1
        .value_kind:     by_value
      - .offset:         2
        .size:           1
        .value_kind:     by_value
      - .offset:         4
        .size:           4
        .value_kind:     by_value
      - .address_space:  global
        .offset:         8
        .size:           8
        .value_kind:     global_buffer
      - .offset:         16
        .size:           8
        .value_kind:     by_value
      - .offset:         24
        .size:           4
        .value_kind:     by_value
      - .offset:         28
        .size:           4
        .value_kind:     by_value
      - .actual_access:  read_only
        .address_space:  global
        .offset:         32
        .size:           8
        .value_kind:     global_buffer
      - .actual_access:  read_only
        .address_space:  global
        .offset:         40
        .size:           8
        .value_kind:     global_buffer
      - .actual_access:  read_only
        .address_space:  global
        .offset:         48
        .size:           8
        .value_kind:     global_buffer
      - .actual_access:  read_only
        .address_space:  global
        .offset:         56
        .size:           8
        .value_kind:     global_buffer
      - .offset:         64
        .size:           4
        .value_kind:     by_value
      - .actual_access:  read_only
        .address_space:  global
        .offset:         72
        .size:           8
        .value_kind:     global_buffer
      - .actual_access:  read_only
        .address_space:  global
        .offset:         80
        .size:           8
        .value_kind:     global_buffer
      - .actual_access:  read_only
        .address_space:  global
        .offset:         88
        .size:           8
        .value_kind:     global_buffer
      - .address_space:  global
        .offset:         96
        .size:           8
        .value_kind:     global_buffer
      - .address_space:  global
        .offset:         104
        .size:           8
        .value_kind:     global_buffer
      - .offset:         112
        .size:           4
        .value_kind:     by_value
      - .actual_access:  read_only
        .address_space:  global
        .offset:         120
        .size:           8
        .value_kind:     global_buffer
      - .actual_access:  read_only
        .address_space:  global
        .offset:         128
        .size:           8
        .value_kind:     global_buffer
      - .actual_access:  read_only
        .address_space:  global
        .offset:         136
        .size:           8
        .value_kind:     global_buffer
      - .address_space:  global
        .offset:         144
        .size:           8
        .value_kind:     global_buffer
      - .address_space:  global
        .offset:         152
        .size:           8
        .value_kind:     global_buffer
      - .offset:         160
        .size:           4
        .value_kind:     by_value
      - .address_space:  global
        .offset:         168
        .size:           8
        .value_kind:     global_buffer
      - .address_space:  global
        .offset:         176
        .size:           8
        .value_kind:     global_buffer
      - .address_space:  global
        .offset:         184
        .size:           8
        .value_kind:     global_buffer
      - .address_space:  global
        .offset:         192
        .size:           8
        .value_kind:     global_buffer
      - .actual_access:  read_only
        .address_space:  global
        .offset:         200
        .size:           8
        .value_kind:     global_buffer
    .group_segment_fixed_size: 6144
    .kernarg_segment_align: 8
    .kernarg_segment_size: 208
    .language:       OpenCL C
    .language_version:
      - 2
      - 0
    .max_flat_workgroup_size: 1024
    .name:           _ZN9rocsparseL6kernelILi1024ELi2E21rocsparse_complex_numIdEiiEEvbbbT3_PS3_NS_15floating_traitsIT1_E6data_tES3_T2_PKS9_SB_PKS3_PKS6_21rocsparse_index_base_SB_SB_SD_PS6_SH_SG_SB_SB_SD_SH_SH_SG_SH_SH_PS8_SI_PKS8_
    .private_segment_fixed_size: 0
    .sgpr_count:     100
    .sgpr_spill_count: 26
    .symbol:         _ZN9rocsparseL6kernelILi1024ELi2E21rocsparse_complex_numIdEiiEEvbbbT3_PS3_NS_15floating_traitsIT1_E6data_tES3_T2_PKS9_SB_PKS3_PKS6_21rocsparse_index_base_SB_SB_SD_PS6_SH_SG_SB_SB_SD_SH_SH_SG_SH_SH_PS8_SI_PKS8_.kd
    .uniform_work_group_size: 1
    .uses_dynamic_stack: false
    .vgpr_count:     63
    .vgpr_spill_count: 0
    .wavefront_size: 64
  - .agpr_count:     0
    .args:
      - .offset:         0
        .size:           1
        .value_kind:     by_value
      - .offset:         1
        .size:           1
        .value_kind:     by_value
      - .offset:         2
        .size:           1
        .value_kind:     by_value
      - .offset:         4
        .size:           4
        .value_kind:     by_value
      - .address_space:  global
        .offset:         8
        .size:           8
        .value_kind:     global_buffer
      - .offset:         16
        .size:           8
        .value_kind:     by_value
      - .offset:         24
        .size:           4
        .value_kind:     by_value
      - .offset:         28
        .size:           4
        .value_kind:     by_value
      - .actual_access:  read_only
        .address_space:  global
        .offset:         32
        .size:           8
        .value_kind:     global_buffer
      - .actual_access:  read_only
        .address_space:  global
        .offset:         40
        .size:           8
        .value_kind:     global_buffer
      - .actual_access:  read_only
        .address_space:  global
        .offset:         48
        .size:           8
        .value_kind:     global_buffer
      - .actual_access:  read_only
        .address_space:  global
        .offset:         56
        .size:           8
        .value_kind:     global_buffer
      - .offset:         64
        .size:           4
        .value_kind:     by_value
      - .actual_access:  read_only
        .address_space:  global
        .offset:         72
        .size:           8
        .value_kind:     global_buffer
      - .actual_access:  read_only
        .address_space:  global
        .offset:         80
        .size:           8
        .value_kind:     global_buffer
      - .actual_access:  read_only
        .address_space:  global
        .offset:         88
        .size:           8
        .value_kind:     global_buffer
      - .address_space:  global
        .offset:         96
        .size:           8
        .value_kind:     global_buffer
      - .address_space:  global
        .offset:         104
        .size:           8
        .value_kind:     global_buffer
      - .offset:         112
        .size:           4
        .value_kind:     by_value
      - .actual_access:  read_only
        .address_space:  global
        .offset:         120
        .size:           8
        .value_kind:     global_buffer
      - .actual_access:  read_only
        .address_space:  global
        .offset:         128
        .size:           8
        .value_kind:     global_buffer
      - .actual_access:  read_only
        .address_space:  global
        .offset:         136
        .size:           8
        .value_kind:     global_buffer
      - .address_space:  global
        .offset:         144
        .size:           8
        .value_kind:     global_buffer
      - .address_space:  global
        .offset:         152
        .size:           8
        .value_kind:     global_buffer
      - .offset:         160
        .size:           4
        .value_kind:     by_value
      - .address_space:  global
        .offset:         168
        .size:           8
        .value_kind:     global_buffer
      - .address_space:  global
        .offset:         176
        .size:           8
        .value_kind:     global_buffer
      - .address_space:  global
        .offset:         184
        .size:           8
        .value_kind:     global_buffer
      - .address_space:  global
        .offset:         192
        .size:           8
        .value_kind:     global_buffer
      - .actual_access:  read_only
        .address_space:  global
        .offset:         200
        .size:           8
        .value_kind:     global_buffer
    .group_segment_fixed_size: 3072
    .kernarg_segment_align: 8
    .kernarg_segment_size: 208
    .language:       OpenCL C
    .language_version:
      - 2
      - 0
    .max_flat_workgroup_size: 1024
    .name:           _ZN9rocsparseL6kernelILi1024ELi4E21rocsparse_complex_numIdEiiEEvbbbT3_PS3_NS_15floating_traitsIT1_E6data_tES3_T2_PKS9_SB_PKS3_PKS6_21rocsparse_index_base_SB_SB_SD_PS6_SH_SG_SB_SB_SD_SH_SH_SG_SH_SH_PS8_SI_PKS8_
    .private_segment_fixed_size: 0
    .sgpr_count:     100
    .sgpr_spill_count: 24
    .symbol:         _ZN9rocsparseL6kernelILi1024ELi4E21rocsparse_complex_numIdEiiEEvbbbT3_PS3_NS_15floating_traitsIT1_E6data_tES3_T2_PKS9_SB_PKS3_PKS6_21rocsparse_index_base_SB_SB_SD_PS6_SH_SG_SB_SB_SD_SH_SH_SG_SH_SH_PS8_SI_PKS8_.kd
    .uniform_work_group_size: 1
    .uses_dynamic_stack: false
    .vgpr_count:     63
    .vgpr_spill_count: 0
    .wavefront_size: 64
  - .agpr_count:     0
    .args:
      - .offset:         0
        .size:           1
        .value_kind:     by_value
      - .offset:         1
        .size:           1
        .value_kind:     by_value
      - .offset:         2
        .size:           1
        .value_kind:     by_value
      - .offset:         4
        .size:           4
        .value_kind:     by_value
      - .address_space:  global
        .offset:         8
        .size:           8
        .value_kind:     global_buffer
      - .offset:         16
        .size:           8
        .value_kind:     by_value
      - .offset:         24
        .size:           4
        .value_kind:     by_value
      - .offset:         28
        .size:           4
        .value_kind:     by_value
      - .actual_access:  read_only
        .address_space:  global
        .offset:         32
        .size:           8
        .value_kind:     global_buffer
      - .actual_access:  read_only
        .address_space:  global
        .offset:         40
        .size:           8
        .value_kind:     global_buffer
      - .actual_access:  read_only
        .address_space:  global
        .offset:         48
        .size:           8
        .value_kind:     global_buffer
      - .actual_access:  read_only
        .address_space:  global
        .offset:         56
        .size:           8
        .value_kind:     global_buffer
      - .offset:         64
        .size:           4
        .value_kind:     by_value
      - .actual_access:  read_only
        .address_space:  global
        .offset:         72
        .size:           8
        .value_kind:     global_buffer
      - .actual_access:  read_only
        .address_space:  global
        .offset:         80
        .size:           8
        .value_kind:     global_buffer
      - .actual_access:  read_only
        .address_space:  global
        .offset:         88
        .size:           8
        .value_kind:     global_buffer
      - .address_space:  global
        .offset:         96
        .size:           8
        .value_kind:     global_buffer
      - .address_space:  global
        .offset:         104
        .size:           8
        .value_kind:     global_buffer
      - .offset:         112
        .size:           4
        .value_kind:     by_value
      - .actual_access:  read_only
        .address_space:  global
        .offset:         120
        .size:           8
        .value_kind:     global_buffer
      - .actual_access:  read_only
        .address_space:  global
        .offset:         128
        .size:           8
        .value_kind:     global_buffer
      - .actual_access:  read_only
        .address_space:  global
        .offset:         136
        .size:           8
        .value_kind:     global_buffer
      - .address_space:  global
        .offset:         144
        .size:           8
        .value_kind:     global_buffer
      - .address_space:  global
        .offset:         152
        .size:           8
        .value_kind:     global_buffer
      - .offset:         160
        .size:           4
        .value_kind:     by_value
      - .address_space:  global
        .offset:         168
        .size:           8
        .value_kind:     global_buffer
      - .address_space:  global
        .offset:         176
        .size:           8
        .value_kind:     global_buffer
      - .address_space:  global
        .offset:         184
        .size:           8
        .value_kind:     global_buffer
      - .address_space:  global
        .offset:         192
        .size:           8
        .value_kind:     global_buffer
      - .actual_access:  read_only
        .address_space:  global
        .offset:         200
        .size:           8
        .value_kind:     global_buffer
    .group_segment_fixed_size: 1536
    .kernarg_segment_align: 8
    .kernarg_segment_size: 208
    .language:       OpenCL C
    .language_version:
      - 2
      - 0
    .max_flat_workgroup_size: 1024
    .name:           _ZN9rocsparseL6kernelILi1024ELi8E21rocsparse_complex_numIdEiiEEvbbbT3_PS3_NS_15floating_traitsIT1_E6data_tES3_T2_PKS9_SB_PKS3_PKS6_21rocsparse_index_base_SB_SB_SD_PS6_SH_SG_SB_SB_SD_SH_SH_SG_SH_SH_PS8_SI_PKS8_
    .private_segment_fixed_size: 0
    .sgpr_count:     100
    .sgpr_spill_count: 22
    .symbol:         _ZN9rocsparseL6kernelILi1024ELi8E21rocsparse_complex_numIdEiiEEvbbbT3_PS3_NS_15floating_traitsIT1_E6data_tES3_T2_PKS9_SB_PKS3_PKS6_21rocsparse_index_base_SB_SB_SD_PS6_SH_SG_SB_SB_SD_SH_SH_SG_SH_SH_PS8_SI_PKS8_.kd
    .uniform_work_group_size: 1
    .uses_dynamic_stack: false
    .vgpr_count:     63
    .vgpr_spill_count: 0
    .wavefront_size: 64
  - .agpr_count:     0
    .args:
      - .offset:         0
        .size:           1
        .value_kind:     by_value
      - .offset:         1
        .size:           1
        .value_kind:     by_value
      - .offset:         2
        .size:           1
        .value_kind:     by_value
      - .offset:         4
        .size:           4
        .value_kind:     by_value
      - .address_space:  global
        .offset:         8
        .size:           8
        .value_kind:     global_buffer
      - .offset:         16
        .size:           8
        .value_kind:     by_value
      - .offset:         24
        .size:           4
        .value_kind:     by_value
      - .offset:         28
        .size:           4
        .value_kind:     by_value
      - .actual_access:  read_only
        .address_space:  global
        .offset:         32
        .size:           8
        .value_kind:     global_buffer
      - .actual_access:  read_only
        .address_space:  global
        .offset:         40
        .size:           8
        .value_kind:     global_buffer
      - .actual_access:  read_only
        .address_space:  global
        .offset:         48
        .size:           8
        .value_kind:     global_buffer
      - .actual_access:  read_only
        .address_space:  global
        .offset:         56
        .size:           8
        .value_kind:     global_buffer
      - .offset:         64
        .size:           4
        .value_kind:     by_value
      - .actual_access:  read_only
        .address_space:  global
        .offset:         72
        .size:           8
        .value_kind:     global_buffer
      - .actual_access:  read_only
        .address_space:  global
        .offset:         80
        .size:           8
        .value_kind:     global_buffer
      - .actual_access:  read_only
        .address_space:  global
        .offset:         88
        .size:           8
        .value_kind:     global_buffer
      - .address_space:  global
        .offset:         96
        .size:           8
        .value_kind:     global_buffer
      - .address_space:  global
        .offset:         104
        .size:           8
        .value_kind:     global_buffer
      - .offset:         112
        .size:           4
        .value_kind:     by_value
      - .actual_access:  read_only
        .address_space:  global
        .offset:         120
        .size:           8
        .value_kind:     global_buffer
      - .actual_access:  read_only
        .address_space:  global
        .offset:         128
        .size:           8
        .value_kind:     global_buffer
      - .actual_access:  read_only
        .address_space:  global
        .offset:         136
        .size:           8
        .value_kind:     global_buffer
      - .address_space:  global
        .offset:         144
        .size:           8
        .value_kind:     global_buffer
      - .address_space:  global
        .offset:         152
        .size:           8
        .value_kind:     global_buffer
      - .offset:         160
        .size:           4
        .value_kind:     by_value
      - .address_space:  global
        .offset:         168
        .size:           8
        .value_kind:     global_buffer
      - .address_space:  global
        .offset:         176
        .size:           8
        .value_kind:     global_buffer
      - .address_space:  global
        .offset:         184
        .size:           8
        .value_kind:     global_buffer
      - .address_space:  global
        .offset:         192
        .size:           8
        .value_kind:     global_buffer
      - .actual_access:  read_only
        .address_space:  global
        .offset:         200
        .size:           8
        .value_kind:     global_buffer
    .group_segment_fixed_size: 768
    .kernarg_segment_align: 8
    .kernarg_segment_size: 208
    .language:       OpenCL C
    .language_version:
      - 2
      - 0
    .max_flat_workgroup_size: 1024
    .name:           _ZN9rocsparseL6kernelILi1024ELi16E21rocsparse_complex_numIdEiiEEvbbbT3_PS3_NS_15floating_traitsIT1_E6data_tES3_T2_PKS9_SB_PKS3_PKS6_21rocsparse_index_base_SB_SB_SD_PS6_SH_SG_SB_SB_SD_SH_SH_SG_SH_SH_PS8_SI_PKS8_
    .private_segment_fixed_size: 0
    .sgpr_count:     100
    .sgpr_spill_count: 20
    .symbol:         _ZN9rocsparseL6kernelILi1024ELi16E21rocsparse_complex_numIdEiiEEvbbbT3_PS3_NS_15floating_traitsIT1_E6data_tES3_T2_PKS9_SB_PKS3_PKS6_21rocsparse_index_base_SB_SB_SD_PS6_SH_SG_SB_SB_SD_SH_SH_SG_SH_SH_PS8_SI_PKS8_.kd
    .uniform_work_group_size: 1
    .uses_dynamic_stack: false
    .vgpr_count:     63
    .vgpr_spill_count: 0
    .wavefront_size: 64
  - .agpr_count:     0
    .args:
      - .offset:         0
        .size:           1
        .value_kind:     by_value
      - .offset:         1
        .size:           1
        .value_kind:     by_value
      - .offset:         2
        .size:           1
        .value_kind:     by_value
      - .offset:         4
        .size:           4
        .value_kind:     by_value
      - .address_space:  global
        .offset:         8
        .size:           8
        .value_kind:     global_buffer
      - .offset:         16
        .size:           8
        .value_kind:     by_value
      - .offset:         24
        .size:           4
        .value_kind:     by_value
      - .offset:         28
        .size:           4
        .value_kind:     by_value
      - .actual_access:  read_only
        .address_space:  global
        .offset:         32
        .size:           8
        .value_kind:     global_buffer
      - .actual_access:  read_only
        .address_space:  global
        .offset:         40
        .size:           8
        .value_kind:     global_buffer
      - .actual_access:  read_only
        .address_space:  global
        .offset:         48
        .size:           8
        .value_kind:     global_buffer
      - .actual_access:  read_only
        .address_space:  global
        .offset:         56
        .size:           8
        .value_kind:     global_buffer
      - .offset:         64
        .size:           4
        .value_kind:     by_value
      - .actual_access:  read_only
        .address_space:  global
        .offset:         72
        .size:           8
        .value_kind:     global_buffer
      - .actual_access:  read_only
        .address_space:  global
        .offset:         80
        .size:           8
        .value_kind:     global_buffer
      - .actual_access:  read_only
        .address_space:  global
        .offset:         88
        .size:           8
        .value_kind:     global_buffer
      - .address_space:  global
        .offset:         96
        .size:           8
        .value_kind:     global_buffer
      - .address_space:  global
        .offset:         104
        .size:           8
        .value_kind:     global_buffer
      - .offset:         112
        .size:           4
        .value_kind:     by_value
      - .actual_access:  read_only
        .address_space:  global
        .offset:         120
        .size:           8
        .value_kind:     global_buffer
      - .actual_access:  read_only
        .address_space:  global
        .offset:         128
        .size:           8
        .value_kind:     global_buffer
      - .actual_access:  read_only
        .address_space:  global
        .offset:         136
        .size:           8
        .value_kind:     global_buffer
      - .address_space:  global
        .offset:         144
        .size:           8
        .value_kind:     global_buffer
      - .address_space:  global
        .offset:         152
        .size:           8
        .value_kind:     global_buffer
      - .offset:         160
        .size:           4
        .value_kind:     by_value
      - .address_space:  global
        .offset:         168
        .size:           8
        .value_kind:     global_buffer
      - .address_space:  global
        .offset:         176
        .size:           8
        .value_kind:     global_buffer
      - .address_space:  global
        .offset:         184
        .size:           8
        .value_kind:     global_buffer
      - .address_space:  global
        .offset:         192
        .size:           8
        .value_kind:     global_buffer
      - .actual_access:  read_only
        .address_space:  global
        .offset:         200
        .size:           8
        .value_kind:     global_buffer
    .group_segment_fixed_size: 384
    .kernarg_segment_align: 8
    .kernarg_segment_size: 208
    .language:       OpenCL C
    .language_version:
      - 2
      - 0
    .max_flat_workgroup_size: 1024
    .name:           _ZN9rocsparseL6kernelILi1024ELi32E21rocsparse_complex_numIdEiiEEvbbbT3_PS3_NS_15floating_traitsIT1_E6data_tES3_T2_PKS9_SB_PKS3_PKS6_21rocsparse_index_base_SB_SB_SD_PS6_SH_SG_SB_SB_SD_SH_SH_SG_SH_SH_PS8_SI_PKS8_
    .private_segment_fixed_size: 0
    .sgpr_count:     100
    .sgpr_spill_count: 16
    .symbol:         _ZN9rocsparseL6kernelILi1024ELi32E21rocsparse_complex_numIdEiiEEvbbbT3_PS3_NS_15floating_traitsIT1_E6data_tES3_T2_PKS9_SB_PKS3_PKS6_21rocsparse_index_base_SB_SB_SD_PS6_SH_SG_SB_SB_SD_SH_SH_SG_SH_SH_PS8_SI_PKS8_.kd
    .uniform_work_group_size: 1
    .uses_dynamic_stack: false
    .vgpr_count:     63
    .vgpr_spill_count: 0
    .wavefront_size: 64
  - .agpr_count:     0
    .args:
      - .offset:         0
        .size:           1
        .value_kind:     by_value
      - .offset:         1
        .size:           1
        .value_kind:     by_value
      - .offset:         2
        .size:           1
        .value_kind:     by_value
      - .offset:         4
        .size:           4
        .value_kind:     by_value
      - .address_space:  global
        .offset:         8
        .size:           8
        .value_kind:     global_buffer
      - .offset:         16
        .size:           8
        .value_kind:     by_value
      - .offset:         24
        .size:           4
        .value_kind:     by_value
      - .offset:         28
        .size:           4
        .value_kind:     by_value
      - .actual_access:  read_only
        .address_space:  global
        .offset:         32
        .size:           8
        .value_kind:     global_buffer
      - .actual_access:  read_only
        .address_space:  global
        .offset:         40
        .size:           8
        .value_kind:     global_buffer
      - .actual_access:  read_only
        .address_space:  global
        .offset:         48
        .size:           8
        .value_kind:     global_buffer
      - .actual_access:  read_only
        .address_space:  global
        .offset:         56
        .size:           8
        .value_kind:     global_buffer
      - .offset:         64
        .size:           4
        .value_kind:     by_value
      - .actual_access:  read_only
        .address_space:  global
        .offset:         72
        .size:           8
        .value_kind:     global_buffer
      - .actual_access:  read_only
        .address_space:  global
        .offset:         80
        .size:           8
        .value_kind:     global_buffer
      - .actual_access:  read_only
        .address_space:  global
        .offset:         88
        .size:           8
        .value_kind:     global_buffer
      - .address_space:  global
        .offset:         96
        .size:           8
        .value_kind:     global_buffer
      - .address_space:  global
        .offset:         104
        .size:           8
        .value_kind:     global_buffer
      - .offset:         112
        .size:           4
        .value_kind:     by_value
      - .actual_access:  read_only
        .address_space:  global
        .offset:         120
        .size:           8
        .value_kind:     global_buffer
      - .actual_access:  read_only
        .address_space:  global
        .offset:         128
        .size:           8
        .value_kind:     global_buffer
      - .actual_access:  read_only
        .address_space:  global
        .offset:         136
        .size:           8
        .value_kind:     global_buffer
      - .address_space:  global
        .offset:         144
        .size:           8
        .value_kind:     global_buffer
      - .address_space:  global
        .offset:         152
        .size:           8
        .value_kind:     global_buffer
      - .offset:         160
        .size:           4
        .value_kind:     by_value
      - .address_space:  global
        .offset:         168
        .size:           8
        .value_kind:     global_buffer
      - .address_space:  global
        .offset:         176
        .size:           8
        .value_kind:     global_buffer
      - .address_space:  global
        .offset:         184
        .size:           8
        .value_kind:     global_buffer
      - .address_space:  global
        .offset:         192
        .size:           8
        .value_kind:     global_buffer
      - .actual_access:  read_only
        .address_space:  global
        .offset:         200
        .size:           8
        .value_kind:     global_buffer
    .group_segment_fixed_size: 192
    .kernarg_segment_align: 8
    .kernarg_segment_size: 208
    .language:       OpenCL C
    .language_version:
      - 2
      - 0
    .max_flat_workgroup_size: 1024
    .name:           _ZN9rocsparseL6kernelILi1024ELi64E21rocsparse_complex_numIdEiiEEvbbbT3_PS3_NS_15floating_traitsIT1_E6data_tES3_T2_PKS9_SB_PKS3_PKS6_21rocsparse_index_base_SB_SB_SD_PS6_SH_SG_SB_SB_SD_SH_SH_SG_SH_SH_PS8_SI_PKS8_
    .private_segment_fixed_size: 0
    .sgpr_count:     100
    .sgpr_spill_count: 14
    .symbol:         _ZN9rocsparseL6kernelILi1024ELi64E21rocsparse_complex_numIdEiiEEvbbbT3_PS3_NS_15floating_traitsIT1_E6data_tES3_T2_PKS9_SB_PKS3_PKS6_21rocsparse_index_base_SB_SB_SD_PS6_SH_SG_SB_SB_SD_SH_SH_SG_SH_SH_PS8_SI_PKS8_.kd
    .uniform_work_group_size: 1
    .uses_dynamic_stack: false
    .vgpr_count:     63
    .vgpr_spill_count: 0
    .wavefront_size: 64
amdhsa.target:   amdgcn-amd-amdhsa--gfx90a
amdhsa.version:
  - 1
  - 2
...

	.end_amdgpu_metadata
